;; amdgpu-corpus repo=ROCm/rocSOLVER kind=compiled arch=gfx906 opt=O3
	.amdgcn_target "amdgcn-amd-amdhsa--gfx906"
	.amdhsa_code_object_version 6
	.section	.text._ZN9rocsolver6v33100L6iota_nIfEEvPT_jS2_,"axG",@progbits,_ZN9rocsolver6v33100L6iota_nIfEEvPT_jS2_,comdat
	.globl	_ZN9rocsolver6v33100L6iota_nIfEEvPT_jS2_ ; -- Begin function _ZN9rocsolver6v33100L6iota_nIfEEvPT_jS2_
	.p2align	8
	.type	_ZN9rocsolver6v33100L6iota_nIfEEvPT_jS2_,@function
_ZN9rocsolver6v33100L6iota_nIfEEvPT_jS2_: ; @_ZN9rocsolver6v33100L6iota_nIfEEvPT_jS2_
; %bb.0:
	s_load_dwordx2 s[0:1], s[4:5], 0x8
	s_waitcnt lgkmcnt(0)
	v_cmp_gt_u32_e32 vcc, s0, v0
	s_and_saveexec_b64 s[2:3], vcc
	s_cbranch_execz .LBB0_2
; %bb.1:
	s_load_dwordx2 s[2:3], s[4:5], 0x0
	v_lshlrev_b32_e32 v1, 2, v0
	v_cvt_f32_ubyte0_e32 v0, v0
	v_add_f32_e32 v0, s1, v0
	s_waitcnt lgkmcnt(0)
	global_store_dword v1, v0, s[2:3]
.LBB0_2:
	s_endpgm
	.section	.rodata,"a",@progbits
	.p2align	6, 0x0
	.amdhsa_kernel _ZN9rocsolver6v33100L6iota_nIfEEvPT_jS2_
		.amdhsa_group_segment_fixed_size 0
		.amdhsa_private_segment_fixed_size 0
		.amdhsa_kernarg_size 16
		.amdhsa_user_sgpr_count 6
		.amdhsa_user_sgpr_private_segment_buffer 1
		.amdhsa_user_sgpr_dispatch_ptr 0
		.amdhsa_user_sgpr_queue_ptr 0
		.amdhsa_user_sgpr_kernarg_segment_ptr 1
		.amdhsa_user_sgpr_dispatch_id 0
		.amdhsa_user_sgpr_flat_scratch_init 0
		.amdhsa_user_sgpr_private_segment_size 0
		.amdhsa_uses_dynamic_stack 0
		.amdhsa_system_sgpr_private_segment_wavefront_offset 0
		.amdhsa_system_sgpr_workgroup_id_x 1
		.amdhsa_system_sgpr_workgroup_id_y 0
		.amdhsa_system_sgpr_workgroup_id_z 0
		.amdhsa_system_sgpr_workgroup_info 0
		.amdhsa_system_vgpr_workitem_id 0
		.amdhsa_next_free_vgpr 2
		.amdhsa_next_free_sgpr 6
		.amdhsa_reserve_vcc 1
		.amdhsa_reserve_flat_scratch 0
		.amdhsa_float_round_mode_32 0
		.amdhsa_float_round_mode_16_64 0
		.amdhsa_float_denorm_mode_32 3
		.amdhsa_float_denorm_mode_16_64 3
		.amdhsa_dx10_clamp 1
		.amdhsa_ieee_mode 1
		.amdhsa_fp16_overflow 0
		.amdhsa_exception_fp_ieee_invalid_op 0
		.amdhsa_exception_fp_denorm_src 0
		.amdhsa_exception_fp_ieee_div_zero 0
		.amdhsa_exception_fp_ieee_overflow 0
		.amdhsa_exception_fp_ieee_underflow 0
		.amdhsa_exception_fp_ieee_inexact 0
		.amdhsa_exception_int_div_zero 0
	.end_amdhsa_kernel
	.section	.text._ZN9rocsolver6v33100L6iota_nIfEEvPT_jS2_,"axG",@progbits,_ZN9rocsolver6v33100L6iota_nIfEEvPT_jS2_,comdat
.Lfunc_end0:
	.size	_ZN9rocsolver6v33100L6iota_nIfEEvPT_jS2_, .Lfunc_end0-_ZN9rocsolver6v33100L6iota_nIfEEvPT_jS2_
                                        ; -- End function
	.set _ZN9rocsolver6v33100L6iota_nIfEEvPT_jS2_.num_vgpr, 2
	.set _ZN9rocsolver6v33100L6iota_nIfEEvPT_jS2_.num_agpr, 0
	.set _ZN9rocsolver6v33100L6iota_nIfEEvPT_jS2_.numbered_sgpr, 6
	.set _ZN9rocsolver6v33100L6iota_nIfEEvPT_jS2_.num_named_barrier, 0
	.set _ZN9rocsolver6v33100L6iota_nIfEEvPT_jS2_.private_seg_size, 0
	.set _ZN9rocsolver6v33100L6iota_nIfEEvPT_jS2_.uses_vcc, 1
	.set _ZN9rocsolver6v33100L6iota_nIfEEvPT_jS2_.uses_flat_scratch, 0
	.set _ZN9rocsolver6v33100L6iota_nIfEEvPT_jS2_.has_dyn_sized_stack, 0
	.set _ZN9rocsolver6v33100L6iota_nIfEEvPT_jS2_.has_recursion, 0
	.set _ZN9rocsolver6v33100L6iota_nIfEEvPT_jS2_.has_indirect_call, 0
	.section	.AMDGPU.csdata,"",@progbits
; Kernel info:
; codeLenInByte = 60
; TotalNumSgprs: 10
; NumVgprs: 2
; ScratchSize: 0
; MemoryBound: 0
; FloatMode: 240
; IeeeMode: 1
; LDSByteSize: 0 bytes/workgroup (compile time only)
; SGPRBlocks: 1
; VGPRBlocks: 0
; NumSGPRsForWavesPerEU: 10
; NumVGPRsForWavesPerEU: 2
; Occupancy: 10
; WaveLimiterHint : 0
; COMPUTE_PGM_RSRC2:SCRATCH_EN: 0
; COMPUTE_PGM_RSRC2:USER_SGPR: 6
; COMPUTE_PGM_RSRC2:TRAP_HANDLER: 0
; COMPUTE_PGM_RSRC2:TGID_X_EN: 1
; COMPUTE_PGM_RSRC2:TGID_Y_EN: 0
; COMPUTE_PGM_RSRC2:TGID_Z_EN: 0
; COMPUTE_PGM_RSRC2:TIDIG_COMP_CNT: 0
	.section	.text._ZN9rocsolver6v33100L10reset_infoIfiiEEvPT_T0_T1_S4_,"axG",@progbits,_ZN9rocsolver6v33100L10reset_infoIfiiEEvPT_T0_T1_S4_,comdat
	.globl	_ZN9rocsolver6v33100L10reset_infoIfiiEEvPT_T0_T1_S4_ ; -- Begin function _ZN9rocsolver6v33100L10reset_infoIfiiEEvPT_T0_T1_S4_
	.p2align	8
	.type	_ZN9rocsolver6v33100L10reset_infoIfiiEEvPT_T0_T1_S4_,@function
_ZN9rocsolver6v33100L10reset_infoIfiiEEvPT_T0_T1_S4_: ; @_ZN9rocsolver6v33100L10reset_infoIfiiEEvPT_T0_T1_S4_
; %bb.0:
	s_load_dword s7, s[4:5], 0x24
	s_load_dwordx4 s[0:3], s[4:5], 0x8
	s_waitcnt lgkmcnt(0)
	s_and_b32 s3, s7, 0xffff
	s_mul_i32 s6, s6, s3
	v_add_u32_e32 v0, s6, v0
	v_cmp_gt_i32_e32 vcc, s0, v0
	s_and_saveexec_b64 s[6:7], vcc
	s_cbranch_execz .LBB1_2
; %bb.1:
	v_mul_lo_u32 v1, v0, s2
	s_load_dwordx2 s[2:3], s[4:5], 0x0
	v_cvt_f32_i32_e32 v2, s1
	v_cvt_f32_i32_e32 v3, v1
	v_ashrrev_i32_e32 v1, 31, v0
	v_lshlrev_b64 v[0:1], 2, v[0:1]
	s_waitcnt lgkmcnt(0)
	v_mov_b32_e32 v4, s3
	v_add_co_u32_e32 v0, vcc, s2, v0
	v_add_f32_e32 v2, v2, v3
	v_addc_co_u32_e32 v1, vcc, v4, v1, vcc
	global_store_dword v[0:1], v2, off
.LBB1_2:
	s_endpgm
	.section	.rodata,"a",@progbits
	.p2align	6, 0x0
	.amdhsa_kernel _ZN9rocsolver6v33100L10reset_infoIfiiEEvPT_T0_T1_S4_
		.amdhsa_group_segment_fixed_size 0
		.amdhsa_private_segment_fixed_size 0
		.amdhsa_kernarg_size 280
		.amdhsa_user_sgpr_count 6
		.amdhsa_user_sgpr_private_segment_buffer 1
		.amdhsa_user_sgpr_dispatch_ptr 0
		.amdhsa_user_sgpr_queue_ptr 0
		.amdhsa_user_sgpr_kernarg_segment_ptr 1
		.amdhsa_user_sgpr_dispatch_id 0
		.amdhsa_user_sgpr_flat_scratch_init 0
		.amdhsa_user_sgpr_private_segment_size 0
		.amdhsa_uses_dynamic_stack 0
		.amdhsa_system_sgpr_private_segment_wavefront_offset 0
		.amdhsa_system_sgpr_workgroup_id_x 1
		.amdhsa_system_sgpr_workgroup_id_y 0
		.amdhsa_system_sgpr_workgroup_id_z 0
		.amdhsa_system_sgpr_workgroup_info 0
		.amdhsa_system_vgpr_workitem_id 0
		.amdhsa_next_free_vgpr 5
		.amdhsa_next_free_sgpr 8
		.amdhsa_reserve_vcc 1
		.amdhsa_reserve_flat_scratch 0
		.amdhsa_float_round_mode_32 0
		.amdhsa_float_round_mode_16_64 0
		.amdhsa_float_denorm_mode_32 3
		.amdhsa_float_denorm_mode_16_64 3
		.amdhsa_dx10_clamp 1
		.amdhsa_ieee_mode 1
		.amdhsa_fp16_overflow 0
		.amdhsa_exception_fp_ieee_invalid_op 0
		.amdhsa_exception_fp_denorm_src 0
		.amdhsa_exception_fp_ieee_div_zero 0
		.amdhsa_exception_fp_ieee_overflow 0
		.amdhsa_exception_fp_ieee_underflow 0
		.amdhsa_exception_fp_ieee_inexact 0
		.amdhsa_exception_int_div_zero 0
	.end_amdhsa_kernel
	.section	.text._ZN9rocsolver6v33100L10reset_infoIfiiEEvPT_T0_T1_S4_,"axG",@progbits,_ZN9rocsolver6v33100L10reset_infoIfiiEEvPT_T0_T1_S4_,comdat
.Lfunc_end1:
	.size	_ZN9rocsolver6v33100L10reset_infoIfiiEEvPT_T0_T1_S4_, .Lfunc_end1-_ZN9rocsolver6v33100L10reset_infoIfiiEEvPT_T0_T1_S4_
                                        ; -- End function
	.set _ZN9rocsolver6v33100L10reset_infoIfiiEEvPT_T0_T1_S4_.num_vgpr, 5
	.set _ZN9rocsolver6v33100L10reset_infoIfiiEEvPT_T0_T1_S4_.num_agpr, 0
	.set _ZN9rocsolver6v33100L10reset_infoIfiiEEvPT_T0_T1_S4_.numbered_sgpr, 8
	.set _ZN9rocsolver6v33100L10reset_infoIfiiEEvPT_T0_T1_S4_.num_named_barrier, 0
	.set _ZN9rocsolver6v33100L10reset_infoIfiiEEvPT_T0_T1_S4_.private_seg_size, 0
	.set _ZN9rocsolver6v33100L10reset_infoIfiiEEvPT_T0_T1_S4_.uses_vcc, 1
	.set _ZN9rocsolver6v33100L10reset_infoIfiiEEvPT_T0_T1_S4_.uses_flat_scratch, 0
	.set _ZN9rocsolver6v33100L10reset_infoIfiiEEvPT_T0_T1_S4_.has_dyn_sized_stack, 0
	.set _ZN9rocsolver6v33100L10reset_infoIfiiEEvPT_T0_T1_S4_.has_recursion, 0
	.set _ZN9rocsolver6v33100L10reset_infoIfiiEEvPT_T0_T1_S4_.has_indirect_call, 0
	.section	.AMDGPU.csdata,"",@progbits
; Kernel info:
; codeLenInByte = 116
; TotalNumSgprs: 12
; NumVgprs: 5
; ScratchSize: 0
; MemoryBound: 0
; FloatMode: 240
; IeeeMode: 1
; LDSByteSize: 0 bytes/workgroup (compile time only)
; SGPRBlocks: 1
; VGPRBlocks: 1
; NumSGPRsForWavesPerEU: 12
; NumVGPRsForWavesPerEU: 5
; Occupancy: 10
; WaveLimiterHint : 0
; COMPUTE_PGM_RSRC2:SCRATCH_EN: 0
; COMPUTE_PGM_RSRC2:USER_SGPR: 6
; COMPUTE_PGM_RSRC2:TRAP_HANDLER: 0
; COMPUTE_PGM_RSRC2:TGID_X_EN: 1
; COMPUTE_PGM_RSRC2:TGID_Y_EN: 0
; COMPUTE_PGM_RSRC2:TGID_Z_EN: 0
; COMPUTE_PGM_RSRC2:TIDIG_COMP_CNT: 0
	.section	.text._ZN9rocsolver6v33100L10reset_infoIiiiEEvPT_T0_T1_S4_,"axG",@progbits,_ZN9rocsolver6v33100L10reset_infoIiiiEEvPT_T0_T1_S4_,comdat
	.globl	_ZN9rocsolver6v33100L10reset_infoIiiiEEvPT_T0_T1_S4_ ; -- Begin function _ZN9rocsolver6v33100L10reset_infoIiiiEEvPT_T0_T1_S4_
	.p2align	8
	.type	_ZN9rocsolver6v33100L10reset_infoIiiiEEvPT_T0_T1_S4_,@function
_ZN9rocsolver6v33100L10reset_infoIiiiEEvPT_T0_T1_S4_: ; @_ZN9rocsolver6v33100L10reset_infoIiiiEEvPT_T0_T1_S4_
; %bb.0:
	s_load_dword s7, s[4:5], 0x24
	s_load_dwordx4 s[0:3], s[4:5], 0x8
	s_waitcnt lgkmcnt(0)
	s_and_b32 s3, s7, 0xffff
	s_mul_i32 s6, s6, s3
	v_add_u32_e32 v0, s6, v0
	v_cmp_gt_i32_e32 vcc, s0, v0
	s_and_saveexec_b64 s[6:7], vcc
	s_cbranch_execz .LBB2_2
; %bb.1:
	s_load_dwordx2 s[4:5], s[4:5], 0x0
	v_ashrrev_i32_e32 v1, 31, v0
	v_mul_lo_u32 v2, v0, s2
	v_lshlrev_b64 v[0:1], 2, v[0:1]
	s_waitcnt lgkmcnt(0)
	v_mov_b32_e32 v3, s5
	v_add_co_u32_e32 v0, vcc, s4, v0
	v_addc_co_u32_e32 v1, vcc, v3, v1, vcc
	v_add_u32_e32 v2, s1, v2
	global_store_dword v[0:1], v2, off
.LBB2_2:
	s_endpgm
	.section	.rodata,"a",@progbits
	.p2align	6, 0x0
	.amdhsa_kernel _ZN9rocsolver6v33100L10reset_infoIiiiEEvPT_T0_T1_S4_
		.amdhsa_group_segment_fixed_size 0
		.amdhsa_private_segment_fixed_size 0
		.amdhsa_kernarg_size 280
		.amdhsa_user_sgpr_count 6
		.amdhsa_user_sgpr_private_segment_buffer 1
		.amdhsa_user_sgpr_dispatch_ptr 0
		.amdhsa_user_sgpr_queue_ptr 0
		.amdhsa_user_sgpr_kernarg_segment_ptr 1
		.amdhsa_user_sgpr_dispatch_id 0
		.amdhsa_user_sgpr_flat_scratch_init 0
		.amdhsa_user_sgpr_private_segment_size 0
		.amdhsa_uses_dynamic_stack 0
		.amdhsa_system_sgpr_private_segment_wavefront_offset 0
		.amdhsa_system_sgpr_workgroup_id_x 1
		.amdhsa_system_sgpr_workgroup_id_y 0
		.amdhsa_system_sgpr_workgroup_id_z 0
		.amdhsa_system_sgpr_workgroup_info 0
		.amdhsa_system_vgpr_workitem_id 0
		.amdhsa_next_free_vgpr 4
		.amdhsa_next_free_sgpr 8
		.amdhsa_reserve_vcc 1
		.amdhsa_reserve_flat_scratch 0
		.amdhsa_float_round_mode_32 0
		.amdhsa_float_round_mode_16_64 0
		.amdhsa_float_denorm_mode_32 3
		.amdhsa_float_denorm_mode_16_64 3
		.amdhsa_dx10_clamp 1
		.amdhsa_ieee_mode 1
		.amdhsa_fp16_overflow 0
		.amdhsa_exception_fp_ieee_invalid_op 0
		.amdhsa_exception_fp_denorm_src 0
		.amdhsa_exception_fp_ieee_div_zero 0
		.amdhsa_exception_fp_ieee_overflow 0
		.amdhsa_exception_fp_ieee_underflow 0
		.amdhsa_exception_fp_ieee_inexact 0
		.amdhsa_exception_int_div_zero 0
	.end_amdhsa_kernel
	.section	.text._ZN9rocsolver6v33100L10reset_infoIiiiEEvPT_T0_T1_S4_,"axG",@progbits,_ZN9rocsolver6v33100L10reset_infoIiiiEEvPT_T0_T1_S4_,comdat
.Lfunc_end2:
	.size	_ZN9rocsolver6v33100L10reset_infoIiiiEEvPT_T0_T1_S4_, .Lfunc_end2-_ZN9rocsolver6v33100L10reset_infoIiiiEEvPT_T0_T1_S4_
                                        ; -- End function
	.set _ZN9rocsolver6v33100L10reset_infoIiiiEEvPT_T0_T1_S4_.num_vgpr, 4
	.set _ZN9rocsolver6v33100L10reset_infoIiiiEEvPT_T0_T1_S4_.num_agpr, 0
	.set _ZN9rocsolver6v33100L10reset_infoIiiiEEvPT_T0_T1_S4_.numbered_sgpr, 8
	.set _ZN9rocsolver6v33100L10reset_infoIiiiEEvPT_T0_T1_S4_.num_named_barrier, 0
	.set _ZN9rocsolver6v33100L10reset_infoIiiiEEvPT_T0_T1_S4_.private_seg_size, 0
	.set _ZN9rocsolver6v33100L10reset_infoIiiiEEvPT_T0_T1_S4_.uses_vcc, 1
	.set _ZN9rocsolver6v33100L10reset_infoIiiiEEvPT_T0_T1_S4_.uses_flat_scratch, 0
	.set _ZN9rocsolver6v33100L10reset_infoIiiiEEvPT_T0_T1_S4_.has_dyn_sized_stack, 0
	.set _ZN9rocsolver6v33100L10reset_infoIiiiEEvPT_T0_T1_S4_.has_recursion, 0
	.set _ZN9rocsolver6v33100L10reset_infoIiiiEEvPT_T0_T1_S4_.has_indirect_call, 0
	.section	.AMDGPU.csdata,"",@progbits
; Kernel info:
; codeLenInByte = 108
; TotalNumSgprs: 12
; NumVgprs: 4
; ScratchSize: 0
; MemoryBound: 0
; FloatMode: 240
; IeeeMode: 1
; LDSByteSize: 0 bytes/workgroup (compile time only)
; SGPRBlocks: 1
; VGPRBlocks: 0
; NumSGPRsForWavesPerEU: 12
; NumVGPRsForWavesPerEU: 4
; Occupancy: 10
; WaveLimiterHint : 0
; COMPUTE_PGM_RSRC2:SCRATCH_EN: 0
; COMPUTE_PGM_RSRC2:USER_SGPR: 6
; COMPUTE_PGM_RSRC2:TRAP_HANDLER: 0
; COMPUTE_PGM_RSRC2:TGID_X_EN: 1
; COMPUTE_PGM_RSRC2:TGID_Y_EN: 0
; COMPUTE_PGM_RSRC2:TGID_Z_EN: 0
; COMPUTE_PGM_RSRC2:TIDIG_COMP_CNT: 0
	.section	.text._ZN9rocsolver6v33100L16syev_scalar_caseIfPfTnNSt9enable_ifIXnt18rocblas_is_complexIT_EEiE4typeELi0EEEv14rocblas_evect_T0_lPS4_li,"axG",@progbits,_ZN9rocsolver6v33100L16syev_scalar_caseIfPfTnNSt9enable_ifIXnt18rocblas_is_complexIT_EEiE4typeELi0EEEv14rocblas_evect_T0_lPS4_li,comdat
	.globl	_ZN9rocsolver6v33100L16syev_scalar_caseIfPfTnNSt9enable_ifIXnt18rocblas_is_complexIT_EEiE4typeELi0EEEv14rocblas_evect_T0_lPS4_li ; -- Begin function _ZN9rocsolver6v33100L16syev_scalar_caseIfPfTnNSt9enable_ifIXnt18rocblas_is_complexIT_EEiE4typeELi0EEEv14rocblas_evect_T0_lPS4_li
	.p2align	8
	.type	_ZN9rocsolver6v33100L16syev_scalar_caseIfPfTnNSt9enable_ifIXnt18rocblas_is_complexIT_EEiE4typeELi0EEEv14rocblas_evect_T0_lPS4_li,@function
_ZN9rocsolver6v33100L16syev_scalar_caseIfPfTnNSt9enable_ifIXnt18rocblas_is_complexIT_EEiE4typeELi0EEEv14rocblas_evect_T0_lPS4_li: ; @_ZN9rocsolver6v33100L16syev_scalar_caseIfPfTnNSt9enable_ifIXnt18rocblas_is_complexIT_EEiE4typeELi0EEEv14rocblas_evect_T0_lPS4_li
; %bb.0:
	s_load_dword s0, s[4:5], 0x3c
	s_load_dword s1, s[4:5], 0x28
	s_waitcnt lgkmcnt(0)
	s_and_b32 s0, s0, 0xffff
	s_mul_i32 s6, s6, s0
	v_add_u32_e32 v2, s6, v0
	v_cmp_gt_i32_e32 vcc, s1, v2
	s_and_saveexec_b64 s[0:1], vcc
	s_cbranch_execz .LBB3_3
; %bb.1:
	s_load_dwordx8 s[8:15], s[4:5], 0x8
	v_ashrrev_i32_e32 v3, 31, v2
	s_waitcnt lgkmcnt(0)
	v_mul_lo_u32 v4, s11, v2
	v_mul_lo_u32 v5, s10, v3
	v_mad_u64_u32 v[0:1], s[0:1], s10, v2, 0
	v_mov_b32_e32 v6, s9
	v_add3_u32 v1, v1, v5, v4
	v_lshlrev_b64 v[0:1], 2, v[0:1]
	v_mul_lo_u32 v5, s15, v2
	v_add_co_u32_e32 v0, vcc, s8, v0
	v_addc_co_u32_e32 v1, vcc, v6, v1, vcc
	global_load_dword v4, v[0:1], off
	v_mul_lo_u32 v6, s14, v3
	v_mad_u64_u32 v[2:3], s[0:1], s14, v2, 0
	s_load_dword s0, s[4:5], 0x0
	v_add3_u32 v3, v3, v6, v5
	v_lshlrev_b64 v[2:3], 2, v[2:3]
	v_mov_b32_e32 v5, s13
	v_add_co_u32_e32 v2, vcc, s12, v2
	v_addc_co_u32_e32 v3, vcc, v5, v3, vcc
	s_waitcnt lgkmcnt(0)
	s_cmpk_lg_i32 s0, 0xd3
	s_waitcnt vmcnt(0)
	global_store_dword v[2:3], v4, off
	s_cbranch_scc1 .LBB3_3
; %bb.2:
	v_mov_b32_e32 v2, 1.0
	global_store_dword v[0:1], v2, off
.LBB3_3:
	s_endpgm
	.section	.rodata,"a",@progbits
	.p2align	6, 0x0
	.amdhsa_kernel _ZN9rocsolver6v33100L16syev_scalar_caseIfPfTnNSt9enable_ifIXnt18rocblas_is_complexIT_EEiE4typeELi0EEEv14rocblas_evect_T0_lPS4_li
		.amdhsa_group_segment_fixed_size 0
		.amdhsa_private_segment_fixed_size 0
		.amdhsa_kernarg_size 304
		.amdhsa_user_sgpr_count 6
		.amdhsa_user_sgpr_private_segment_buffer 1
		.amdhsa_user_sgpr_dispatch_ptr 0
		.amdhsa_user_sgpr_queue_ptr 0
		.amdhsa_user_sgpr_kernarg_segment_ptr 1
		.amdhsa_user_sgpr_dispatch_id 0
		.amdhsa_user_sgpr_flat_scratch_init 0
		.amdhsa_user_sgpr_private_segment_size 0
		.amdhsa_uses_dynamic_stack 0
		.amdhsa_system_sgpr_private_segment_wavefront_offset 0
		.amdhsa_system_sgpr_workgroup_id_x 1
		.amdhsa_system_sgpr_workgroup_id_y 0
		.amdhsa_system_sgpr_workgroup_id_z 0
		.amdhsa_system_sgpr_workgroup_info 0
		.amdhsa_system_vgpr_workitem_id 0
		.amdhsa_next_free_vgpr 7
		.amdhsa_next_free_sgpr 16
		.amdhsa_reserve_vcc 1
		.amdhsa_reserve_flat_scratch 0
		.amdhsa_float_round_mode_32 0
		.amdhsa_float_round_mode_16_64 0
		.amdhsa_float_denorm_mode_32 3
		.amdhsa_float_denorm_mode_16_64 3
		.amdhsa_dx10_clamp 1
		.amdhsa_ieee_mode 1
		.amdhsa_fp16_overflow 0
		.amdhsa_exception_fp_ieee_invalid_op 0
		.amdhsa_exception_fp_denorm_src 0
		.amdhsa_exception_fp_ieee_div_zero 0
		.amdhsa_exception_fp_ieee_overflow 0
		.amdhsa_exception_fp_ieee_underflow 0
		.amdhsa_exception_fp_ieee_inexact 0
		.amdhsa_exception_int_div_zero 0
	.end_amdhsa_kernel
	.section	.text._ZN9rocsolver6v33100L16syev_scalar_caseIfPfTnNSt9enable_ifIXnt18rocblas_is_complexIT_EEiE4typeELi0EEEv14rocblas_evect_T0_lPS4_li,"axG",@progbits,_ZN9rocsolver6v33100L16syev_scalar_caseIfPfTnNSt9enable_ifIXnt18rocblas_is_complexIT_EEiE4typeELi0EEEv14rocblas_evect_T0_lPS4_li,comdat
.Lfunc_end3:
	.size	_ZN9rocsolver6v33100L16syev_scalar_caseIfPfTnNSt9enable_ifIXnt18rocblas_is_complexIT_EEiE4typeELi0EEEv14rocblas_evect_T0_lPS4_li, .Lfunc_end3-_ZN9rocsolver6v33100L16syev_scalar_caseIfPfTnNSt9enable_ifIXnt18rocblas_is_complexIT_EEiE4typeELi0EEEv14rocblas_evect_T0_lPS4_li
                                        ; -- End function
	.set _ZN9rocsolver6v33100L16syev_scalar_caseIfPfTnNSt9enable_ifIXnt18rocblas_is_complexIT_EEiE4typeELi0EEEv14rocblas_evect_T0_lPS4_li.num_vgpr, 7
	.set _ZN9rocsolver6v33100L16syev_scalar_caseIfPfTnNSt9enable_ifIXnt18rocblas_is_complexIT_EEiE4typeELi0EEEv14rocblas_evect_T0_lPS4_li.num_agpr, 0
	.set _ZN9rocsolver6v33100L16syev_scalar_caseIfPfTnNSt9enable_ifIXnt18rocblas_is_complexIT_EEiE4typeELi0EEEv14rocblas_evect_T0_lPS4_li.numbered_sgpr, 16
	.set _ZN9rocsolver6v33100L16syev_scalar_caseIfPfTnNSt9enable_ifIXnt18rocblas_is_complexIT_EEiE4typeELi0EEEv14rocblas_evect_T0_lPS4_li.num_named_barrier, 0
	.set _ZN9rocsolver6v33100L16syev_scalar_caseIfPfTnNSt9enable_ifIXnt18rocblas_is_complexIT_EEiE4typeELi0EEEv14rocblas_evect_T0_lPS4_li.private_seg_size, 0
	.set _ZN9rocsolver6v33100L16syev_scalar_caseIfPfTnNSt9enable_ifIXnt18rocblas_is_complexIT_EEiE4typeELi0EEEv14rocblas_evect_T0_lPS4_li.uses_vcc, 1
	.set _ZN9rocsolver6v33100L16syev_scalar_caseIfPfTnNSt9enable_ifIXnt18rocblas_is_complexIT_EEiE4typeELi0EEEv14rocblas_evect_T0_lPS4_li.uses_flat_scratch, 0
	.set _ZN9rocsolver6v33100L16syev_scalar_caseIfPfTnNSt9enable_ifIXnt18rocblas_is_complexIT_EEiE4typeELi0EEEv14rocblas_evect_T0_lPS4_li.has_dyn_sized_stack, 0
	.set _ZN9rocsolver6v33100L16syev_scalar_caseIfPfTnNSt9enable_ifIXnt18rocblas_is_complexIT_EEiE4typeELi0EEEv14rocblas_evect_T0_lPS4_li.has_recursion, 0
	.set _ZN9rocsolver6v33100L16syev_scalar_caseIfPfTnNSt9enable_ifIXnt18rocblas_is_complexIT_EEiE4typeELi0EEEv14rocblas_evect_T0_lPS4_li.has_indirect_call, 0
	.section	.AMDGPU.csdata,"",@progbits
; Kernel info:
; codeLenInByte = 224
; TotalNumSgprs: 20
; NumVgprs: 7
; ScratchSize: 0
; MemoryBound: 0
; FloatMode: 240
; IeeeMode: 1
; LDSByteSize: 0 bytes/workgroup (compile time only)
; SGPRBlocks: 2
; VGPRBlocks: 1
; NumSGPRsForWavesPerEU: 20
; NumVGPRsForWavesPerEU: 7
; Occupancy: 10
; WaveLimiterHint : 0
; COMPUTE_PGM_RSRC2:SCRATCH_EN: 0
; COMPUTE_PGM_RSRC2:USER_SGPR: 6
; COMPUTE_PGM_RSRC2:TRAP_HANDLER: 0
; COMPUTE_PGM_RSRC2:TGID_X_EN: 1
; COMPUTE_PGM_RSRC2:TGID_Y_EN: 0
; COMPUTE_PGM_RSRC2:TGID_Z_EN: 0
; COMPUTE_PGM_RSRC2:TIDIG_COMP_CNT: 0
	.section	.text._ZN9rocsolver6v33100L18syevj_small_kernelIffPfEEv14rocblas_esort_14rocblas_evect_13rocblas_fill_iT1_iilT0_S7_PS7_iPiS8_lS9_PT_,"axG",@progbits,_ZN9rocsolver6v33100L18syevj_small_kernelIffPfEEv14rocblas_esort_14rocblas_evect_13rocblas_fill_iT1_iilT0_S7_PS7_iPiS8_lS9_PT_,comdat
	.globl	_ZN9rocsolver6v33100L18syevj_small_kernelIffPfEEv14rocblas_esort_14rocblas_evect_13rocblas_fill_iT1_iilT0_S7_PS7_iPiS8_lS9_PT_ ; -- Begin function _ZN9rocsolver6v33100L18syevj_small_kernelIffPfEEv14rocblas_esort_14rocblas_evect_13rocblas_fill_iT1_iilT0_S7_PS7_iPiS8_lS9_PT_
	.p2align	8
	.type	_ZN9rocsolver6v33100L18syevj_small_kernelIffPfEEv14rocblas_esort_14rocblas_evect_13rocblas_fill_iT1_iilT0_S7_PS7_iPiS8_lS9_PT_,@function
_ZN9rocsolver6v33100L18syevj_small_kernelIffPfEEv14rocblas_esort_14rocblas_evect_13rocblas_fill_iT1_iilT0_S7_PS7_iPiS8_lS9_PT_: ; @_ZN9rocsolver6v33100L18syevj_small_kernelIffPfEEv14rocblas_esort_14rocblas_evect_13rocblas_fill_iT1_iilT0_S7_PS7_iPiS8_lS9_PT_
; %bb.0:
	s_load_dwordx8 s[20:27], s[4:5], 0x0
	s_load_dwordx2 s[0:1], s[4:5], 0x20
	s_load_dwordx2 s[8:9], s[4:5], 0x60
	s_ashr_i32 s47, s7, 31
	s_mov_b32 s46, s7
	s_waitcnt lgkmcnt(0)
	s_lshr_b32 s2, s23, 31
	s_add_i32 s2, s23, s2
	s_and_b32 s2, s2, -2
	s_sub_i32 s54, s23, s2
	s_add_i32 s54, s54, s23
	s_mul_hi_u32 s6, s0, s7
	s_mul_i32 s7, s0, s47
	s_lshr_b32 s2, s54, 31
	s_add_i32 s6, s6, s7
	s_mul_i32 s1, s1, s46
	s_add_i32 s2, s54, s2
	s_add_i32 s1, s6, s1
	s_mul_i32 s0, s0, s46
	s_ashr_i32 s30, s2, 1
	s_ashr_i32 s3, s26, 31
	s_lshl_b64 s[48:49], s[0:1], 2
	s_mov_b32 s2, s26
	s_add_u32 s0, s24, s48
	s_addc_u32 s1, s25, s49
	s_lshl_b64 s[50:51], s[2:3], 2
	s_add_u32 s28, s0, s50
	s_mul_i32 s0, s23, s46
	s_mul_i32 s0, s0, s23
	s_addc_u32 s29, s1, s51
	s_ashr_i32 s1, s0, 31
	s_lshl_b64 s[10:11], s[0:1], 2
	s_add_u32 s44, s8, s10
	s_addc_u32 s45, s9, s11
	s_min_i32 s33, s30, 0x100
	s_abs_i32 s0, s33
	v_cvt_f32_u32_e32 v1, s0
	s_sub_i32 s1, 0, s0
	s_ashr_i32 s55, s33, 31
	s_load_dwordx8 s[36:43], s[4:5], 0x40
	v_rcp_iflag_f32_e32 v1, v1
	v_mul_f32_e32 v1, 0x4f7ffffe, v1
	v_cvt_u32_f32_e32 v1, v1
	v_readfirstlane_b32 s2, v1
	s_mul_i32 s1, s1, s2
	s_mul_hi_u32 s1, s2, s1
	s_add_i32 s2, s2, s1
	v_mul_hi_u32 v1, v0, s2
	s_lshr_b32 s1, s2, 22
	s_mul_i32 s3, s1, s0
	s_sub_i32 s3, 0x400, s3
	v_mul_lo_u32 v2, v1, s0
	v_add_u32_e32 v3, 1, v1
	s_add_i32 s6, s1, 1
	s_sub_i32 s7, s3, s0
	v_sub_u32_e32 v2, v0, v2
	v_cmp_le_u32_e32 vcc, s0, v2
	v_cndmask_b32_e32 v1, v1, v3, vcc
	v_subrev_u32_e32 v3, s0, v2
	v_cndmask_b32_e32 v2, v2, v3, vcc
	s_cmp_ge_u32 s3, s0
	v_add_u32_e32 v3, 1, v1
	v_cmp_le_u32_e32 vcc, s0, v2
	s_cselect_b32 s1, s6, s1
	v_cndmask_b32_e32 v1, v1, v3, vcc
	s_cselect_b32 s2, s7, s3
	s_add_i32 s3, s1, 1
	v_xor_b32_e32 v20, s55, v1
	s_cmp_ge_u32 s2, s0
	v_subrev_u32_e32 v1, s55, v20
	s_cselect_b32 s1, s3, s1
	v_mul_lo_u32 v19, v1, s33
	s_xor_b32 s1, s1, s55
	s_sub_i32 s34, s1, s55
	s_min_i32 s26, s30, s34
	s_lshl_b32 s57, s26, 2
	v_sub_u32_e32 v21, v0, v19
	s_add_i32 s56, s57, 0
	v_cmp_eq_u32_e64 s[0:1], 0, v21
	s_and_saveexec_b64 s[12:13], s[0:1]
	s_cbranch_execz .LBB4_32
; %bb.1:
	s_cmpk_eq_i32 s22, 0x79
	v_cmp_gt_i32_e64 s[2:3], s23, v1
	s_cbranch_scc1 .LBB4_13
; %bb.2:
	v_mov_b32_e32 v15, 0
	v_mov_b32_e32 v16, 0
	s_and_saveexec_b64 s[14:15], s[2:3]
	s_cbranch_execz .LBB4_15
; %bb.3:
	s_cmpk_lg_i32 s21, 0xd5
	s_cselect_b64 s[52:53], -1, 0
	s_add_u32 s58, s8, s10
	s_addc_u32 s59, s9, s11
	v_ashrrev_i32_e32 v2, 31, v1
	s_ashr_i32 s35, s34, 31
	v_mov_b32_e32 v4, s34
	v_lshlrev_b64 v[7:8], 2, v[1:2]
	s_ashr_i32 s31, s30, 31
	v_mov_b32_e32 v5, s35
	v_cmp_lt_i64_e32 vcc, s[30:31], v[4:5]
	v_mov_b32_e32 v2, s59
	v_add_co_u32_e64 v5, s[6:7], s58, v7
	v_addc_co_u32_e64 v6, s[6:7], v2, v8, s[6:7]
	s_and_b64 s[6:7], vcc, exec
	s_cselect_b32 s7, s31, s35
	s_cselect_b32 s6, s30, s34
	s_lshl_b64 s[16:17], s[6:7], 2
	s_ashr_i32 s7, s23, 31
	s_mov_b32 s6, s23
	s_lshl_b64 s[18:19], s[6:7], 2
	s_add_u32 s6, s48, s50
	s_addc_u32 s7, s49, s51
	s_add_u32 s6, s24, s6
	v_mul_lo_u32 v17, s27, v1
	v_mul_lo_u32 v3, s23, v1
	s_addc_u32 s7, s25, s7
	v_mov_b32_e32 v2, s7
	v_add_co_u32_e32 v7, vcc, s6, v7
	v_addc_co_u32_e32 v8, vcc, v2, v8, vcc
	s_ashr_i32 s7, s27, 31
	s_mov_b32 s6, s27
	v_cndmask_b32_e64 v2, 0, 1, s[52:53]
	s_mul_i32 s22, s27, s26
	s_mul_i32 s60, s23, s26
	s_lshl_b64 s[24:25], s[6:7], 2
	v_mov_b32_e32 v18, 0
	s_mov_b64 s[48:49], 0
	v_mov_b32_e32 v22, s29
	v_mov_b32_e32 v23, s45
	v_cmp_ne_u32_e64 s[6:7], 1, v2
	v_mov_b32_e32 v24, 1.0
	v_mov_b32_e32 v2, v1
	v_mov_b32_e32 v15, 0
	;; [unrolled: 1-line block ×3, first 2 shown]
	s_branch .LBB4_6
.LBB4_4:                                ;   in Loop: Header=BB4_6 Depth=1
	s_or_b64 exec, exec, s[52:53]
.LBB4_5:                                ;   in Loop: Header=BB4_6 Depth=1
	s_or_b64 exec, exec, s[50:51]
	v_mov_b32_e32 v4, s17
	v_add_co_u32_e32 v5, vcc, s16, v5
	v_add_u32_e32 v2, s26, v2
	v_addc_co_u32_e32 v6, vcc, v6, v4, vcc
	v_cmp_le_i32_e32 vcc, s23, v2
	s_or_b64 s[48:49], vcc, s[48:49]
	v_add_co_u32_e32 v7, vcc, s16, v7
	v_fmac_f32_e32 v16, v25, v25
	v_add_u32_e32 v17, s22, v17
	v_add_u32_e32 v3, s60, v3
	v_addc_co_u32_e32 v8, vcc, v8, v4, vcc
	s_andn2_b64 exec, exec, s[48:49]
	s_cbranch_execz .LBB4_14
.LBB4_6:                                ; =>This Loop Header: Depth=1
                                        ;     Child Loop BB4_11 Depth 2
	v_mad_u64_u32 v[9:10], s[50:51], v2, s27, v[2:3]
	v_mad_u64_u32 v[11:12], s[50:51], v2, s23, v[2:3]
	v_ashrrev_i32_e32 v10, 31, v9
	v_lshlrev_b64 v[9:10], 2, v[9:10]
	v_ashrrev_i32_e32 v12, 31, v11
	v_add_co_u32_e32 v9, vcc, s28, v9
	v_addc_co_u32_e32 v10, vcc, v22, v10, vcc
	global_load_dword v25, v[9:10], off
	v_lshlrev_b64 v[11:12], 2, v[11:12]
	v_add_co_u32_e32 v11, vcc, s44, v11
	v_addc_co_u32_e32 v12, vcc, v23, v12, vcc
	s_and_b64 vcc, exec, s[6:7]
	s_waitcnt vmcnt(0)
	global_store_dword v[11:12], v25, off
	s_cbranch_vccnz .LBB4_8
; %bb.7:                                ;   in Loop: Header=BB4_6 Depth=1
	global_store_dword v[9:10], v24, off
.LBB4_8:                                ;   in Loop: Header=BB4_6 Depth=1
	v_cmp_lt_i32_e32 vcc, 0, v2
	s_and_saveexec_b64 s[50:51], vcc
	s_cbranch_execz .LBB4_5
; %bb.9:                                ;   in Loop: Header=BB4_6 Depth=1
	v_ashrrev_i32_e32 v4, 31, v3
	v_lshlrev_b64 v[9:10], 2, v[3:4]
	v_mov_b32_e32 v4, s59
	v_add_co_u32_e32 v9, vcc, s58, v9
	v_mov_b32_e32 v12, v8
	v_mov_b32_e32 v14, v6
	v_addc_co_u32_e32 v10, vcc, v4, v10, vcc
	s_mov_b32 s31, 0
	s_mov_b64 s[52:53], 0
	v_mov_b32_e32 v11, v7
	v_mov_b32_e32 v13, v5
	s_branch .LBB4_11
.LBB4_10:                               ;   in Loop: Header=BB4_11 Depth=2
	v_add_co_u32_e32 v9, vcc, 4, v9
	v_mul_f32_e32 v4, v4, v4
	v_addc_co_u32_e32 v10, vcc, 0, v10, vcc
	v_fmac_f32_e32 v15, 2.0, v4
	v_mov_b32_e32 v4, s19
	v_add_co_u32_e32 v13, vcc, s18, v13
	s_add_i32 s31, s31, 1
	v_addc_co_u32_e32 v14, vcc, v14, v4, vcc
	v_cmp_eq_u32_e32 vcc, s31, v2
	v_mov_b32_e32 v4, s25
	s_or_b64 s[52:53], vcc, s[52:53]
	v_add_co_u32_e32 v11, vcc, s24, v11
	v_addc_co_u32_e32 v12, vcc, v12, v4, vcc
	s_andn2_b64 exec, exec, s[52:53]
	s_cbranch_execz .LBB4_4
.LBB4_11:                               ;   Parent Loop BB4_6 Depth=1
                                        ; =>  This Inner Loop Header: Depth=2
	global_load_dword v4, v[11:12], off
	s_and_b64 vcc, exec, s[6:7]
	s_waitcnt vmcnt(0)
	global_store_dword v[13:14], v4, off
	global_store_dword v[9:10], v4, off
	s_cbranch_vccnz .LBB4_10
; %bb.12:                               ;   in Loop: Header=BB4_11 Depth=2
	v_add_u32_e32 v26, s31, v17
	v_ashrrev_i32_e32 v27, 31, v26
	v_lshlrev_b64 v[26:27], 2, v[26:27]
	v_mov_b32_e32 v28, s29
	v_add_co_u32_e32 v26, vcc, s28, v26
	v_addc_co_u32_e32 v27, vcc, v28, v27, vcc
	global_store_dword v[11:12], v18, off
	global_store_dword v[26:27], v18, off
	s_branch .LBB4_10
.LBB4_13:
                                        ; implicit-def: $vgpr15
                                        ; implicit-def: $vgpr16
	s_branch .LBB4_16
.LBB4_14:
	s_or_b64 exec, exec, s[48:49]
.LBB4_15:
	s_or_b64 exec, exec, s[14:15]
	s_cbranch_execnz .LBB4_29
.LBB4_16:
	v_mov_b32_e32 v15, 0
	v_mov_b32_e32 v16, 0
	s_and_saveexec_b64 s[14:15], s[2:3]
	s_cbranch_execz .LBB4_28
; %bb.17:
	s_cmpk_lg_i32 s21, 0xd5
	s_cselect_b64 s[2:3], -1, 0
	s_add_i32 s22, s23, -1
	v_mul_lo_u32 v2, s23, v1
	s_mul_i32 s6, s23, s22
	v_mul_lo_u32 v13, s27, v1
	v_add_u32_e32 v3, s6, v20
	s_mul_i32 s6, s27, s22
	v_subrev_u32_e32 v14, s55, v3
	v_add_u32_e32 v3, s6, v20
	s_add_u32 s35, s8, s10
	v_subrev_u32_e32 v17, s55, v3
	v_cndmask_b32_e64 v3, 0, 1, s[2:3]
	s_mul_i32 s31, s27, s26
	s_addc_u32 s48, s9, s11
	v_add_u32_e32 v2, s22, v2
	s_mul_i32 s49, s23, s26
	v_mov_b32_e32 v18, 0
	s_mov_b64 s[16:17], 0
	v_mov_b32_e32 v22, s29
	v_mov_b32_e32 v23, s45
	v_cmp_ne_u32_e64 s[2:3], 1, v3
	v_mov_b32_e32 v24, 1.0
	v_mov_b32_e32 v4, v1
	v_mov_b32_e32 v15, 0
	;; [unrolled: 1-line block ×3, first 2 shown]
	s_branch .LBB4_20
.LBB4_18:                               ;   in Loop: Header=BB4_20 Depth=1
	s_or_b64 exec, exec, s[24:25]
.LBB4_19:                               ;   in Loop: Header=BB4_20 Depth=1
	s_or_b64 exec, exec, s[18:19]
	v_add_u32_e32 v4, s26, v4
	v_cmp_le_i32_e32 vcc, s23, v4
	v_fmac_f32_e32 v16, v25, v25
	v_add_u32_e32 v13, s31, v13
	v_add_u32_e32 v2, s49, v2
	;; [unrolled: 1-line block ×3, first 2 shown]
	s_or_b64 s[16:17], vcc, s[16:17]
	v_add_u32_e32 v17, s26, v17
	s_andn2_b64 exec, exec, s[16:17]
	s_cbranch_execz .LBB4_27
.LBB4_20:                               ; =>This Loop Header: Depth=1
                                        ;     Child Loop BB4_25 Depth 2
	v_mad_u64_u32 v[5:6], s[6:7], v4, s27, v[4:5]
	v_ashrrev_i32_e32 v6, 31, v5
	v_lshlrev_b64 v[5:6], 2, v[5:6]
	v_add_co_u32_e32 v5, vcc, s28, v5
	v_addc_co_u32_e32 v6, vcc, v22, v6, vcc
	global_load_dword v25, v[5:6], off
	v_mad_u64_u32 v[7:8], s[6:7], v4, s23, v[4:5]
	v_ashrrev_i32_e32 v8, 31, v7
	v_lshlrev_b64 v[7:8], 2, v[7:8]
	v_add_co_u32_e32 v7, vcc, s44, v7
	v_addc_co_u32_e32 v8, vcc, v23, v8, vcc
	s_and_b64 vcc, exec, s[2:3]
	s_waitcnt vmcnt(0)
	global_store_dword v[7:8], v25, off
	s_cbranch_vccnz .LBB4_22
; %bb.21:                               ;   in Loop: Header=BB4_20 Depth=1
	global_store_dword v[5:6], v24, off
.LBB4_22:                               ;   in Loop: Header=BB4_20 Depth=1
	v_cmp_gt_i32_e32 vcc, s22, v4
	s_and_saveexec_b64 s[18:19], vcc
	s_cbranch_execz .LBB4_19
; %bb.23:                               ;   in Loop: Header=BB4_20 Depth=1
	v_ashrrev_i32_e32 v3, 31, v2
	v_lshlrev_b64 v[5:6], 2, v[2:3]
	v_mov_b32_e32 v3, s48
	v_add_co_u32_e32 v5, vcc, s35, v5
	v_addc_co_u32_e32 v6, vcc, v3, v6, vcc
	s_mov_b64 s[24:25], 0
	v_mov_b32_e32 v7, v17
	v_mov_b32_e32 v9, v14
	s_mov_b32 s50, s22
	s_branch .LBB4_25
.LBB4_24:                               ;   in Loop: Header=BB4_25 Depth=2
	v_add_co_u32_e32 v5, vcc, -4, v5
	s_add_i32 s50, s50, -1
	v_addc_co_u32_e32 v6, vcc, -1, v6, vcc
	v_mul_f32_e32 v3, v3, v3
	v_cmp_le_i32_e32 vcc, s50, v4
	v_fmac_f32_e32 v15, 2.0, v3
	v_subrev_u32_e32 v9, s23, v9
	s_or_b64 s[24:25], vcc, s[24:25]
	v_subrev_u32_e32 v7, s27, v7
	s_andn2_b64 exec, exec, s[24:25]
	s_cbranch_execz .LBB4_18
.LBB4_25:                               ;   Parent Loop BB4_20 Depth=1
                                        ; =>  This Inner Loop Header: Depth=2
	v_ashrrev_i32_e32 v8, 31, v7
	v_lshlrev_b64 v[11:12], 2, v[7:8]
	v_mov_b32_e32 v3, s29
	v_add_co_u32_e32 v11, vcc, s28, v11
	v_addc_co_u32_e32 v12, vcc, v3, v12, vcc
	global_load_dword v3, v[11:12], off
	v_ashrrev_i32_e32 v10, 31, v9
	v_lshlrev_b64 v[26:27], 2, v[9:10]
	v_mov_b32_e32 v8, s45
	v_add_co_u32_e64 v26, s[6:7], s44, v26
	s_and_b64 vcc, exec, s[2:3]
	v_addc_co_u32_e64 v27, s[6:7], v8, v27, s[6:7]
	s_waitcnt vmcnt(0)
	global_store_dword v[26:27], v3, off
	global_store_dword v[5:6], v3, off
	s_cbranch_vccnz .LBB4_24
; %bb.26:                               ;   in Loop: Header=BB4_25 Depth=2
	v_add_u32_e32 v26, s50, v13
	v_ashrrev_i32_e32 v27, 31, v26
	v_lshlrev_b64 v[26:27], 2, v[26:27]
	v_mov_b32_e32 v8, s29
	v_add_co_u32_e32 v26, vcc, s28, v26
	v_addc_co_u32_e32 v27, vcc, v8, v27, vcc
	global_store_dword v[11:12], v18, off
	global_store_dword v[26:27], v18, off
	s_branch .LBB4_24
.LBB4_27:
	s_or_b64 exec, exec, s[16:17]
.LBB4_28:
	s_or_b64 exec, exec, s[14:15]
.LBB4_29:
	v_lshlrev_b32_e32 v2, 2, v1
	v_add_u32_e32 v3, 0, v2
	v_add_u32_e32 v2, s56, v2
	v_cmp_gt_i32_e32 vcc, s30, v1
	ds_write_b32 v3, v15
	ds_write_b32 v2, v16
	s_and_b64 exec, exec, vcc
	s_cbranch_execz .LBB4_32
; %bb.30:
	v_lshlrev_b32_e32 v2, 2, v20
	v_lshl_add_u32 v2, s26, 3, v2
	s_lshl_b32 s2, s55, 2
	v_subrev_u32_e32 v2, s2, v2
	v_lshlrev_b32_e32 v3, 1, v20
	s_lshl_b32 s2, s55, 1
	s_lshl_b32 s6, s30, 2
	v_add_u32_e32 v2, 0, v2
	v_subrev_u32_e32 v3, s2, v3
	s_lshl_b32 s7, s26, 1
	s_mov_b64 s[2:3], 0
	v_mov_b32_e32 v4, v1
.LBB4_31:                               ; =>This Inner Loop Header: Depth=1
	v_add_u32_e32 v4, s26, v4
	v_cmp_le_i32_e32 vcc, s30, v4
	ds_write_b32 v2, v3
	v_add_u32_e32 v5, 1, v3
	v_add_u32_e32 v6, s6, v2
	;; [unrolled: 1-line block ×4, first 2 shown]
	s_or_b64 s[2:3], vcc, s[2:3]
	ds_write_b32 v6, v5
	s_andn2_b64 exec, exec, s[2:3]
	s_cbranch_execnz .LBB4_31
.LBB4_32:
	s_or_b64 exec, exec, s[12:13]
	s_cmp_gt_i32 s26, 0
	s_cselect_b64 s[24:25], -1, 0
	s_cmp_lt_i32 s26, 1
	s_mov_b32 s2, 0
	s_waitcnt vmcnt(0) lgkmcnt(0)
	s_barrier
	s_cbranch_scc1 .LBB4_37
; %bb.33:
	s_cmp_lt_u32 s26, 8
	s_cbranch_scc1 .LBB4_38
; %bb.34:
	s_and_b32 s2, s26, 0x7ffffff8
	s_mov_b32 s3, 0
	s_mov_b32 s6, 0
	v_mov_b32_e32 v3, 0
	v_mov_b32_e32 v2, 0
.LBB4_35:                               ; =>This Inner Loop Header: Depth=1
	v_mov_b32_e32 v8, s6
	s_add_i32 s7, s6, s57
	ds_read2_b64 v[4:7], v8 offset1:1
	ds_read2_b64 v[8:11], v8 offset0:2 offset1:3
	v_mov_b32_e32 v18, s7
	ds_read2_b32 v[12:13], v18 offset1:1
	ds_read2_b32 v[14:15], v18 offset0:2 offset1:3
	ds_read2_b32 v[16:17], v18 offset0:4 offset1:5
	;; [unrolled: 1-line block ×3, first 2 shown]
	s_add_i32 s3, s3, 8
	s_waitcnt lgkmcnt(5)
	v_add_f32_e32 v2, v2, v4
	s_waitcnt lgkmcnt(3)
	v_add_f32_e32 v3, v3, v12
	v_add_f32_e32 v2, v2, v5
	v_add_f32_e32 v3, v3, v13
	v_add_f32_e32 v2, v2, v6
	s_waitcnt lgkmcnt(2)
	v_add_f32_e32 v3, v3, v14
	v_add_f32_e32 v2, v2, v7
	v_add_f32_e32 v3, v3, v15
	;; [unrolled: 5-line block ×3, first 2 shown]
	s_add_i32 s6, s6, 32
	v_add_f32_e32 v2, v2, v10
	s_waitcnt lgkmcnt(0)
	v_add_f32_e32 v3, v3, v22
	s_cmp_lg_u32 s2, s3
	v_add_f32_e32 v2, v2, v11
	v_add_f32_e32 v3, v3, v23
	s_cbranch_scc1 .LBB4_35
; %bb.36:
	s_and_b32 s3, s26, 7
	s_cmp_eq_u32 s3, 0
	s_cbranch_scc0 .LBB4_39
	s_branch .LBB4_41
.LBB4_37:
	v_mov_b32_e32 v3, 0
	v_mov_b32_e32 v2, 0
	s_branch .LBB4_41
.LBB4_38:
	v_mov_b32_e32 v3, 0
	v_mov_b32_e32 v2, 0
	s_and_b32 s3, s26, 7
	s_cmp_eq_u32 s3, 0
	s_cbranch_scc1 .LBB4_41
.LBB4_39:
	s_lshl_b32 s2, s2, 2
	s_add_i32 s2, s2, 0
.LBB4_40:                               ; =>This Inner Loop Header: Depth=1
	s_add_i32 s6, s2, s57
	v_mov_b32_e32 v4, s2
	v_mov_b32_e32 v5, s6
	ds_read_b32 v4, v4
	ds_read_b32 v5, v5
	s_add_i32 s2, s2, 4
	s_add_i32 s3, s3, -1
	s_cmp_lg_u32 s3, 0
	s_waitcnt lgkmcnt(1)
	v_add_f32_e32 v2, v2, v4
	s_waitcnt lgkmcnt(0)
	v_add_f32_e32 v3, v3, v5
	s_cbranch_scc1 .LBB4_40
.LBB4_41:
	s_load_dwordx2 s[2:3], s[4:5], 0x28
	s_load_dword s22, s[4:5], 0x38
	v_add_f32_e32 v3, v3, v2
	s_mov_b32 s74, 0
	s_waitcnt lgkmcnt(0)
	v_mul_f32_e32 v3, s2, v3
	s_cmp_gt_i32 s22, 0
	v_mul_f32_e32 v15, s2, v3
	s_cselect_b64 s[6:7], -1, 0
	v_cmp_gt_f32_e32 vcc, v2, v15
	s_and_b64 s[6:7], s[6:7], vcc
	s_andn2_b64 vcc, exec, s[6:7]
	s_cbranch_vccnz .LBB4_121
; %bb.42:
	v_mov_b32_e32 v2, 0x800000
	v_div_scale_f32 v3, s[6:7], s3, s3, v2
	s_mov_b32 s2, 0x800000
	v_mov_b32_e32 v4, s3
	v_div_scale_f32 v4, vcc, s2, v4, s2
	s_abs_i32 s6, s26
	v_cvt_f32_u32_e32 v5, s6
	s_sub_i32 s12, 0, s6
	s_add_i32 s75, s56, s57
	s_lshl_b32 s2, s30, 2
	v_rcp_iflag_f32_e32 v5, v5
	s_add_i32 s7, s30, -1
	s_add_i32 s76, s75, s2
	s_xor_b32 s2, s7, s26
	v_mul_f32_e32 v5, 0x4f7ffffe, v5
	v_rcp_f32_e32 v6, v3
	v_cvt_u32_f32_e32 v5, v5
	s_abs_i32 s7, s7
	s_ashr_i32 s2, s2, 31
	v_fma_f32 v7, -v3, v6, 1.0
	v_fmac_f32_e32 v6, v7, v6
	v_mul_f32_e32 v7, v4, v6
	v_fma_f32 v8, -v3, v7, v4
	v_fmac_f32_e32 v7, v8, v6
	v_fma_f32 v3, -v3, v7, v4
	v_div_fmas_f32 v3, v3, v6, v7
	v_readfirstlane_b32 s13, v5
	s_mul_i32 s12, s12, s13
	s_mul_hi_u32 s12, s13, s12
	s_add_i32 s13, s13, s12
	s_mul_hi_u32 s12, s7, s13
	s_mul_i32 s13, s12, s6
	s_sub_i32 s7, s7, s13
	s_add_i32 s14, s12, 1
	s_sub_i32 s13, s7, s6
	s_cmp_ge_u32 s7, s6
	s_cselect_b32 s12, s14, s12
	s_cselect_b32 s7, s13, s7
	s_add_i32 s13, s12, 1
	s_cmp_ge_u32 s7, s6
	v_cmp_gt_i32_e64 s[6:7], s23, v1
	v_div_fixup_f32 v16, v3, s3, v2
	s_cselect_b32 s3, s13, s12
	s_xor_b32 s3, s3, s2
	s_sub_i32 s77, s3, s2
	s_add_i32 s78, s54, -1
	s_cmp_gt_i32 s54, 1
	s_cselect_b64 s[12:13], -1, 0
	s_cmp_gt_i32 s77, -1
	s_cselect_b64 s[14:15], -1, 0
	s_add_i32 s79, s23, 1
	s_cmpk_lg_i32 s21, 0xd5
	s_cselect_b64 s[48:49], -1, 0
	s_and_b32 s80, s26, 7
	s_cmp_gt_u32 s26, 7
	v_lshlrev_b32_e32 v2, 2, v1
	s_cselect_b64 s[50:51], -1, 0
	s_and_b32 s81, s26, 0x7ffffff8
	v_add_u32_e32 v17, 0, v2
	v_add_u32_e32 v18, s56, v2
	s_cmp_lg_u32 s80, 0
	v_sub_u32_e32 v2, s55, v20
	s_cselect_b64 s[52:53], -1, 0
	v_mad_u64_u32 v[3:4], s[16:17], s33, v2, v[0:1]
	s_lshl_b32 s54, s33, 1
	s_ashr_i32 s55, s54, 31
	s_mul_i32 s16, s23, s33
	s_lshl_b64 s[56:57], s[54:55], 2
	s_lshl_b32 s55, s16, 1
	v_lshlrev_b32_e32 v0, 1, v0
	v_lshlrev_b32_e32 v2, 1, v19
	s_add_u32 s8, s8, s10
	v_sub_u32_e32 v0, v0, v2
	v_ashrrev_i32_e32 v2, 31, v1
	s_addc_u32 s9, s9, s11
	s_ashr_i32 s35, s34, 31
	v_mov_b32_e32 v6, s34
	v_lshlrev_b64 v[4:5], 2, v[1:2]
	s_ashr_i32 s31, s30, 31
	v_mov_b32_e32 v7, s35
	v_cmp_lt_i64_e32 vcc, s[30:31], v[6:7]
	v_mov_b32_e32 v2, s9
	v_add_co_u32_e64 v4, s[8:9], s8, v4
	v_or_b32_e32 v19, 1, v0
	v_addc_co_u32_e64 v5, s[8:9], v2, v5, s[8:9]
	s_and_b64 s[8:9], vcc, exec
	v_cmp_gt_i32_e64 s[2:3], s30, v21
	v_mul_lo_u32 v20, s23, v19
	v_mul_lo_u32 v21, s23, v0
	s_cselect_b32 s9, s31, s35
	s_cselect_b32 s8, s30, s34
	s_lshl_b64 s[58:59], s[8:9], 2
	s_ashr_i32 s9, s23, 31
	s_mov_b32 s8, s23
	v_cndmask_b32_e64 v2, 0, 1, s[12:13]
	s_lshl_b64 s[60:61], s[8:9], 2
	v_cmp_ne_u32_e64 s[8:9], 1, v2
	v_cndmask_b32_e64 v2, 0, 1, s[14:15]
	v_cmp_ne_u32_e64 s[10:11], 1, v2
	s_mov_b32 s31, 0x7f800000
	s_mov_b32 s35, 0xf800000
	v_mov_b32_e32 v22, 0x260
	v_mov_b32_e32 v23, 0
                                        ; implicit-def: $vgpr10
                                        ; implicit-def: $vgpr25
                                        ; implicit-def: $vgpr24
	s_branch .LBB4_45
.LBB4_43:                               ;   in Loop: Header=BB4_45 Depth=1
	v_mov_b32_e32 v2, 0
.LBB4_44:                               ;   in Loop: Header=BB4_45 Depth=1
	s_add_i32 s74, s74, 1
	s_cmp_lt_i32 s74, s22
	s_cselect_b64 s[12:13], -1, 0
	v_cmp_gt_f32_e32 vcc, v2, v15
	s_and_b64 s[12:13], s[12:13], vcc
	s_and_b64 vcc, exec, s[12:13]
	s_cbranch_vccz .LBB4_121
.LBB4_45:                               ; =>This Loop Header: Depth=1
                                        ;     Child Loop BB4_48 Depth 2
                                        ;       Child Loop BB4_50 Depth 3
                                        ;         Child Loop BB4_75 Depth 4
                                        ;         Child Loop BB4_85 Depth 4
                                        ;     Child Loop BB4_107 Depth 2
                                        ;       Child Loop BB4_109 Depth 3
                                        ;     Child Loop BB4_116 Depth 2
                                        ;     Child Loop BB4_120 Depth 2
	s_and_b64 vcc, exec, s[8:9]
	s_cbranch_vccnz .LBB4_103
; %bb.46:                               ;   in Loop: Header=BB4_45 Depth=1
	s_mov_b32 s82, 0
	s_branch .LBB4_48
.LBB4_47:                               ;   in Loop: Header=BB4_48 Depth=2
	s_add_i32 s82, s82, 1
	s_cmp_eq_u32 s82, s78
	s_cbranch_scc1 .LBB4_103
.LBB4_48:                               ;   Parent Loop BB4_45 Depth=1
                                        ; =>  This Loop Header: Depth=2
                                        ;       Child Loop BB4_50 Depth 3
                                        ;         Child Loop BB4_75 Depth 4
                                        ;         Child Loop BB4_85 Depth 4
	s_and_b64 vcc, exec, s[10:11]
	s_cbranch_vccnz .LBB4_47
; %bb.49:                               ;   in Loop: Header=BB4_48 Depth=2
	s_mov_b32 s83, 0
.LBB4_50:                               ;   Parent Loop BB4_45 Depth=1
                                        ;     Parent Loop BB4_48 Depth=2
                                        ; =>    This Loop Header: Depth=3
                                        ;         Child Loop BB4_75 Depth 4
                                        ;         Child Loop BB4_85 Depth 4
	s_mul_i32 s12, s83, s26
	v_add_u32_e32 v27, s12, v1
	v_cmp_gt_i32_e64 s[12:13], s30, v27
	v_mov_b32_e32 v6, s23
	s_and_saveexec_b64 s[14:15], s[12:13]
; %bb.51:                               ;   in Loop: Header=BB4_50 Depth=3
	v_lshl_add_u32 v2, v27, 2, s75
	ds_read_b32 v6, v2
; %bb.52:                               ;   in Loop: Header=BB4_50 Depth=3
	s_or_b64 exec, exec, s[14:15]
	v_mov_b32_e32 v2, s23
	v_lshl_add_u32 v26, v27, 2, s76
	s_and_saveexec_b64 s[14:15], s[12:13]
; %bb.53:                               ;   in Loop: Header=BB4_50 Depth=3
	ds_read_b32 v2, v26
; %bb.54:                               ;   in Loop: Header=BB4_50 Depth=3
	s_or_b64 exec, exec, s[14:15]
	s_waitcnt lgkmcnt(0)
	v_cmp_gt_i32_e64 s[14:15], s23, v6
	s_and_b64 s[18:19], s[0:1], s[14:15]
	v_cmp_gt_i32_e64 s[16:17], s23, v2
	s_and_b64 s[62:63], s[18:19], s[16:17]
	s_and_saveexec_b64 s[64:65], s[62:63]
	s_cbranch_execz .LBB4_70
; %bb.55:                               ;   in Loop: Header=BB4_50 Depth=3
	v_mul_lo_u32 v8, v2, s23
	v_mov_b32_e32 v7, s45
	v_mov_b32_e32 v24, 1.0
	v_mov_b32_e32 v25, 0
	v_add_u32_e32 v11, v8, v6
	v_ashrrev_i32_e32 v12, 31, v11
	v_lshlrev_b64 v[11:12], 2, v[11:12]
	v_add_co_u32_e32 v11, vcc, s44, v11
	v_addc_co_u32_e32 v12, vcc, v7, v12, vcc
	global_load_dword v7, v[11:12], off
	s_waitcnt vmcnt(0)
	v_mul_f32_e32 v9, v7, v7
	v_cmp_nlt_f32_e32 vcc, v9, v16
	s_and_saveexec_b64 s[66:67], vcc
	s_cbranch_execz .LBB4_69
; %bb.56:                               ;   in Loop: Header=BB4_50 Depth=3
	v_add_u32_e32 v8, v8, v2
	v_ashrrev_i32_e32 v9, 31, v8
	v_mul_lo_u32 v11, v6, s79
	v_lshlrev_b64 v[8:9], 2, v[8:9]
	v_mov_b32_e32 v12, s45
	v_add_co_u32_e32 v8, vcc, s44, v8
	v_addc_co_u32_e32 v9, vcc, v12, v9, vcc
	v_ashrrev_i32_e32 v12, 31, v11
	v_lshlrev_b64 v[11:12], 2, v[11:12]
	v_mov_b32_e32 v13, s45
	v_add_co_u32_e32 v11, vcc, s44, v11
	v_addc_co_u32_e32 v12, vcc, v13, v12, vcc
	global_load_dword v9, v[8:9], off
	s_nop 0
	global_load_dword v11, v[11:12], off
	v_add_f32_e64 v8, |v7|, |v7|
	s_waitcnt vmcnt(0)
	v_sub_f32_e32 v9, v9, v11
	v_max_f32_e64 v11, |v9|, |v8|
	v_cvt_f64_f32_e32 v[12:13], v11
	v_cmp_ngt_f32_e32 vcc, 0, v9
	v_frexp_exp_i32_f64_e32 v13, v[12:13]
	v_sub_u32_e32 v12, 0, v13
	v_ldexp_f32 v14, |v9|, v12
	v_ldexp_f32 v12, |v8|, v12
	v_mul_f32_e32 v12, v12, v12
	v_fmac_f32_e32 v12, v14, v14
	v_sqrt_f32_e32 v14, v12
                                        ; implicit-def: $vgpr12
	s_and_saveexec_b64 s[18:19], vcc
	s_xor_b64 s[18:19], exec, s[18:19]
; %bb.57:                               ;   in Loop: Header=BB4_50 Depth=3
	v_ldexp_f32 v12, v14, v13
	v_mov_b32_e32 v13, 0x7f800000
	v_cmp_neq_f32_e32 vcc, s31, v11
	v_cndmask_b32_e32 v12, v13, v12, vcc
                                        ; implicit-def: $vgpr14
                                        ; implicit-def: $vgpr13
                                        ; implicit-def: $vgpr11
; %bb.58:                               ;   in Loop: Header=BB4_50 Depth=3
	s_andn2_saveexec_b64 s[18:19], s[18:19]
; %bb.59:                               ;   in Loop: Header=BB4_50 Depth=3
	v_ldexp_f32 v12, -v14, v13
	v_mov_b32_e32 v13, 0xff800000
	v_cmp_neq_f32_e32 vcc, s31, v11
	v_cndmask_b32_e32 v12, v13, v12, vcc
; %bb.60:                               ;   in Loop: Header=BB4_50 Depth=3
	s_or_b64 exec, exec, s[18:19]
	v_mov_b32_e32 v11, 0
	v_cmp_neq_f32_e32 vcc, 0, v8
	v_mov_b32_e32 v24, 1.0
	s_and_saveexec_b64 s[68:69], vcc
	s_cbranch_execz .LBB4_68
; %bb.61:                               ;   in Loop: Header=BB4_50 Depth=3
	v_add_f32_e32 v9, v9, v12
	v_mov_b32_e32 v24, 0
	v_cmp_neq_f32_e32 vcc, 0, v9
	v_mov_b32_e32 v11, 1.0
	s_and_saveexec_b64 s[70:71], vcc
	s_cbranch_execz .LBB4_67
; %bb.62:                               ;   in Loop: Header=BB4_50 Depth=3
	v_cmp_ngt_f32_e64 s[18:19], |v8|, |v9|
                                        ; implicit-def: $vgpr11
                                        ; implicit-def: $vgpr24
	s_and_saveexec_b64 s[72:73], s[18:19]
	s_xor_b64 s[72:73], exec, s[72:73]
	s_cbranch_execz .LBB4_64
; %bb.63:                               ;   in Loop: Header=BB4_50 Depth=3
	v_div_scale_f32 v11, s[18:19], v9, v9, -v8
	v_div_scale_f32 v12, vcc, -v8, v9, -v8
	v_rcp_f32_e32 v13, v11
	v_fma_f32 v14, -v11, v13, 1.0
	v_fmac_f32_e32 v13, v14, v13
	v_mul_f32_e32 v14, v12, v13
	v_fma_f32 v24, -v11, v14, v12
	v_fmac_f32_e32 v14, v24, v13
	v_fma_f32 v11, -v11, v14, v12
	v_div_fmas_f32 v11, v11, v13, v14
	v_div_fixup_f32 v8, v11, v9, -v8
	v_fma_f32 v9, v8, v8, 1.0
	v_mul_f32_e32 v11, 0x4f800000, v9
	v_cmp_gt_f32_e32 vcc, s35, v9
	v_cndmask_b32_e32 v9, v9, v11, vcc
	v_sqrt_f32_e32 v11, v9
	v_add_u32_e32 v12, -1, v11
	v_add_u32_e32 v13, 1, v11
	v_fma_f32 v14, -v12, v11, v9
	v_fma_f32 v24, -v13, v11, v9
	v_cmp_ge_f32_e64 s[18:19], 0, v14
	v_cndmask_b32_e64 v11, v11, v12, s[18:19]
	v_cmp_lt_f32_e64 s[18:19], 0, v24
	v_cndmask_b32_e64 v11, v11, v13, s[18:19]
	v_mul_f32_e32 v12, 0x37800000, v11
	v_cndmask_b32_e32 v11, v11, v12, vcc
	v_cmp_class_f32_e32 vcc, v9, v22
	v_cndmask_b32_e32 v9, v11, v9, vcc
	v_div_scale_f32 v11, s[18:19], v9, v9, 1.0
	v_div_scale_f32 v12, vcc, 1.0, v9, 1.0
	v_rcp_f32_e32 v13, v11
	v_fma_f32 v14, -v11, v13, 1.0
	v_fmac_f32_e32 v13, v14, v13
	v_mul_f32_e32 v14, v12, v13
	v_fma_f32 v24, -v11, v14, v12
	v_fmac_f32_e32 v14, v24, v13
	v_fma_f32 v11, -v11, v14, v12
	v_div_fmas_f32 v11, v11, v13, v14
	v_div_fixup_f32 v24, v11, v9, 1.0
	v_mul_f32_e32 v11, v8, v24
                                        ; implicit-def: $vgpr8
                                        ; implicit-def: $vgpr9
.LBB4_64:                               ;   in Loop: Header=BB4_50 Depth=3
	s_andn2_saveexec_b64 s[72:73], s[72:73]
	s_cbranch_execz .LBB4_66
; %bb.65:                               ;   in Loop: Header=BB4_50 Depth=3
	v_div_scale_f32 v11, s[18:19], v8, v8, -v9
	v_div_scale_f32 v12, vcc, -v9, v8, -v9
	v_rcp_f32_e32 v13, v11
	v_fma_f32 v14, -v11, v13, 1.0
	v_fmac_f32_e32 v13, v14, v13
	v_mul_f32_e32 v14, v12, v13
	v_fma_f32 v24, -v11, v14, v12
	v_fmac_f32_e32 v14, v24, v13
	v_fma_f32 v11, -v11, v14, v12
	v_div_fmas_f32 v11, v11, v13, v14
	v_div_fixup_f32 v8, v11, v8, -v9
	v_fma_f32 v9, v8, v8, 1.0
	v_mul_f32_e32 v11, 0x4f800000, v9
	v_cmp_gt_f32_e32 vcc, s35, v9
	v_cndmask_b32_e32 v9, v9, v11, vcc
	v_sqrt_f32_e32 v11, v9
	v_add_u32_e32 v12, -1, v11
	v_add_u32_e32 v13, 1, v11
	v_fma_f32 v14, -v12, v11, v9
	v_fma_f32 v24, -v13, v11, v9
	v_cmp_ge_f32_e64 s[18:19], 0, v14
	v_cndmask_b32_e64 v11, v11, v12, s[18:19]
	v_cmp_lt_f32_e64 s[18:19], 0, v24
	v_cndmask_b32_e64 v11, v11, v13, s[18:19]
	v_mul_f32_e32 v12, 0x37800000, v11
	v_cndmask_b32_e32 v11, v11, v12, vcc
	v_cmp_class_f32_e32 vcc, v9, v22
	v_cndmask_b32_e32 v9, v11, v9, vcc
	v_div_scale_f32 v11, s[18:19], v9, v9, 1.0
	v_div_scale_f32 v12, vcc, 1.0, v9, 1.0
	v_rcp_f32_e32 v13, v11
	v_fma_f32 v14, -v11, v13, 1.0
	v_fmac_f32_e32 v13, v14, v13
	v_mul_f32_e32 v14, v12, v13
	v_fma_f32 v24, -v11, v14, v12
	v_fmac_f32_e32 v14, v24, v13
	v_fma_f32 v11, -v11, v14, v12
	v_div_fmas_f32 v11, v11, v13, v14
	v_div_fixup_f32 v11, v11, v9, 1.0
	v_mul_f32_e32 v24, v8, v11
.LBB4_66:                               ;   in Loop: Header=BB4_50 Depth=3
	s_or_b64 exec, exec, s[72:73]
.LBB4_67:                               ;   in Loop: Header=BB4_50 Depth=3
	s_or_b64 exec, exec, s[70:71]
.LBB4_68:                               ;   in Loop: Header=BB4_50 Depth=3
	s_or_b64 exec, exec, s[68:69]
	v_mul_f32_e32 v8, v7, v11
	v_and_b32_e32 v9, 0x7fffffff, v7
	v_div_scale_f32 v11, s[18:19], v9, v9, v8
	v_div_scale_f32 v9, vcc, v8, v9, v8
	v_rcp_f32_e32 v12, v11
	v_fma_f32 v13, -v11, v12, 1.0
	v_fmac_f32_e32 v12, v13, v12
	v_mul_f32_e32 v13, v9, v12
	v_fma_f32 v14, -v11, v13, v9
	v_fmac_f32_e32 v13, v14, v12
	v_fma_f32 v9, -v11, v13, v9
	v_div_fmas_f32 v9, v9, v12, v13
	v_div_fixup_f32 v25, v9, |v7|, v8
.LBB4_69:                               ;   in Loop: Header=BB4_50 Depth=3
	s_or_b64 exec, exec, s[66:67]
	ds_write_b32 v17, v24
	ds_write_b32 v18, v25
.LBB4_70:                               ;   in Loop: Header=BB4_50 Depth=3
	s_or_b64 exec, exec, s[64:65]
	s_and_b64 s[14:15], s[14:15], s[16:17]
	s_mov_b64 s[18:19], 0
	s_waitcnt lgkmcnt(0)
	s_barrier
	s_and_saveexec_b64 s[16:17], s[14:15]
	s_cbranch_execz .LBB4_82
; %bb.71:                               ;   in Loop: Header=BB4_50 Depth=3
	ds_read_b32 v24, v17
	ds_read_b32 v25, v18
	s_mov_b64 s[14:15], 0
	s_and_saveexec_b64 s[18:19], s[2:3]
	s_cbranch_execz .LBB4_81
; %bb.72:                               ;   in Loop: Header=BB4_50 Depth=3
	v_mad_u64_u32 v[7:8], s[14:15], v2, s23, v[0:1]
	v_mad_u64_u32 v[9:10], s[14:15], v6, s23, v[0:1]
	v_mul_lo_u32 v28, v2, s27
	v_ashrrev_i32_e32 v8, 31, v7
	v_ashrrev_i32_e32 v10, 31, v9
	v_lshlrev_b64 v[7:8], 2, v[7:8]
	v_lshlrev_b64 v[9:10], 2, v[9:10]
	s_mov_b64 s[64:65], 0
	s_mov_b64 s[66:67], s[44:45]
	v_mov_b32_e32 v29, v0
	v_mov_b32_e32 v30, v3
	s_branch .LBB4_75
.LBB4_73:                               ;   in Loop: Header=BB4_75 Depth=4
	s_or_b64 exec, exec, s[68:69]
.LBB4_74:                               ;   in Loop: Header=BB4_75 Depth=4
	v_add_u32_e32 v30, s33, v30
	s_add_u32 s66, s66, s56
	s_addc_u32 s67, s67, s57
	v_cmp_le_i32_e32 vcc, s30, v30
	s_or_b64 s[64:65], vcc, s[64:65]
	v_add_u32_e32 v29, s54, v29
	s_andn2_b64 exec, exec, s[64:65]
	s_cbranch_execz .LBB4_80
.LBB4_75:                               ;   Parent Loop BB4_45 Depth=1
                                        ;     Parent Loop BB4_48 Depth=2
                                        ;       Parent Loop BB4_50 Depth=3
                                        ; =>      This Inner Loop Header: Depth=4
	v_mov_b32_e32 v14, s67
	v_add_co_u32_e32 v11, vcc, s66, v9
	v_addc_co_u32_e32 v12, vcc, v14, v10, vcc
	v_add_co_u32_e32 v13, vcc, s66, v7
	v_addc_co_u32_e32 v14, vcc, v14, v8, vcc
	global_load_dword v31, v[13:14], off
	global_load_dword v32, v[11:12], off
	v_add_u32_e32 v33, 1, v29
	v_cmp_gt_i32_e64 s[14:15], s23, v33
	s_waitcnt vmcnt(1) lgkmcnt(0)
	v_mul_f32_e32 v34, v25, v31
	s_waitcnt vmcnt(0)
	v_mul_f32_e32 v35, v25, v32
	v_fmac_f32_e32 v34, v24, v32
	v_fma_f32 v31, v24, v31, -v35
	global_store_dword v[11:12], v34, off
	global_store_dword v[13:14], v31, off
	s_and_saveexec_b64 s[68:69], s[14:15]
	s_cbranch_execz .LBB4_77
; %bb.76:                               ;   in Loop: Header=BB4_75 Depth=4
	global_load_dword v31, v[13:14], off offset:4
	global_load_dword v32, v[11:12], off offset:4
	s_waitcnt vmcnt(1)
	v_mul_f32_e32 v33, v25, v31
	s_waitcnt vmcnt(0)
	v_mul_f32_e32 v34, v25, v32
	v_fmac_f32_e32 v33, v24, v32
	v_fma_f32 v31, v24, v31, -v34
	global_store_dword v[11:12], v33, off offset:4
	global_store_dword v[13:14], v31, off offset:4
.LBB4_77:                               ;   in Loop: Header=BB4_75 Depth=4
	s_or_b64 exec, exec, s[68:69]
	s_andn2_b64 vcc, exec, s[48:49]
	s_cbranch_vccnz .LBB4_74
; %bb.78:                               ;   in Loop: Header=BB4_75 Depth=4
	v_mul_lo_u32 v11, v6, s27
	v_mov_b32_e32 v13, s29
	v_mov_b32_e32 v31, s29
	v_add_u32_e32 v11, v11, v29
	v_ashrrev_i32_e32 v12, 31, v11
	v_lshlrev_b64 v[11:12], 2, v[11:12]
	v_add_co_u32_e32 v11, vcc, s28, v11
	v_addc_co_u32_e32 v12, vcc, v13, v12, vcc
	v_add_u32_e32 v13, v28, v29
	v_ashrrev_i32_e32 v14, 31, v13
	v_lshlrev_b64 v[13:14], 2, v[13:14]
	v_add_co_u32_e32 v13, vcc, s28, v13
	v_addc_co_u32_e32 v14, vcc, v31, v14, vcc
	global_load_dword v31, v[13:14], off
	global_load_dword v32, v[11:12], off
	s_waitcnt vmcnt(1)
	v_mul_f32_e32 v33, v25, v31
	s_waitcnt vmcnt(0)
	v_mul_f32_e32 v34, v25, v32
	v_fmac_f32_e32 v33, v24, v32
	v_fma_f32 v31, v24, v31, -v34
	global_store_dword v[11:12], v33, off
	global_store_dword v[13:14], v31, off
	s_and_saveexec_b64 s[68:69], s[14:15]
	s_cbranch_execz .LBB4_73
; %bb.79:                               ;   in Loop: Header=BB4_75 Depth=4
	global_load_dword v31, v[13:14], off offset:4
	global_load_dword v32, v[11:12], off offset:4
	s_waitcnt vmcnt(1)
	v_mul_f32_e32 v33, v25, v31
	s_waitcnt vmcnt(0)
	v_mul_f32_e32 v34, v25, v32
	v_fmac_f32_e32 v33, v24, v32
	v_fma_f32 v31, v24, v31, -v34
	global_store_dword v[11:12], v33, off offset:4
	global_store_dword v[13:14], v31, off offset:4
	s_branch .LBB4_73
.LBB4_80:                               ;   in Loop: Header=BB4_50 Depth=3
	s_or_b64 exec, exec, s[64:65]
	s_mov_b64 s[14:15], exec
.LBB4_81:                               ;   in Loop: Header=BB4_50 Depth=3
	s_or_b64 exec, exec, s[18:19]
	s_and_b64 s[18:19], s[14:15], exec
	s_waitcnt lgkmcnt(0)
	v_mov_b32_e32 v10, v25
.LBB4_82:                               ;   in Loop: Header=BB4_50 Depth=3
	s_or_b64 exec, exec, s[16:17]
	s_waitcnt vmcnt(0)
	s_barrier
	s_and_saveexec_b64 s[14:15], s[18:19]
	s_cbranch_execz .LBB4_87
; %bb.83:                               ;   in Loop: Header=BB4_50 Depth=3
	v_add_u32_e32 v7, v20, v6
	v_add_u32_e32 v8, v20, v2
	;; [unrolled: 1-line block ×4, first 2 shown]
	s_mov_b32 s64, 0
	s_mov_b64 s[16:17], 0
	v_mov_b32_e32 v12, v19
	v_mov_b32_e32 v13, v3
	s_branch .LBB4_85
.LBB4_84:                               ;   in Loop: Header=BB4_85 Depth=4
	s_or_b64 exec, exec, s[18:19]
	v_add_u32_e32 v13, s33, v13
	s_add_i32 s64, s64, s55
	v_cmp_le_i32_e32 vcc, s30, v13
	s_or_b64 s[16:17], vcc, s[16:17]
	v_add_u32_e32 v12, s54, v12
	s_andn2_b64 exec, exec, s[16:17]
	s_cbranch_execz .LBB4_87
.LBB4_85:                               ;   Parent Loop BB4_45 Depth=1
                                        ;     Parent Loop BB4_48 Depth=2
                                        ;       Parent Loop BB4_50 Depth=3
                                        ; =>      This Inner Loop Header: Depth=4
	v_add_u32_e32 v28, s64, v11
	v_ashrrev_i32_e32 v29, 31, v28
	v_lshlrev_b64 v[28:29], 2, v[28:29]
	v_add_u32_e32 v30, s64, v9
	v_ashrrev_i32_e32 v31, 31, v30
	v_mov_b32_e32 v14, s45
	v_add_co_u32_e32 v28, vcc, s44, v28
	v_lshlrev_b64 v[30:31], 2, v[30:31]
	v_addc_co_u32_e32 v29, vcc, v14, v29, vcc
	v_add_co_u32_e32 v30, vcc, s44, v30
	v_addc_co_u32_e32 v31, vcc, v14, v31, vcc
	global_load_dword v14, v[30:31], off
	global_load_dword v32, v[28:29], off
	v_cmp_gt_i32_e32 vcc, s23, v12
	s_waitcnt vmcnt(1)
	v_mul_f32_e32 v33, v25, v14
	s_waitcnt vmcnt(0)
	v_mul_f32_e32 v34, v10, v32
	v_fmac_f32_e32 v33, v24, v32
	v_fma_f32 v14, v24, v14, -v34
	global_store_dword v[28:29], v33, off
	global_store_dword v[30:31], v14, off
	s_and_saveexec_b64 s[18:19], vcc
	s_cbranch_execz .LBB4_84
; %bb.86:                               ;   in Loop: Header=BB4_85 Depth=4
	v_add_u32_e32 v28, s64, v7
	v_ashrrev_i32_e32 v29, 31, v28
	v_lshlrev_b64 v[28:29], 2, v[28:29]
	v_add_u32_e32 v30, s64, v8
	v_ashrrev_i32_e32 v31, 31, v30
	v_mov_b32_e32 v14, s45
	v_add_co_u32_e32 v28, vcc, s44, v28
	v_lshlrev_b64 v[30:31], 2, v[30:31]
	v_addc_co_u32_e32 v29, vcc, v14, v29, vcc
	v_add_co_u32_e32 v30, vcc, s44, v30
	v_addc_co_u32_e32 v31, vcc, v14, v31, vcc
	global_load_dword v14, v[30:31], off
	global_load_dword v32, v[28:29], off
	s_waitcnt vmcnt(1)
	v_mul_f32_e32 v33, v25, v14
	s_waitcnt vmcnt(0)
	v_mul_f32_e32 v34, v10, v32
	v_fmac_f32_e32 v33, v24, v32
	v_fma_f32 v14, v24, v14, -v34
	global_store_dword v[28:29], v33, off
	global_store_dword v[30:31], v14, off
	s_branch .LBB4_84
.LBB4_87:                               ;   in Loop: Header=BB4_50 Depth=3
	s_or_b64 exec, exec, s[14:15]
	s_waitcnt vmcnt(0)
	s_barrier
	s_and_saveexec_b64 s[14:15], s[62:63]
	s_cbranch_execz .LBB4_89
; %bb.88:                               ;   in Loop: Header=BB4_50 Depth=3
	v_mad_u64_u32 v[7:8], s[16:17], v2, s23, v[6:7]
	v_mad_u64_u32 v[11:12], s[16:17], v6, s23, v[2:3]
	v_ashrrev_i32_e32 v8, 31, v7
	v_lshlrev_b64 v[7:8], 2, v[7:8]
	v_mov_b32_e32 v9, s45
	v_add_co_u32_e32 v7, vcc, s44, v7
	v_addc_co_u32_e32 v8, vcc, v9, v8, vcc
	v_ashrrev_i32_e32 v12, 31, v11
	global_store_dword v[7:8], v23, off
	v_lshlrev_b64 v[7:8], 2, v[11:12]
	v_add_co_u32_e32 v7, vcc, s44, v7
	v_addc_co_u32_e32 v8, vcc, v9, v8, vcc
	global_store_dword v[7:8], v23, off
.LBB4_89:                               ;   in Loop: Header=BB4_50 Depth=3
	s_or_b64 exec, exec, s[14:15]
	s_and_b64 s[12:13], s[0:1], s[12:13]
	s_waitcnt vmcnt(0)
	s_barrier
	s_and_saveexec_b64 s[14:15], s[12:13]
	s_cbranch_execz .LBB4_101
; %bb.90:                               ;   in Loop: Header=BB4_50 Depth=3
	v_cmp_lt_i32_e32 vcc, 0, v6
	s_and_saveexec_b64 s[16:17], vcc
	s_cbranch_execz .LBB4_96
; %bb.91:                               ;   in Loop: Header=BB4_50 Depth=3
	v_cmp_ne_u32_e32 vcc, 2, v6
	v_cmp_ne_u32_e64 s[12:13], s78, v6
	s_and_b64 s[12:13], vcc, s[12:13]
                                        ; implicit-def: $vgpr7
	s_and_saveexec_b64 s[18:19], s[12:13]
	s_xor_b64 s[12:13], exec, s[18:19]
; %bb.92:                               ;   in Loop: Header=BB4_50 Depth=3
	v_and_b32_e32 v7, 1, v6
	v_cmp_eq_u32_e32 vcc, 0, v7
	v_cndmask_b32_e64 v7, 2, -2, vcc
	v_add_u32_e32 v7, v7, v6
                                        ; implicit-def: $vgpr6
; %bb.93:                               ;   in Loop: Header=BB4_50 Depth=3
	s_andn2_saveexec_b64 s[12:13], s[12:13]
; %bb.94:                               ;   in Loop: Header=BB4_50 Depth=3
	v_add_u32_e32 v7, -1, v6
; %bb.95:                               ;   in Loop: Header=BB4_50 Depth=3
	s_or_b64 exec, exec, s[12:13]
	v_lshl_add_u32 v6, v27, 2, s75
	ds_write_b32 v6, v7
.LBB4_96:                               ;   in Loop: Header=BB4_50 Depth=3
	s_or_b64 exec, exec, s[16:17]
	v_cmp_ne_u32_e32 vcc, 2, v2
	v_cmp_ne_u32_e64 s[12:13], s78, v2
	s_and_b64 s[12:13], vcc, s[12:13]
                                        ; implicit-def: $vgpr6
	s_and_saveexec_b64 s[16:17], s[12:13]
	s_xor_b64 s[12:13], exec, s[16:17]
; %bb.97:                               ;   in Loop: Header=BB4_50 Depth=3
	v_and_b32_e32 v6, 1, v2
	v_cmp_eq_u32_e32 vcc, 0, v6
	v_cndmask_b32_e64 v6, 2, -2, vcc
	v_add_u32_e32 v6, v6, v2
                                        ; implicit-def: $vgpr2
; %bb.98:                               ;   in Loop: Header=BB4_50 Depth=3
	s_andn2_saveexec_b64 s[12:13], s[12:13]
; %bb.99:                               ;   in Loop: Header=BB4_50 Depth=3
	v_add_u32_e32 v6, -1, v2
; %bb.100:                              ;   in Loop: Header=BB4_50 Depth=3
	s_or_b64 exec, exec, s[12:13]
	ds_write_b32 v26, v6
.LBB4_101:                              ;   in Loop: Header=BB4_50 Depth=3
	s_or_b64 exec, exec, s[14:15]
	s_add_i32 s12, s83, 1
	s_cmp_eq_u32 s83, s77
	s_waitcnt lgkmcnt(0)
	s_barrier
	s_cbranch_scc1 .LBB4_47
; %bb.102:                              ;   in Loop: Header=BB4_50 Depth=3
	s_mov_b32 s83, s12
	s_branch .LBB4_50
.LBB4_103:                              ;   in Loop: Header=BB4_45 Depth=1
	s_and_saveexec_b64 s[12:13], s[0:1]
	s_cbranch_execz .LBB4_113
; %bb.104:                              ;   in Loop: Header=BB4_45 Depth=1
	v_mov_b32_e32 v2, 0
	s_and_saveexec_b64 s[14:15], s[6:7]
	s_cbranch_execz .LBB4_112
; %bb.105:                              ;   in Loop: Header=BB4_45 Depth=1
	v_mov_b32_e32 v7, v5
	v_mov_b32_e32 v2, 0
	s_mov_b64 s[16:17], 0
	v_mov_b32_e32 v6, v4
	v_mov_b32_e32 v11, v1
	s_branch .LBB4_107
.LBB4_106:                              ;   in Loop: Header=BB4_107 Depth=2
	s_or_b64 exec, exec, s[18:19]
	v_add_u32_e32 v11, s26, v11
	v_cmp_le_i32_e32 vcc, s23, v11
	v_mov_b32_e32 v8, s59
	s_or_b64 s[16:17], vcc, s[16:17]
	v_add_co_u32_e32 v6, vcc, s58, v6
	v_addc_co_u32_e32 v7, vcc, v7, v8, vcc
	s_andn2_b64 exec, exec, s[16:17]
	s_cbranch_execz .LBB4_111
.LBB4_107:                              ;   Parent Loop BB4_45 Depth=1
                                        ; =>  This Loop Header: Depth=2
                                        ;       Child Loop BB4_109 Depth 3
	v_cmp_lt_i32_e32 vcc, 0, v11
	s_and_saveexec_b64 s[18:19], vcc
	s_cbranch_execz .LBB4_106
; %bb.108:                              ;   in Loop: Header=BB4_107 Depth=2
	v_mov_b32_e32 v9, v7
	s_mov_b32 s64, 0
	s_mov_b64 s[62:63], 0
	v_mov_b32_e32 v8, v6
.LBB4_109:                              ;   Parent Loop BB4_45 Depth=1
                                        ;     Parent Loop BB4_107 Depth=2
                                        ; =>    This Inner Loop Header: Depth=3
	global_load_dword v12, v[8:9], off
	v_mov_b32_e32 v13, s61
	v_add_co_u32_e32 v8, vcc, s60, v8
	s_add_i32 s64, s64, 1
	v_addc_co_u32_e32 v9, vcc, v9, v13, vcc
	v_cmp_eq_u32_e32 vcc, s64, v11
	s_or_b64 s[62:63], vcc, s[62:63]
	s_waitcnt vmcnt(0)
	v_mul_f32_e32 v12, v12, v12
	v_fmac_f32_e32 v2, 2.0, v12
	s_andn2_b64 exec, exec, s[62:63]
	s_cbranch_execnz .LBB4_109
; %bb.110:                              ;   in Loop: Header=BB4_107 Depth=2
	s_or_b64 exec, exec, s[62:63]
	s_branch .LBB4_106
.LBB4_111:                              ;   in Loop: Header=BB4_45 Depth=1
	s_or_b64 exec, exec, s[16:17]
.LBB4_112:                              ;   in Loop: Header=BB4_45 Depth=1
	s_or_b64 exec, exec, s[14:15]
	ds_write_b32 v17, v2
.LBB4_113:                              ;   in Loop: Header=BB4_45 Depth=1
	s_or_b64 exec, exec, s[12:13]
	s_andn2_b64 vcc, exec, s[24:25]
	s_waitcnt lgkmcnt(0)
	s_barrier
	s_cbranch_vccnz .LBB4_43
; %bb.114:                              ;   in Loop: Header=BB4_45 Depth=1
	s_mov_b32 s12, 0
	s_andn2_b64 vcc, exec, s[50:51]
	s_cbranch_vccnz .LBB4_118
; %bb.115:                              ;   in Loop: Header=BB4_45 Depth=1
	s_mov_b32 s13, 0
	v_mov_b32_e32 v2, 0
.LBB4_116:                              ;   Parent Loop BB4_45 Depth=1
                                        ; =>  This Inner Loop Header: Depth=2
	v_mov_b32_e32 v11, s13
	ds_read2_b64 v[6:9], v11 offset1:1
	ds_read2_b64 v[11:14], v11 offset0:2 offset1:3
	s_add_i32 s12, s12, 8
	s_add_i32 s13, s13, 32
	s_cmp_lg_u32 s81, s12
	s_waitcnt lgkmcnt(1)
	v_add_f32_e32 v2, v2, v6
	v_add_f32_e32 v2, v2, v7
	;; [unrolled: 1-line block ×4, first 2 shown]
	s_waitcnt lgkmcnt(0)
	v_add_f32_e32 v2, v2, v11
	v_add_f32_e32 v2, v2, v12
	;; [unrolled: 1-line block ×4, first 2 shown]
	s_cbranch_scc1 .LBB4_116
; %bb.117:                              ;   in Loop: Header=BB4_45 Depth=1
	s_mov_b32 s12, s81
	s_andn2_b64 vcc, exec, s[52:53]
	s_cbranch_vccz .LBB4_119
	s_branch .LBB4_44
.LBB4_118:                              ;   in Loop: Header=BB4_45 Depth=1
	v_mov_b32_e32 v2, 0
	s_andn2_b64 vcc, exec, s[52:53]
	s_cbranch_vccnz .LBB4_44
.LBB4_119:                              ;   in Loop: Header=BB4_45 Depth=1
	s_lshl_b32 s12, s12, 2
	s_add_i32 s12, s12, 0
	s_mov_b32 s13, s80
.LBB4_120:                              ;   Parent Loop BB4_45 Depth=1
                                        ; =>  This Inner Loop Header: Depth=2
	v_mov_b32_e32 v6, s12
	ds_read_b32 v6, v6
	s_add_i32 s12, s12, 4
	s_add_i32 s13, s13, -1
	s_cmp_lg_u32 s13, 0
	s_waitcnt lgkmcnt(0)
	v_add_f32_e32 v2, v2, v6
	s_cbranch_scc1 .LBB4_120
	s_branch .LBB4_44
.LBB4_121:
	s_mul_i32 s2, s40, s47
	s_mul_hi_u32 s3, s40, s46
	s_add_i32 s2, s3, s2
	s_mul_i32 s3, s41, s46
	s_add_i32 s7, s2, s3
	s_mul_i32 s6, s40, s46
	s_and_saveexec_b64 s[8:9], s[0:1]
	s_cbranch_execz .LBB4_127
; %bb.122:
	v_cmp_eq_u32_e32 vcc, 0, v1
	s_and_saveexec_b64 s[10:11], vcc
	s_cbranch_execz .LBB4_124
; %bb.123:
	s_load_dwordx2 s[2:3], s[4:5], 0x30
	s_lshl_b64 s[4:5], s[46:47], 2
	s_mov_b32 s16, 0xf800000
	v_mul_f32_e32 v3, 0x4f800000, v2
	v_cmp_gt_f32_e32 vcc, s16, v2
	s_waitcnt lgkmcnt(0)
	s_add_u32 s12, s2, s4
	s_addc_u32 s13, s3, s5
	v_cndmask_b32_e32 v2, v2, v3, vcc
	s_add_u32 s14, s36, s4
	v_sqrt_f32_e32 v3, v2
	s_addc_u32 s15, s37, s5
	s_add_u32 s4, s42, s4
	s_addc_u32 s5, s43, s5
	s_cmp_gt_i32 s74, s22
	v_add_u32_e32 v5, -1, v3
	s_cselect_b64 s[2:3], -1, 0
	v_fma_f32 v6, -v5, v3, v2
	v_cndmask_b32_e64 v4, 0, 1, s[2:3]
	v_cmp_ge_f32_e64 s[2:3], 0, v6
	v_add_u32_e32 v6, 1, v3
	v_cndmask_b32_e64 v5, v3, v5, s[2:3]
	v_fma_f32 v3, -v6, v3, v2
	v_cmp_lt_f32_e64 s[2:3], 0, v3
	v_cndmask_b32_e64 v3, v5, v6, s[2:3]
	v_mul_f32_e32 v5, 0x37800000, v3
	v_cndmask_b32_e32 v3, v3, v5, vcc
	v_mov_b32_e32 v5, 0x260
	v_cmp_class_f32_e32 vcc, v2, v5
	v_mov_b32_e32 v0, 0
	s_min_i32 s16, s74, s22
	v_cndmask_b32_e32 v2, v3, v2, vcc
	global_store_dword v0, v2, s[12:13]
	v_mov_b32_e32 v2, s16
	global_store_dword v0, v2, s[14:15]
	global_store_dword v0, v4, s[4:5]
.LBB4_124:
	s_or_b64 exec, exec, s[10:11]
	v_cmp_gt_i32_e32 vcc, s23, v1
	s_and_b64 exec, exec, vcc
	s_cbranch_execz .LBB4_127
; %bb.125:
	s_add_i32 s10, s23, 1
	s_lshl_b64 s[2:3], s[6:7], 2
	s_add_u32 s2, s38, s2
	v_ashrrev_i32_e32 v2, 31, v1
	s_addc_u32 s3, s39, s3
	s_ashr_i32 s35, s34, 31
	v_mov_b32_e32 v4, s34
	v_lshlrev_b64 v[2:3], 2, v[1:2]
	s_ashr_i32 s31, s30, 31
	v_mov_b32_e32 v5, s35
	v_cmp_lt_i64_e32 vcc, s[30:31], v[4:5]
	v_mov_b32_e32 v0, s3
	v_add_co_u32_e64 v2, s[2:3], s2, v2
	v_addc_co_u32_e64 v3, s[2:3], v0, v3, s[2:3]
	s_and_b64 s[2:3], vcc, exec
	v_mad_u64_u32 v[4:5], s[4:5], v1, s23, v[1:2]
	s_cselect_b32 s3, s31, s35
	s_cselect_b32 s2, s30, s34
	s_lshl_b64 s[2:3], s[2:3], 2
	s_mul_i32 s10, s26, s10
	s_mov_b64 s[4:5], 0
	v_mov_b32_e32 v0, s45
	v_mov_b32_e32 v6, s3
	;; [unrolled: 1-line block ×3, first 2 shown]
.LBB4_126:                              ; =>This Inner Loop Header: Depth=1
	v_ashrrev_i32_e32 v5, 31, v4
	v_lshlrev_b64 v[8:9], 2, v[4:5]
	v_add_u32_e32 v7, s26, v7
	v_add_co_u32_e32 v8, vcc, s44, v8
	v_addc_co_u32_e32 v9, vcc, v0, v9, vcc
	global_load_dword v5, v[8:9], off
	v_cmp_le_i32_e32 vcc, s23, v7
	s_or_b64 s[4:5], vcc, s[4:5]
	v_add_u32_e32 v4, s10, v4
	s_waitcnt vmcnt(0)
	global_store_dword v[2:3], v5, off
	v_add_co_u32_e32 v2, vcc, s2, v2
	v_addc_co_u32_e32 v3, vcc, v3, v6, vcc
	s_andn2_b64 exec, exec, s[4:5]
	s_cbranch_execnz .LBB4_126
.LBB4_127:
	s_or_b64 exec, exec, s[8:9]
	s_cmpk_eq_i32 s20, 0xfb
	s_cselect_b64 s[2:3], -1, 0
	s_cmp_lt_i32 s23, 2
	s_cselect_b64 s[4:5], -1, 0
	s_or_b64 s[2:3], s[2:3], s[4:5]
	s_and_b64 vcc, exec, s[2:3]
	s_waitcnt vmcnt(0)
	s_barrier
	s_cbranch_vccnz .LBB4_138
; %bb.128:
	s_lshl_b64 s[2:3], s[6:7], 2
	s_add_u32 s20, s38, s2
	s_addc_u32 s22, s39, s3
	s_cmpk_lg_i32 s21, 0xd5
	s_cselect_b64 s[2:3], -1, 0
	v_cmp_gt_i32_e32 vcc, s23, v1
	s_and_b64 s[8:9], s[2:3], vcc
	s_add_i32 s21, s23, -2
	s_add_u32 s10, s20, 4
	s_addc_u32 s11, s22, 0
	s_ashr_i32 s35, s34, 31
	v_mov_b32_e32 v2, s34
	s_ashr_i32 s31, s30, 31
	v_mov_b32_e32 v3, s35
	v_cmp_lt_i64_e64 s[2:3], s[30:31], v[2:3]
	s_mov_b32 s7, 0
	s_and_b64 s[2:3], s[2:3], exec
	s_cselect_b32 s3, s31, s35
	s_cselect_b32 s2, s30, s34
	v_cmp_eq_u32_e32 vcc, 0, v1
	s_lshl_b64 s[12:13], s[2:3], 2
	v_mov_b32_e32 v0, 0
	v_mov_b32_e32 v2, v1
	s_mov_b32 s6, s7
	s_branch .LBB4_130
.LBB4_129:                              ;   in Loop: Header=BB4_130 Depth=1
	s_or_b64 exec, exec, s[14:15]
	s_add_u32 s10, s10, 4
	s_addc_u32 s11, s11, 0
	v_add_u32_e32 v2, s27, v2
	s_cmp_lg_u32 s6, s21
	s_mov_b32 s6, s24
	s_waitcnt vmcnt(0)
	s_barrier
	s_cbranch_scc0 .LBB4_138
.LBB4_130:                              ; =>This Loop Header: Depth=1
                                        ;     Child Loop BB4_131 Depth 2
                                        ;     Child Loop BB4_137 Depth 2
	s_lshl_b64 s[2:3], s[6:7], 2
	s_add_u32 s16, s20, s2
	s_addc_u32 s17, s22, s3
	global_load_dword v3, v0, s[16:17]
	s_add_i32 s24, s6, 1
	s_mov_b64 s[14:15], s[10:11]
	s_mov_b32 s4, s6
	s_mov_b32 s5, s24
.LBB4_131:                              ;   Parent Loop BB4_130 Depth=1
                                        ; =>  This Inner Loop Header: Depth=2
	global_load_dword v4, v0, s[14:15]
	s_waitcnt vmcnt(0)
	v_cmp_lt_f32_e64 s[2:3], v4, v3
	v_cndmask_b32_e64 v3, v3, v4, s[2:3]
	s_and_b64 s[2:3], s[2:3], exec
	s_cselect_b32 s4, s5, s4
	s_add_i32 s5, s5, 1
	s_add_u32 s14, s14, 4
	s_addc_u32 s15, s15, 0
	s_cmp_lg_u32 s23, s5
	s_cbranch_scc1 .LBB4_131
; %bb.132:                              ;   in Loop: Header=BB4_130 Depth=1
	s_cmp_lg_u32 s4, s6
	s_cselect_b64 s[2:3], -1, 0
	s_and_b64 s[2:3], s[0:1], s[2:3]
	s_barrier
	s_and_saveexec_b64 s[14:15], s[2:3]
	s_cbranch_execz .LBB4_129
; %bb.133:                              ;   in Loop: Header=BB4_130 Depth=1
	s_and_saveexec_b64 s[2:3], vcc
	s_cbranch_execz .LBB4_135
; %bb.134:                              ;   in Loop: Header=BB4_130 Depth=1
	global_load_dword v4, v0, s[16:17]
	s_ashr_i32 s5, s4, 31
	s_lshl_b64 s[18:19], s[4:5], 2
	s_add_u32 s18, s20, s18
	s_addc_u32 s19, s22, s19
	s_waitcnt vmcnt(0)
	global_store_dword v0, v4, s[18:19]
	global_store_dword v0, v3, s[16:17]
.LBB4_135:                              ;   in Loop: Header=BB4_130 Depth=1
	s_or_b64 exec, exec, s[2:3]
	s_and_b64 exec, exec, s[8:9]
	s_cbranch_execz .LBB4_129
; %bb.136:                              ;   in Loop: Header=BB4_130 Depth=1
	s_mul_i32 s2, s4, s27
	v_add_u32_e32 v5, s2, v1
	v_ashrrev_i32_e32 v3, 31, v2
	v_ashrrev_i32_e32 v6, 31, v5
	v_lshlrev_b64 v[3:4], 2, v[2:3]
	v_lshlrev_b64 v[5:6], 2, v[5:6]
	s_mov_b64 s[16:17], 0
	s_mov_b64 s[18:19], s[28:29]
	v_mov_b32_e32 v7, v1
.LBB4_137:                              ;   Parent Loop BB4_130 Depth=1
                                        ; =>  This Inner Loop Header: Depth=2
	v_mov_b32_e32 v9, s19
	v_add_co_u32_e64 v8, s[2:3], s18, v3
	v_add_co_u32_e64 v10, s[4:5], s18, v5
	v_addc_co_u32_e64 v11, s[4:5], v9, v6, s[4:5]
	v_addc_co_u32_e64 v9, s[2:3], v9, v4, s[2:3]
	global_load_dword v12, v[8:9], off
	global_load_dword v13, v[10:11], off
	v_add_u32_e32 v7, s26, v7
	s_add_u32 s18, s18, s12
	s_addc_u32 s19, s19, s13
	v_cmp_le_i32_e64 s[2:3], s23, v7
	s_or_b64 s[16:17], s[2:3], s[16:17]
	s_waitcnt vmcnt(1)
	global_store_dword v[10:11], v12, off
	s_waitcnt vmcnt(1)
	global_store_dword v[8:9], v13, off
	s_andn2_b64 exec, exec, s[16:17]
	s_cbranch_execnz .LBB4_137
	s_branch .LBB4_129
.LBB4_138:
	s_endpgm
	.section	.rodata,"a",@progbits
	.p2align	6, 0x0
	.amdhsa_kernel _ZN9rocsolver6v33100L18syevj_small_kernelIffPfEEv14rocblas_esort_14rocblas_evect_13rocblas_fill_iT1_iilT0_S7_PS7_iPiS8_lS9_PT_
		.amdhsa_group_segment_fixed_size 0
		.amdhsa_private_segment_fixed_size 0
		.amdhsa_kernarg_size 104
		.amdhsa_user_sgpr_count 6
		.amdhsa_user_sgpr_private_segment_buffer 1
		.amdhsa_user_sgpr_dispatch_ptr 0
		.amdhsa_user_sgpr_queue_ptr 0
		.amdhsa_user_sgpr_kernarg_segment_ptr 1
		.amdhsa_user_sgpr_dispatch_id 0
		.amdhsa_user_sgpr_flat_scratch_init 0
		.amdhsa_user_sgpr_private_segment_size 0
		.amdhsa_uses_dynamic_stack 0
		.amdhsa_system_sgpr_private_segment_wavefront_offset 0
		.amdhsa_system_sgpr_workgroup_id_x 1
		.amdhsa_system_sgpr_workgroup_id_y 0
		.amdhsa_system_sgpr_workgroup_id_z 1
		.amdhsa_system_sgpr_workgroup_info 0
		.amdhsa_system_vgpr_workitem_id 0
		.amdhsa_next_free_vgpr 36
		.amdhsa_next_free_sgpr 84
		.amdhsa_reserve_vcc 1
		.amdhsa_reserve_flat_scratch 0
		.amdhsa_float_round_mode_32 0
		.amdhsa_float_round_mode_16_64 0
		.amdhsa_float_denorm_mode_32 3
		.amdhsa_float_denorm_mode_16_64 3
		.amdhsa_dx10_clamp 1
		.amdhsa_ieee_mode 1
		.amdhsa_fp16_overflow 0
		.amdhsa_exception_fp_ieee_invalid_op 0
		.amdhsa_exception_fp_denorm_src 0
		.amdhsa_exception_fp_ieee_div_zero 0
		.amdhsa_exception_fp_ieee_overflow 0
		.amdhsa_exception_fp_ieee_underflow 0
		.amdhsa_exception_fp_ieee_inexact 0
		.amdhsa_exception_int_div_zero 0
	.end_amdhsa_kernel
	.section	.text._ZN9rocsolver6v33100L18syevj_small_kernelIffPfEEv14rocblas_esort_14rocblas_evect_13rocblas_fill_iT1_iilT0_S7_PS7_iPiS8_lS9_PT_,"axG",@progbits,_ZN9rocsolver6v33100L18syevj_small_kernelIffPfEEv14rocblas_esort_14rocblas_evect_13rocblas_fill_iT1_iilT0_S7_PS7_iPiS8_lS9_PT_,comdat
.Lfunc_end4:
	.size	_ZN9rocsolver6v33100L18syevj_small_kernelIffPfEEv14rocblas_esort_14rocblas_evect_13rocblas_fill_iT1_iilT0_S7_PS7_iPiS8_lS9_PT_, .Lfunc_end4-_ZN9rocsolver6v33100L18syevj_small_kernelIffPfEEv14rocblas_esort_14rocblas_evect_13rocblas_fill_iT1_iilT0_S7_PS7_iPiS8_lS9_PT_
                                        ; -- End function
	.set _ZN9rocsolver6v33100L18syevj_small_kernelIffPfEEv14rocblas_esort_14rocblas_evect_13rocblas_fill_iT1_iilT0_S7_PS7_iPiS8_lS9_PT_.num_vgpr, 36
	.set _ZN9rocsolver6v33100L18syevj_small_kernelIffPfEEv14rocblas_esort_14rocblas_evect_13rocblas_fill_iT1_iilT0_S7_PS7_iPiS8_lS9_PT_.num_agpr, 0
	.set _ZN9rocsolver6v33100L18syevj_small_kernelIffPfEEv14rocblas_esort_14rocblas_evect_13rocblas_fill_iT1_iilT0_S7_PS7_iPiS8_lS9_PT_.numbered_sgpr, 84
	.set _ZN9rocsolver6v33100L18syevj_small_kernelIffPfEEv14rocblas_esort_14rocblas_evect_13rocblas_fill_iT1_iilT0_S7_PS7_iPiS8_lS9_PT_.num_named_barrier, 0
	.set _ZN9rocsolver6v33100L18syevj_small_kernelIffPfEEv14rocblas_esort_14rocblas_evect_13rocblas_fill_iT1_iilT0_S7_PS7_iPiS8_lS9_PT_.private_seg_size, 0
	.set _ZN9rocsolver6v33100L18syevj_small_kernelIffPfEEv14rocblas_esort_14rocblas_evect_13rocblas_fill_iT1_iilT0_S7_PS7_iPiS8_lS9_PT_.uses_vcc, 1
	.set _ZN9rocsolver6v33100L18syevj_small_kernelIffPfEEv14rocblas_esort_14rocblas_evect_13rocblas_fill_iT1_iilT0_S7_PS7_iPiS8_lS9_PT_.uses_flat_scratch, 0
	.set _ZN9rocsolver6v33100L18syevj_small_kernelIffPfEEv14rocblas_esort_14rocblas_evect_13rocblas_fill_iT1_iilT0_S7_PS7_iPiS8_lS9_PT_.has_dyn_sized_stack, 0
	.set _ZN9rocsolver6v33100L18syevj_small_kernelIffPfEEv14rocblas_esort_14rocblas_evect_13rocblas_fill_iT1_iilT0_S7_PS7_iPiS8_lS9_PT_.has_recursion, 0
	.set _ZN9rocsolver6v33100L18syevj_small_kernelIffPfEEv14rocblas_esort_14rocblas_evect_13rocblas_fill_iT1_iilT0_S7_PS7_iPiS8_lS9_PT_.has_indirect_call, 0
	.section	.AMDGPU.csdata,"",@progbits
; Kernel info:
; codeLenInByte = 6268
; TotalNumSgprs: 88
; NumVgprs: 36
; ScratchSize: 0
; MemoryBound: 0
; FloatMode: 240
; IeeeMode: 1
; LDSByteSize: 0 bytes/workgroup (compile time only)
; SGPRBlocks: 10
; VGPRBlocks: 8
; NumSGPRsForWavesPerEU: 88
; NumVGPRsForWavesPerEU: 36
; Occupancy: 7
; WaveLimiterHint : 0
; COMPUTE_PGM_RSRC2:SCRATCH_EN: 0
; COMPUTE_PGM_RSRC2:USER_SGPR: 6
; COMPUTE_PGM_RSRC2:TRAP_HANDLER: 0
; COMPUTE_PGM_RSRC2:TGID_X_EN: 1
; COMPUTE_PGM_RSRC2:TGID_Y_EN: 0
; COMPUTE_PGM_RSRC2:TGID_Z_EN: 1
; COMPUTE_PGM_RSRC2:TIDIG_COMP_CNT: 0
	.section	.text._ZN9rocsolver6v33100L10syevj_initIffPfEEv14rocblas_evect_13rocblas_fill_iiT1_iilT0_PS6_PT_S7_PiSA_SA_,"axG",@progbits,_ZN9rocsolver6v33100L10syevj_initIffPfEEv14rocblas_evect_13rocblas_fill_iiT1_iilT0_PS6_PT_S7_PiSA_SA_,comdat
	.globl	_ZN9rocsolver6v33100L10syevj_initIffPfEEv14rocblas_evect_13rocblas_fill_iiT1_iilT0_PS6_PT_S7_PiSA_SA_ ; -- Begin function _ZN9rocsolver6v33100L10syevj_initIffPfEEv14rocblas_evect_13rocblas_fill_iiT1_iilT0_PS6_PT_S7_PiSA_SA_
	.p2align	8
	.type	_ZN9rocsolver6v33100L10syevj_initIffPfEEv14rocblas_evect_13rocblas_fill_iiT1_iilT0_PS6_PT_S7_PiSA_SA_,@function
_ZN9rocsolver6v33100L10syevj_initIffPfEEv14rocblas_evect_13rocblas_fill_iiT1_iilT0_PS6_PT_S7_PiSA_SA_: ; @_ZN9rocsolver6v33100L10syevj_initIffPfEEv14rocblas_evect_13rocblas_fill_iiT1_iilT0_PS6_PT_S7_PiSA_SA_
; %bb.0:
	s_load_dword s2, s[4:5], 0x6c
	s_load_dwordx8 s[8:15], s[4:5], 0x0
	s_load_dwordx4 s[24:27], s[4:5], 0x50
	s_load_dwordx2 s[0:1], s[4:5], 0x20
	s_load_dwordx8 s[16:23], s[4:5], 0x30
	s_mov_b32 s6, s7
	s_ashr_i32 s7, s7, 31
	s_waitcnt lgkmcnt(0)
	s_and_b32 s33, s2, 0xffff
	s_mul_hi_u32 s2, s0, s6
	s_mul_i32 s3, s0, s7
	s_add_i32 s2, s2, s3
	s_mul_i32 s1, s1, s6
	s_add_i32 s1, s2, s1
	s_mul_i32 s0, s0, s6
	s_ashr_i32 s29, s14, 31
	s_lshl_b64 s[2:3], s[0:1], 2
	s_mov_b32 s28, s14
	s_add_u32 s0, s12, s2
	s_addc_u32 s1, s13, s3
	s_lshl_b64 s[36:37], s[28:29], 2
	s_add_u32 s14, s0, s36
	s_mul_i32 s0, s11, s6
	s_mul_i32 s0, s0, s11
	s_addc_u32 s42, s1, s37
	s_ashr_i32 s1, s0, 31
	s_lshl_b64 s[28:29], s[0:1], 2
	s_add_u32 s43, s18, s28
	s_addc_u32 s44, s19, s29
	s_cmpk_eq_i32 s9, 0x79
	v_cmp_gt_i32_e64 s[0:1], s11, v0
	s_cbranch_scc1 .LBB5_12
; %bb.1:
	v_mov_b32_e32 v15, 0
	v_mov_b32_e32 v14, 0
	s_and_saveexec_b64 s[30:31], s[0:1]
	s_cbranch_execz .LBB5_14
; %bb.2:
	s_add_i32 s9, s11, 1
	s_cmpk_lg_i32 s8, 0xd5
	s_cselect_b64 s[38:39], -1, 0
	s_add_u32 s46, s18, s28
	s_addc_u32 s47, s19, s29
	s_ashr_i32 s35, s11, 31
	s_mov_b32 s34, s11
	s_lshl_b32 s49, s33, 2
	s_lshl_b64 s[34:35], s[34:35], 2
	s_add_u32 s2, s2, s36
	v_lshlrev_b32_e32 v2, 2, v0
	s_addc_u32 s3, s3, s37
	v_mul_lo_u32 v16, v0, s15
	v_mul_lo_u32 v1, v0, s11
	v_mov_b32_e32 v4, s47
	v_add_co_u32_e32 v3, vcc, s46, v2
	s_add_u32 s2, s12, s2
	v_addc_co_u32_e32 v4, vcc, 0, v4, vcc
	s_addc_u32 s3, s13, s3
	v_mov_b32_e32 v6, s3
	v_add_co_u32_e32 v5, vcc, s2, v2
	s_ashr_i32 s3, s15, 31
	s_mov_b32 s2, s15
	v_cndmask_b32_e64 v2, 0, 1, s[38:39]
	s_mul_i32 s45, s15, s33
	s_mul_i32 s48, s11, s33
	v_mov_b32_e32 v17, 0
	v_addc_co_u32_e32 v6, vcc, 0, v6, vcc
	s_lshl_b64 s[36:37], s[2:3], 2
	s_mov_b64 s[12:13], 0
	v_mov_b32_e32 v18, s42
	v_mov_b32_e32 v19, s44
	v_cmp_ne_u32_e64 s[2:3], 1, v2
	v_mov_b32_e32 v20, 1.0
	v_mov_b32_e32 v15, 0
	v_mov_b32_e32 v14, 0
	v_mov_b32_e32 v7, v0
	s_branch .LBB5_5
.LBB5_3:                                ;   in Loop: Header=BB5_5 Depth=1
	s_or_b64 exec, exec, s[40:41]
.LBB5_4:                                ;   in Loop: Header=BB5_5 Depth=1
	s_or_b64 exec, exec, s[38:39]
	v_add_co_u32_e32 v3, vcc, s49, v3
	v_add_u32_e32 v7, s33, v7
	v_addc_co_u32_e32 v4, vcc, 0, v4, vcc
	v_cmp_le_i32_e32 vcc, s11, v7
	s_or_b64 s[12:13], vcc, s[12:13]
	v_add_co_u32_e32 v5, vcc, s49, v5
	v_fmac_f32_e32 v15, v21, v21
	v_add_u32_e32 v16, s45, v16
	v_add_u32_e32 v1, s48, v1
	v_addc_co_u32_e32 v6, vcc, 0, v6, vcc
	s_andn2_b64 exec, exec, s[12:13]
	s_cbranch_execz .LBB5_13
.LBB5_5:                                ; =>This Loop Header: Depth=1
                                        ;     Child Loop BB5_10 Depth 2
	v_mad_u64_u32 v[8:9], s[38:39], v7, s15, v[7:8]
	v_mul_lo_u32 v10, v7, s9
	v_ashrrev_i32_e32 v9, 31, v8
	v_lshlrev_b64 v[8:9], 2, v[8:9]
	v_ashrrev_i32_e32 v11, 31, v10
	v_add_co_u32_e32 v8, vcc, s14, v8
	v_addc_co_u32_e32 v9, vcc, v18, v9, vcc
	global_load_dword v21, v[8:9], off
	v_lshlrev_b64 v[10:11], 2, v[10:11]
	v_add_co_u32_e32 v10, vcc, s43, v10
	v_addc_co_u32_e32 v11, vcc, v19, v11, vcc
	s_and_b64 vcc, exec, s[2:3]
	s_waitcnt vmcnt(0)
	global_store_dword v[10:11], v21, off
	s_cbranch_vccnz .LBB5_7
; %bb.6:                                ;   in Loop: Header=BB5_5 Depth=1
	global_store_dword v[8:9], v20, off
.LBB5_7:                                ;   in Loop: Header=BB5_5 Depth=1
	v_cmp_ne_u32_e32 vcc, 0, v7
	s_and_saveexec_b64 s[38:39], vcc
	s_cbranch_execz .LBB5_4
; %bb.8:                                ;   in Loop: Header=BB5_5 Depth=1
	v_ashrrev_i32_e32 v2, 31, v1
	v_lshlrev_b64 v[8:9], 2, v[1:2]
	v_mov_b32_e32 v2, s47
	v_add_co_u32_e32 v8, vcc, s46, v8
	v_mov_b32_e32 v11, v6
	v_mov_b32_e32 v13, v4
	v_addc_co_u32_e32 v9, vcc, v2, v9, vcc
	s_mov_b32 s50, 0
	s_mov_b64 s[40:41], 0
	v_mov_b32_e32 v10, v5
	v_mov_b32_e32 v12, v3
	s_branch .LBB5_10
.LBB5_9:                                ;   in Loop: Header=BB5_10 Depth=2
	v_add_co_u32_e32 v8, vcc, 4, v8
	v_mul_f32_e32 v2, v2, v2
	v_addc_co_u32_e32 v9, vcc, 0, v9, vcc
	v_fmac_f32_e32 v14, 2.0, v2
	v_mov_b32_e32 v2, s35
	v_add_co_u32_e32 v12, vcc, s34, v12
	s_add_i32 s50, s50, 1
	v_addc_co_u32_e32 v13, vcc, v13, v2, vcc
	v_cmp_eq_u32_e32 vcc, s50, v7
	v_mov_b32_e32 v2, s37
	s_or_b64 s[40:41], vcc, s[40:41]
	v_add_co_u32_e32 v10, vcc, s36, v10
	v_addc_co_u32_e32 v11, vcc, v11, v2, vcc
	s_andn2_b64 exec, exec, s[40:41]
	s_cbranch_execz .LBB5_3
.LBB5_10:                               ;   Parent Loop BB5_5 Depth=1
                                        ; =>  This Inner Loop Header: Depth=2
	global_load_dword v2, v[10:11], off
	s_and_b64 vcc, exec, s[2:3]
	s_waitcnt vmcnt(0)
	global_store_dword v[12:13], v2, off
	global_store_dword v[8:9], v2, off
	s_cbranch_vccnz .LBB5_9
; %bb.11:                               ;   in Loop: Header=BB5_10 Depth=2
	v_add_u32_e32 v22, s50, v16
	v_ashrrev_i32_e32 v23, 31, v22
	v_lshlrev_b64 v[22:23], 2, v[22:23]
	v_mov_b32_e32 v24, s42
	v_add_co_u32_e32 v22, vcc, s14, v22
	v_addc_co_u32_e32 v23, vcc, v24, v23, vcc
	global_store_dword v[10:11], v17, off
	global_store_dword v[22:23], v17, off
	s_branch .LBB5_9
.LBB5_12:
                                        ; implicit-def: $vgpr15
                                        ; implicit-def: $vgpr14
	s_branch .LBB5_15
.LBB5_13:
	s_or_b64 exec, exec, s[12:13]
.LBB5_14:
	s_or_b64 exec, exec, s[30:31]
	s_cbranch_execnz .LBB5_28
.LBB5_15:
	v_mov_b32_e32 v15, 0
	v_mov_b32_e32 v14, 0
	s_and_saveexec_b64 s[12:13], s[0:1]
	s_cbranch_execz .LBB5_27
; %bb.16:
	s_add_i32 s30, s11, 1
	s_cmpk_lg_i32 s8, 0xd5
	v_mul_lo_u32 v1, s11, v0
	s_cselect_b64 s[0:1], -1, 0
	s_add_i32 s31, s11, -1
	v_mul_lo_u32 v13, v0, s15
	s_mul_i32 s2, s15, s31
	v_add_u32_e32 v11, s2, v0
	s_mul_i32 s2, s11, s31
	s_add_u32 s34, s18, s28
	v_cndmask_b32_e64 v2, 0, 1, s[0:1]
	v_add_u32_e32 v12, s2, v0
	s_addc_u32 s35, s19, s29
	v_add_u32_e32 v1, s31, v1
	s_mul_i32 s36, s11, s33
	s_mul_i32 s37, s15, s33
	v_mov_b32_e32 v16, 0
	s_mov_b64 s[8:9], 0
	v_mov_b32_e32 v17, s42
	v_mov_b32_e32 v18, s44
	v_cmp_ne_u32_e64 s[0:1], 1, v2
	v_mov_b32_e32 v19, 1.0
	v_mov_b32_e32 v15, 0
	v_mov_b32_e32 v14, 0
	;; [unrolled: 1-line block ×3, first 2 shown]
	s_branch .LBB5_19
.LBB5_17:                               ;   in Loop: Header=BB5_19 Depth=1
	s_or_b64 exec, exec, s[28:29]
.LBB5_18:                               ;   in Loop: Header=BB5_19 Depth=1
	s_or_b64 exec, exec, s[18:19]
	v_add_u32_e32 v3, s33, v3
	v_cmp_le_i32_e32 vcc, s11, v3
	v_fmac_f32_e32 v15, v20, v20
	v_add_u32_e32 v11, s33, v11
	v_add_u32_e32 v12, s33, v12
	;; [unrolled: 1-line block ×3, first 2 shown]
	s_or_b64 s[8:9], vcc, s[8:9]
	v_add_u32_e32 v13, s37, v13
	s_andn2_b64 exec, exec, s[8:9]
	s_cbranch_execz .LBB5_26
.LBB5_19:                               ; =>This Loop Header: Depth=1
                                        ;     Child Loop BB5_24 Depth 2
	v_mad_u64_u32 v[4:5], s[2:3], v3, s15, v[3:4]
	v_mul_lo_u32 v6, v3, s30
	v_ashrrev_i32_e32 v5, 31, v4
	v_lshlrev_b64 v[4:5], 2, v[4:5]
	v_ashrrev_i32_e32 v7, 31, v6
	v_add_co_u32_e32 v4, vcc, s14, v4
	v_addc_co_u32_e32 v5, vcc, v17, v5, vcc
	global_load_dword v20, v[4:5], off
	v_lshlrev_b64 v[6:7], 2, v[6:7]
	v_add_co_u32_e32 v6, vcc, s43, v6
	v_addc_co_u32_e32 v7, vcc, v18, v7, vcc
	s_and_b64 vcc, exec, s[0:1]
	s_waitcnt vmcnt(0)
	global_store_dword v[6:7], v20, off
	s_cbranch_vccnz .LBB5_21
; %bb.20:                               ;   in Loop: Header=BB5_19 Depth=1
	global_store_dword v[4:5], v19, off
.LBB5_21:                               ;   in Loop: Header=BB5_19 Depth=1
	v_cmp_gt_i32_e32 vcc, s31, v3
	s_and_saveexec_b64 s[18:19], vcc
	s_cbranch_execz .LBB5_18
; %bb.22:                               ;   in Loop: Header=BB5_19 Depth=1
	v_ashrrev_i32_e32 v2, 31, v1
	v_lshlrev_b64 v[4:5], 2, v[1:2]
	v_mov_b32_e32 v2, s35
	v_add_co_u32_e32 v4, vcc, s34, v4
	v_addc_co_u32_e32 v5, vcc, v2, v5, vcc
	s_mov_b64 s[28:29], 0
	v_mov_b32_e32 v6, v12
	v_mov_b32_e32 v8, v11
	s_mov_b32 s38, s31
	s_branch .LBB5_24
.LBB5_23:                               ;   in Loop: Header=BB5_24 Depth=2
	s_add_i32 s38, s38, -1
	v_cmp_le_i32_e32 vcc, s38, v3
	v_mul_f32_e32 v2, v2, v2
	s_or_b64 s[28:29], vcc, s[28:29]
	v_add_co_u32_e32 v4, vcc, -4, v4
	v_fmac_f32_e32 v14, 2.0, v2
	v_subrev_u32_e32 v8, s15, v8
	v_subrev_u32_e32 v6, s11, v6
	v_addc_co_u32_e32 v5, vcc, -1, v5, vcc
	s_andn2_b64 exec, exec, s[28:29]
	s_cbranch_execz .LBB5_17
.LBB5_24:                               ;   Parent Loop BB5_19 Depth=1
                                        ; =>  This Inner Loop Header: Depth=2
	v_ashrrev_i32_e32 v9, 31, v8
	v_lshlrev_b64 v[9:10], 2, v[8:9]
	v_ashrrev_i32_e32 v7, 31, v6
	v_add_co_u32_e32 v9, vcc, s14, v9
	v_addc_co_u32_e32 v10, vcc, v17, v10, vcc
	global_load_dword v2, v[9:10], off
	v_lshlrev_b64 v[21:22], 2, v[6:7]
	s_and_b64 vcc, exec, s[0:1]
	v_add_co_u32_e64 v21, s[2:3], s43, v21
	v_addc_co_u32_e64 v22, s[2:3], v18, v22, s[2:3]
	s_waitcnt vmcnt(0)
	global_store_dword v[21:22], v2, off
	global_store_dword v[4:5], v2, off
	s_cbranch_vccnz .LBB5_23
; %bb.25:                               ;   in Loop: Header=BB5_24 Depth=2
	v_add_u32_e32 v21, s38, v13
	v_ashrrev_i32_e32 v22, 31, v21
	v_lshlrev_b64 v[21:22], 2, v[21:22]
	v_mov_b32_e32 v7, s42
	v_add_co_u32_e32 v21, vcc, s14, v21
	v_addc_co_u32_e32 v22, vcc, v7, v22, vcc
	global_store_dword v[9:10], v16, off
	global_store_dword v[21:22], v16, off
	s_branch .LBB5_23
.LBB5_26:
	s_or_b64 exec, exec, s[8:9]
.LBB5_27:
	s_or_b64 exec, exec, s[12:13]
.LBB5_28:
	s_lshl_b32 s8, s33, 2
	v_lshlrev_b32_e32 v1, 2, v0
	s_add_i32 s0, s8, 0
	v_add_u32_e32 v2, 0, v1
	ds_write_b32 v2, v14
	v_add_u32_e32 v2, s0, v1
	v_cmp_eq_u32_e32 vcc, 0, v0
	ds_write_b32 v2, v15
	s_waitcnt vmcnt(0) lgkmcnt(0)
	s_barrier
	s_and_saveexec_b64 s[0:1], vcc
	s_cbranch_execz .LBB5_40
; %bb.29:
	s_min_i32 s3, s11, s33
	s_cmp_lt_i32 s3, 2
	s_cbranch_scc1 .LBB5_37
; %bb.30:
	s_add_i32 s2, s3, -1
	s_add_i32 s3, s3, -2
	s_cmp_lt_u32 s3, 7
	s_cbranch_scc1 .LBB5_34
; %bb.31:
	s_and_b32 s3, s2, -8
	s_mov_b32 s11, 0
	s_add_i32 s9, 0, 4
.LBB5_32:                               ; =>This Inner Loop Header: Depth=1
	s_add_i32 s13, s9, s8
	v_mov_b32_e32 v8, s9
	v_mov_b32_e32 v18, s13
	ds_read2_b32 v[2:3], v8 offset1:1
	ds_read2_b32 v[4:5], v8 offset0:2 offset1:3
	ds_read2_b32 v[6:7], v8 offset0:4 offset1:5
	;; [unrolled: 1-line block ×3, first 2 shown]
	ds_read2_b32 v[10:11], v18 offset1:1
	ds_read2_b32 v[12:13], v18 offset0:2 offset1:3
	ds_read2_b32 v[16:17], v18 offset0:4 offset1:5
	;; [unrolled: 1-line block ×3, first 2 shown]
	s_waitcnt lgkmcnt(7)
	v_add_f32_e32 v2, v14, v2
	s_waitcnt lgkmcnt(3)
	v_add_f32_e32 v10, v15, v10
	v_add_f32_e32 v2, v2, v3
	v_add_f32_e32 v3, v10, v11
	v_add_f32_e32 v2, v2, v4
	s_waitcnt lgkmcnt(2)
	v_add_f32_e32 v3, v3, v12
	v_add_f32_e32 v2, v2, v5
	v_add_f32_e32 v3, v3, v13
	;; [unrolled: 5-line block ×3, first 2 shown]
	s_mov_b32 s12, s11
	s_add_i32 s9, s9, 32
	s_add_i32 s11, s11, 8
	v_add_f32_e32 v2, v2, v8
	s_waitcnt lgkmcnt(0)
	v_add_f32_e32 v3, v3, v18
	s_cmp_lg_u32 s3, s11
	v_add_f32_e32 v14, v2, v9
	v_add_f32_e32 v15, v3, v19
	s_cbranch_scc1 .LBB5_32
; %bb.33:
	s_add_i32 s3, s12, 9
	s_and_b32 s2, s2, 7
	s_cmp_eq_u32 s2, 0
	s_cbranch_scc0 .LBB5_35
	s_branch .LBB5_37
.LBB5_34:
	s_mov_b32 s3, 1
	s_and_b32 s2, s2, 7
	s_cmp_eq_u32 s2, 0
	s_cbranch_scc1 .LBB5_37
.LBB5_35:
	s_lshl_b32 s3, s3, 2
	s_add_i32 s3, s3, 0
.LBB5_36:                               ; =>This Inner Loop Header: Depth=1
	s_add_i32 s9, s3, s8
	v_mov_b32_e32 v2, s3
	v_mov_b32_e32 v3, s9
	ds_read_b32 v2, v2
	ds_read_b32 v3, v3
	s_add_i32 s3, s3, 4
	s_add_i32 s2, s2, -1
	s_cmp_lg_u32 s2, 0
	s_waitcnt lgkmcnt(1)
	v_add_f32_e32 v14, v14, v2
	s_waitcnt lgkmcnt(0)
	v_add_f32_e32 v15, v15, v3
	s_cbranch_scc1 .LBB5_36
.LBB5_37:
	s_load_dword s9, s[4:5], 0x28
	s_lshl_b64 s[2:3], s[6:7], 2
	s_add_u32 s4, s20, s2
	v_add_f32_e32 v2, v14, v15
	s_addc_u32 s5, s21, s3
	s_waitcnt lgkmcnt(0)
	v_mul_f32_e32 v2, s9, v2
	s_add_u32 s12, s16, s2
	v_mul_f32_e32 v3, s9, v2
	v_mov_b32_e32 v2, 0
	s_addc_u32 s13, s17, s3
	global_store_dword v2, v3, s[4:5]
	global_store_dword v2, v14, s[12:13]
	global_load_dword v3, v2, s[4:5]
	s_waitcnt vmcnt(0)
	v_cmp_lt_f32_e32 vcc, v14, v3
	s_and_b64 exec, exec, vcc
	s_cbranch_execz .LBB5_40
; %bb.38:
	s_add_u32 s2, s26, s2
	s_mov_b64 s[4:5], exec
	s_addc_u32 s3, s27, s3
	v_mov_b32_e32 v3, 1
	global_store_dword v2, v3, s[2:3] offset:4
	v_mbcnt_lo_u32_b32 v2, s4, 0
	v_mbcnt_hi_u32_b32 v2, s5, v2
	v_cmp_eq_u32_e32 vcc, 0, v2
	s_and_b64 s[2:3], exec, vcc
	s_mov_b64 exec, s[2:3]
	s_cbranch_execz .LBB5_40
; %bb.39:
	s_bcnt1_i32_b64 s2, s[4:5]
	v_mov_b32_e32 v2, 0
	v_mov_b32_e32 v3, s2
	global_atomic_add v2, v3, s[26:27]
.LBB5_40:
	s_or_b64 exec, exec, s[0:1]
	s_cmp_eq_u32 s6, 0
	s_cselect_b64 s[2:3], -1, 0
	s_cmp_lg_u64 s[22:23], 0
	s_cselect_b64 s[4:5], -1, 0
	s_cmp_lg_u64 s[24:25], 0
	s_cselect_b64 s[6:7], -1, 0
	s_and_b64 s[4:5], s[4:5], s[6:7]
	s_and_b64 s[2:3], s[4:5], s[2:3]
	v_cmp_gt_i32_e32 vcc, s10, v0
	s_mov_b64 s[0:1], 0
	s_and_b64 s[2:3], s[2:3], vcc
	s_and_saveexec_b64 s[4:5], s[2:3]
	s_cbranch_execz .LBB5_43
; %bb.41:
	v_lshlrev_b32_e32 v2, 1, v0
	s_lshl_b32 s2, s33, 1
	v_mov_b32_e32 v3, 0
	v_mov_b32_e32 v4, s23
	;; [unrolled: 1-line block ×3, first 2 shown]
.LBB5_42:                               ; =>This Inner Loop Header: Depth=1
	v_add_co_u32_e32 v6, vcc, s22, v1
	v_addc_co_u32_e32 v7, vcc, v4, v3, vcc
	v_add_co_u32_e32 v8, vcc, s24, v1
	v_addc_co_u32_e32 v9, vcc, v5, v3, vcc
	v_add_co_u32_e32 v1, vcc, s8, v1
	v_add_u32_e32 v0, s33, v0
	v_addc_co_u32_e32 v3, vcc, 0, v3, vcc
	v_cmp_le_i32_e32 vcc, s10, v0
	v_add_u32_e32 v10, 1, v2
	global_store_dword v[6:7], v2, off
	global_store_dword v[8:9], v10, off
	s_or_b64 s[0:1], vcc, s[0:1]
	v_add_u32_e32 v2, s2, v2
	s_andn2_b64 exec, exec, s[0:1]
	s_cbranch_execnz .LBB5_42
.LBB5_43:
	s_endpgm
	.section	.rodata,"a",@progbits
	.p2align	6, 0x0
	.amdhsa_kernel _ZN9rocsolver6v33100L10syevj_initIffPfEEv14rocblas_evect_13rocblas_fill_iiT1_iilT0_PS6_PT_S7_PiSA_SA_
		.amdhsa_group_segment_fixed_size 0
		.amdhsa_private_segment_fixed_size 0
		.amdhsa_kernarg_size 352
		.amdhsa_user_sgpr_count 6
		.amdhsa_user_sgpr_private_segment_buffer 1
		.amdhsa_user_sgpr_dispatch_ptr 0
		.amdhsa_user_sgpr_queue_ptr 0
		.amdhsa_user_sgpr_kernarg_segment_ptr 1
		.amdhsa_user_sgpr_dispatch_id 0
		.amdhsa_user_sgpr_flat_scratch_init 0
		.amdhsa_user_sgpr_private_segment_size 0
		.amdhsa_uses_dynamic_stack 0
		.amdhsa_system_sgpr_private_segment_wavefront_offset 0
		.amdhsa_system_sgpr_workgroup_id_x 1
		.amdhsa_system_sgpr_workgroup_id_y 1
		.amdhsa_system_sgpr_workgroup_id_z 0
		.amdhsa_system_sgpr_workgroup_info 0
		.amdhsa_system_vgpr_workitem_id 0
		.amdhsa_next_free_vgpr 25
		.amdhsa_next_free_sgpr 51
		.amdhsa_reserve_vcc 1
		.amdhsa_reserve_flat_scratch 0
		.amdhsa_float_round_mode_32 0
		.amdhsa_float_round_mode_16_64 0
		.amdhsa_float_denorm_mode_32 3
		.amdhsa_float_denorm_mode_16_64 3
		.amdhsa_dx10_clamp 1
		.amdhsa_ieee_mode 1
		.amdhsa_fp16_overflow 0
		.amdhsa_exception_fp_ieee_invalid_op 0
		.amdhsa_exception_fp_denorm_src 0
		.amdhsa_exception_fp_ieee_div_zero 0
		.amdhsa_exception_fp_ieee_overflow 0
		.amdhsa_exception_fp_ieee_underflow 0
		.amdhsa_exception_fp_ieee_inexact 0
		.amdhsa_exception_int_div_zero 0
	.end_amdhsa_kernel
	.section	.text._ZN9rocsolver6v33100L10syevj_initIffPfEEv14rocblas_evect_13rocblas_fill_iiT1_iilT0_PS6_PT_S7_PiSA_SA_,"axG",@progbits,_ZN9rocsolver6v33100L10syevj_initIffPfEEv14rocblas_evect_13rocblas_fill_iiT1_iilT0_PS6_PT_S7_PiSA_SA_,comdat
.Lfunc_end5:
	.size	_ZN9rocsolver6v33100L10syevj_initIffPfEEv14rocblas_evect_13rocblas_fill_iiT1_iilT0_PS6_PT_S7_PiSA_SA_, .Lfunc_end5-_ZN9rocsolver6v33100L10syevj_initIffPfEEv14rocblas_evect_13rocblas_fill_iiT1_iilT0_PS6_PT_S7_PiSA_SA_
                                        ; -- End function
	.set _ZN9rocsolver6v33100L10syevj_initIffPfEEv14rocblas_evect_13rocblas_fill_iiT1_iilT0_PS6_PT_S7_PiSA_SA_.num_vgpr, 25
	.set _ZN9rocsolver6v33100L10syevj_initIffPfEEv14rocblas_evect_13rocblas_fill_iiT1_iilT0_PS6_PT_S7_PiSA_SA_.num_agpr, 0
	.set _ZN9rocsolver6v33100L10syevj_initIffPfEEv14rocblas_evect_13rocblas_fill_iiT1_iilT0_PS6_PT_S7_PiSA_SA_.numbered_sgpr, 51
	.set _ZN9rocsolver6v33100L10syevj_initIffPfEEv14rocblas_evect_13rocblas_fill_iiT1_iilT0_PS6_PT_S7_PiSA_SA_.num_named_barrier, 0
	.set _ZN9rocsolver6v33100L10syevj_initIffPfEEv14rocblas_evect_13rocblas_fill_iiT1_iilT0_PS6_PT_S7_PiSA_SA_.private_seg_size, 0
	.set _ZN9rocsolver6v33100L10syevj_initIffPfEEv14rocblas_evect_13rocblas_fill_iiT1_iilT0_PS6_PT_S7_PiSA_SA_.uses_vcc, 1
	.set _ZN9rocsolver6v33100L10syevj_initIffPfEEv14rocblas_evect_13rocblas_fill_iiT1_iilT0_PS6_PT_S7_PiSA_SA_.uses_flat_scratch, 0
	.set _ZN9rocsolver6v33100L10syevj_initIffPfEEv14rocblas_evect_13rocblas_fill_iiT1_iilT0_PS6_PT_S7_PiSA_SA_.has_dyn_sized_stack, 0
	.set _ZN9rocsolver6v33100L10syevj_initIffPfEEv14rocblas_evect_13rocblas_fill_iiT1_iilT0_PS6_PT_S7_PiSA_SA_.has_recursion, 0
	.set _ZN9rocsolver6v33100L10syevj_initIffPfEEv14rocblas_evect_13rocblas_fill_iiT1_iilT0_PS6_PT_S7_PiSA_SA_.has_indirect_call, 0
	.section	.AMDGPU.csdata,"",@progbits
; Kernel info:
; codeLenInByte = 1920
; TotalNumSgprs: 55
; NumVgprs: 25
; ScratchSize: 0
; MemoryBound: 0
; FloatMode: 240
; IeeeMode: 1
; LDSByteSize: 0 bytes/workgroup (compile time only)
; SGPRBlocks: 6
; VGPRBlocks: 6
; NumSGPRsForWavesPerEU: 55
; NumVGPRsForWavesPerEU: 25
; Occupancy: 9
; WaveLimiterHint : 0
; COMPUTE_PGM_RSRC2:SCRATCH_EN: 0
; COMPUTE_PGM_RSRC2:USER_SGPR: 6
; COMPUTE_PGM_RSRC2:TRAP_HANDLER: 0
; COMPUTE_PGM_RSRC2:TGID_X_EN: 1
; COMPUTE_PGM_RSRC2:TGID_Y_EN: 1
; COMPUTE_PGM_RSRC2:TGID_Z_EN: 0
; COMPUTE_PGM_RSRC2:TIDIG_COMP_CNT: 0
	.section	.text._ZN9rocsolver6v33100L17syevj_diag_kernelIffPfEEviT1_iilT0_PT_Pi,"axG",@progbits,_ZN9rocsolver6v33100L17syevj_diag_kernelIffPfEEviT1_iilT0_PT_Pi,comdat
	.globl	_ZN9rocsolver6v33100L17syevj_diag_kernelIffPfEEviT1_iilT0_PT_Pi ; -- Begin function _ZN9rocsolver6v33100L17syevj_diag_kernelIffPfEEviT1_iilT0_PT_Pi
	.p2align	8
	.type	_ZN9rocsolver6v33100L17syevj_diag_kernelIffPfEEviT1_iilT0_PT_Pi,@function
_ZN9rocsolver6v33100L17syevj_diag_kernelIffPfEEviT1_iilT0_PT_Pi: ; @_ZN9rocsolver6v33100L17syevj_diag_kernelIffPfEEviT1_iilT0_PT_Pi
; %bb.0:
	s_load_dwordx4 s[0:3], s[4:5], 0x28
	s_mov_b32 s16, s7
	s_ashr_i32 s17, s7, 31
	s_lshl_b64 s[8:9], s[16:17], 2
	s_waitcnt lgkmcnt(0)
	s_add_u32 s2, s2, s8
	s_addc_u32 s3, s3, s9
	s_load_dword s2, s[2:3], 0x4
	s_waitcnt lgkmcnt(0)
	s_cmp_lg_u32 s2, 0
	s_cbranch_scc1 .LBB6_48
; %bb.1:
	s_load_dword s7, s[4:5], 0x44
	s_load_dword s28, s[4:5], 0x0
	s_add_u32 s2, s4, 56
	s_addc_u32 s3, s5, 0
	v_max_i32_e32 v2, v0, v1
	s_waitcnt lgkmcnt(0)
	s_and_b32 s7, s7, 0xffff
	s_add_i32 s8, s28, -1
	s_lshl_b32 s20, s7, 1
	s_lshr_b32 s7, s8, 31
	s_add_i32 s8, s8, s7
	s_mul_i32 s29, s20, s6
	s_and_b32 s7, s8, -2
	s_sub_i32 s7, s7, s29
	s_add_i32 s7, s7, 2
	s_min_i32 s18, s20, s7
	s_ashr_i32 s19, s18, 1
	v_cmp_gt_i32_e32 vcc, s19, v2
	s_and_saveexec_b64 s[8:9], vcc
	s_cbranch_execz .LBB6_48
; %bb.2:
	s_cmp_eq_u64 s[0:1], 0
	s_mov_b64 s[12:13], 0
	s_cbranch_scc1 .LBB6_4
; %bb.3:
	s_load_dword s2, s[2:3], 0x0
	s_waitcnt lgkmcnt(0)
	s_mul_i32 s2, s2, s16
	s_add_i32 s2, s2, s6
	s_mul_i32 s2, s20, s2
	s_mul_i32 s2, s2, s20
	s_ashr_i32 s3, s2, 31
	s_lshl_b64 s[2:3], s[2:3], 2
	s_add_u32 s12, s0, s2
	s_addc_u32 s13, s1, s3
.LBB6_4:
	s_cmp_lg_u64 s[12:13], 0
	v_lshlrev_b32_e32 v2, 1, v0
	s_cselect_b64 s[14:15], -1, 0
	s_cmp_eq_u64 s[12:13], 0
	v_lshlrev_b32_e32 v5, 1, v1
	s_cbranch_scc1 .LBB6_6
; %bb.5:
	v_cmp_eq_u32_e32 vcc, v2, v5
	v_mad_u32_u24 v4, s20, v5, v2
	v_cndmask_b32_e64 v3, 0, 1.0, vcc
	v_lshlrev_b32_e32 v6, 2, v4
	v_add_lshl_u32 v4, v4, s20, 2
	v_mov_b32_e32 v7, 0
	global_store_dword v6, v3, s[12:13]
	global_store_dword v4, v7, s[12:13]
	global_store_dword v6, v7, s[12:13] offset:4
	global_store_dword v4, v3, s[12:13] offset:4
.LBB6_6:
	s_lshl_b32 s0, s19, 2
	s_add_i32 s22, s0, 0
	s_add_i32 s21, s22, s0
	v_add_u32_e32 v2, s29, v2
	s_add_i32 s30, s21, s0
	v_or_b32_e32 v3, 1, v2
	v_cmp_eq_u32_e64 s[0:1], 0, v1
	v_lshlrev_b32_e32 v4, 2, v0
	s_and_saveexec_b64 s[2:3], s[0:1]
	s_cbranch_execz .LBB6_8
; %bb.7:
	v_add_u32_e32 v6, s21, v4
	v_add_u32_e32 v1, s30, v4
	ds_write_b32 v6, v2
	ds_write_b32 v1, v3
.LBB6_8:
	s_or_b64 exec, exec, s[2:3]
	s_cmp_lt_i32 s18, 2
	s_cbranch_scc1 .LBB6_48
; %bb.9:
	s_load_dword s23, s[4:5], 0x20
	v_mov_b32_e32 v6, 0x800000
	v_add_u32_e32 v1, s29, v5
	v_add_u32_e32 v9, s22, v4
	;; [unrolled: 1-line block ×3, first 2 shown]
	s_waitcnt lgkmcnt(0)
	v_div_scale_f32 v7, s[2:3], s23, s23, v6
	s_mov_b32 s2, 0x800000
	v_mov_b32_e32 v8, s23
	v_div_scale_f32 v14, vcc, s2, v8, s2
	v_add_u32_e32 v8, 0, v4
	v_add_u32_e32 v13, s30, v4
	v_or_b32_e32 v4, 1, v1
	v_cmp_gt_i32_e64 s[2:3], s28, v4
	v_mul_u32_u24_e32 v10, s20, v5
	v_mad_u32_u24 v11, s20, v5, s20
	s_load_dwordx4 s[8:11], s[4:5], 0x8
	s_load_dwordx2 s[6:7], s[4:5], 0x18
	s_mov_b32 s35, 0x7f800000
	s_mov_b32 s36, 0xf800000
	v_mov_b32_e32 v18, 0x260
	v_rcp_f32_e32 v4, v7
	s_waitcnt lgkmcnt(0)
	s_ashr_i32 s5, s10, 31
	s_mov_b32 s4, s10
	s_mul_i32 s10, s6, s17
	v_fma_f32 v5, -v7, v4, 1.0
	v_fmac_f32_e32 v4, v5, v4
	v_mul_f32_e32 v5, v14, v4
	v_fma_f32 v15, -v7, v5, v14
	v_fmac_f32_e32 v5, v15, v4
	v_fma_f32 v7, -v7, v5, v14
	v_div_fmas_f32 v4, v7, v4, v5
	s_mul_hi_u32 s17, s6, s16
	s_mul_i32 s7, s7, s16
	s_add_i32 s10, s17, s10
	s_mul_i32 s6, s6, s16
	s_add_i32 s7, s10, s7
	s_lshl_b64 s[6:7], s[6:7], 2
	s_add_u32 s6, s8, s6
	v_mul_lo_u32 v14, v1, s11
	s_addc_u32 s7, s9, s7
	s_lshl_b64 s[4:5], s[4:5], 2
	s_add_u32 s10, s6, s4
	s_addc_u32 s31, s7, s5
	s_add_i32 s19, s19, -1
	s_add_i32 s4, s30, -4
	v_mov_b32_e32 v5, s4
	v_div_fixup_f32 v16, v4, s23, v6
	v_add_u32_e32 v4, 4, v13
	v_cmp_eq_u32_e32 vcc, s19, v0
	v_add_u32_e32 v15, s11, v14
	s_add_i32 s33, s11, 1
	v_cndmask_b32_e32 v17, v4, v5, vcc
	s_add_i32 s34, s18, -1
	v_mov_b32_e32 v19, 0
                                        ; implicit-def: $vgpr20
                                        ; implicit-def: $vgpr21
                                        ; implicit-def: $vgpr5
	s_branch .LBB6_11
.LBB6_10:                               ;   in Loop: Header=BB6_11 Depth=1
	s_or_b64 exec, exec, s[4:5]
	s_add_i32 s34, s34, -1
	s_cmp_lg_u32 s34, 0
	s_cbranch_scc0 .LBB6_48
.LBB6_11:                               ; =>This Inner Loop Header: Depth=1
	v_cmp_gt_i32_e64 s[4:5], s28, v2
	s_and_b64 s[8:9], s[0:1], s[4:5]
	v_cmp_gt_i32_e64 s[6:7], s28, v3
	s_and_b64 s[16:17], s[8:9], s[6:7]
	s_and_saveexec_b64 s[18:19], s[16:17]
	s_cbranch_execz .LBB6_27
; %bb.12:                               ;   in Loop: Header=BB6_11 Depth=1
	v_mul_lo_u32 v6, v3, s11
	v_mov_b32_e32 v7, s31
	v_mov_b32_e32 v21, 1.0
	v_add_u32_e32 v4, v2, v6
	v_ashrrev_i32_e32 v5, 31, v4
	v_lshlrev_b64 v[4:5], 2, v[4:5]
	v_add_co_u32_e32 v4, vcc, s10, v4
	v_addc_co_u32_e32 v5, vcc, v7, v5, vcc
	global_load_dword v4, v[4:5], off
	s_waitcnt vmcnt(0)
	v_mul_f32_e32 v5, v4, v4
	v_cmp_nlt_f32_e32 vcc, v5, v16
	v_mov_b32_e32 v5, 0
	s_and_saveexec_b64 s[20:21], vcc
	s_cbranch_execz .LBB6_26
; %bb.13:                               ;   in Loop: Header=BB6_11 Depth=1
	v_mul_lo_u32 v21, v2, s33
	v_add_u32_e32 v5, v6, v3
	v_ashrrev_i32_e32 v6, 31, v5
	v_lshlrev_b64 v[5:6], 2, v[5:6]
	v_ashrrev_i32_e32 v22, 31, v21
	v_mov_b32_e32 v7, s31
	v_add_co_u32_e32 v5, vcc, s10, v5
	v_lshlrev_b64 v[21:22], 2, v[21:22]
	v_addc_co_u32_e32 v6, vcc, v7, v6, vcc
	v_add_co_u32_e32 v21, vcc, s10, v21
	v_addc_co_u32_e32 v22, vcc, v7, v22, vcc
	global_load_dword v7, v[5:6], off
	global_load_dword v23, v[21:22], off
	v_add_f32_e64 v5, |v4|, |v4|
	s_waitcnt vmcnt(0)
	v_sub_f32_e32 v6, v7, v23
	v_max_f32_e64 v7, |v6|, |v5|
	v_cvt_f64_f32_e32 v[21:22], v7
	v_cmp_ngt_f32_e32 vcc, 0, v6
	v_frexp_exp_i32_f64_e32 v21, v[21:22]
	v_sub_u32_e32 v22, 0, v21
	v_ldexp_f32 v23, |v6|, v22
	v_ldexp_f32 v22, |v5|, v22
	v_mul_f32_e32 v22, v22, v22
	v_fmac_f32_e32 v22, v23, v23
	v_sqrt_f32_e32 v23, v22
                                        ; implicit-def: $vgpr22
	s_and_saveexec_b64 s[8:9], vcc
	s_xor_b64 s[8:9], exec, s[8:9]
; %bb.14:                               ;   in Loop: Header=BB6_11 Depth=1
	v_ldexp_f32 v21, v23, v21
	v_mov_b32_e32 v22, 0x7f800000
	v_cmp_neq_f32_e32 vcc, s35, v7
	v_cndmask_b32_e32 v22, v22, v21, vcc
                                        ; implicit-def: $vgpr23
                                        ; implicit-def: $vgpr21
                                        ; implicit-def: $vgpr7
; %bb.15:                               ;   in Loop: Header=BB6_11 Depth=1
	s_andn2_saveexec_b64 s[8:9], s[8:9]
; %bb.16:                               ;   in Loop: Header=BB6_11 Depth=1
	v_ldexp_f32 v21, -v23, v21
	v_mov_b32_e32 v22, 0xff800000
	v_cmp_neq_f32_e32 vcc, s35, v7
	v_cndmask_b32_e32 v22, v22, v21, vcc
; %bb.17:                               ;   in Loop: Header=BB6_11 Depth=1
	s_or_b64 exec, exec, s[8:9]
	v_mov_b32_e32 v7, 0
	v_cmp_neq_f32_e32 vcc, 0, v5
	v_mov_b32_e32 v21, 1.0
	s_and_saveexec_b64 s[22:23], vcc
	s_cbranch_execz .LBB6_25
; %bb.18:                               ;   in Loop: Header=BB6_11 Depth=1
	v_add_f32_e32 v6, v6, v22
	v_mov_b32_e32 v21, 0
	v_cmp_neq_f32_e32 vcc, 0, v6
	v_mov_b32_e32 v7, 1.0
	s_and_saveexec_b64 s[24:25], vcc
	s_cbranch_execz .LBB6_24
; %bb.19:                               ;   in Loop: Header=BB6_11 Depth=1
	v_cmp_ngt_f32_e64 s[8:9], |v5|, |v6|
                                        ; implicit-def: $vgpr21
                                        ; implicit-def: $vgpr7
	s_and_saveexec_b64 s[26:27], s[8:9]
	s_xor_b64 s[26:27], exec, s[26:27]
	s_cbranch_execz .LBB6_21
; %bb.20:                               ;   in Loop: Header=BB6_11 Depth=1
	v_div_scale_f32 v7, s[8:9], v6, v6, -v5
	v_div_scale_f32 v21, vcc, -v5, v6, -v5
	v_rcp_f32_e32 v22, v7
	v_fma_f32 v23, -v7, v22, 1.0
	v_fmac_f32_e32 v22, v23, v22
	v_mul_f32_e32 v23, v21, v22
	v_fma_f32 v24, -v7, v23, v21
	v_fmac_f32_e32 v23, v24, v22
	v_fma_f32 v7, -v7, v23, v21
	v_div_fmas_f32 v7, v7, v22, v23
	v_div_fixup_f32 v5, v7, v6, -v5
	v_fma_f32 v6, v5, v5, 1.0
	v_mul_f32_e32 v7, 0x4f800000, v6
	v_cmp_gt_f32_e32 vcc, s36, v6
	v_cndmask_b32_e32 v6, v6, v7, vcc
	v_sqrt_f32_e32 v7, v6
	v_add_u32_e32 v21, -1, v7
	v_add_u32_e32 v22, 1, v7
	v_fma_f32 v23, -v21, v7, v6
	v_fma_f32 v24, -v22, v7, v6
	v_cmp_ge_f32_e64 s[8:9], 0, v23
	v_cndmask_b32_e64 v7, v7, v21, s[8:9]
	v_cmp_lt_f32_e64 s[8:9], 0, v24
	v_cndmask_b32_e64 v7, v7, v22, s[8:9]
	v_mul_f32_e32 v21, 0x37800000, v7
	v_cndmask_b32_e32 v7, v7, v21, vcc
	v_cmp_class_f32_e32 vcc, v6, v18
	v_cndmask_b32_e32 v6, v7, v6, vcc
	v_div_scale_f32 v7, s[8:9], v6, v6, 1.0
	v_div_scale_f32 v21, vcc, 1.0, v6, 1.0
	v_rcp_f32_e32 v22, v7
	v_fma_f32 v23, -v7, v22, 1.0
	v_fmac_f32_e32 v22, v23, v22
	v_mul_f32_e32 v23, v21, v22
	v_fma_f32 v24, -v7, v23, v21
	v_fmac_f32_e32 v23, v24, v22
	v_fma_f32 v7, -v7, v23, v21
	v_div_fmas_f32 v7, v7, v22, v23
	v_div_fixup_f32 v21, v7, v6, 1.0
	v_mul_f32_e32 v7, v5, v21
                                        ; implicit-def: $vgpr5
                                        ; implicit-def: $vgpr6
.LBB6_21:                               ;   in Loop: Header=BB6_11 Depth=1
	s_andn2_saveexec_b64 s[26:27], s[26:27]
	s_cbranch_execz .LBB6_23
; %bb.22:                               ;   in Loop: Header=BB6_11 Depth=1
	v_div_scale_f32 v7, s[8:9], v5, v5, -v6
	v_div_scale_f32 v21, vcc, -v6, v5, -v6
	v_rcp_f32_e32 v22, v7
	v_fma_f32 v23, -v7, v22, 1.0
	v_fmac_f32_e32 v22, v23, v22
	v_mul_f32_e32 v23, v21, v22
	v_fma_f32 v24, -v7, v23, v21
	v_fmac_f32_e32 v23, v24, v22
	v_fma_f32 v7, -v7, v23, v21
	v_div_fmas_f32 v7, v7, v22, v23
	v_div_fixup_f32 v5, v7, v5, -v6
	v_fma_f32 v6, v5, v5, 1.0
	v_mul_f32_e32 v7, 0x4f800000, v6
	v_cmp_gt_f32_e32 vcc, s36, v6
	v_cndmask_b32_e32 v6, v6, v7, vcc
	v_sqrt_f32_e32 v7, v6
	v_add_u32_e32 v21, -1, v7
	v_add_u32_e32 v22, 1, v7
	v_fma_f32 v23, -v21, v7, v6
	v_fma_f32 v24, -v22, v7, v6
	v_cmp_ge_f32_e64 s[8:9], 0, v23
	v_cndmask_b32_e64 v7, v7, v21, s[8:9]
	v_cmp_lt_f32_e64 s[8:9], 0, v24
	v_cndmask_b32_e64 v7, v7, v22, s[8:9]
	v_mul_f32_e32 v21, 0x37800000, v7
	v_cndmask_b32_e32 v7, v7, v21, vcc
	v_cmp_class_f32_e32 vcc, v6, v18
	v_cndmask_b32_e32 v6, v7, v6, vcc
	v_div_scale_f32 v7, s[8:9], v6, v6, 1.0
	v_div_scale_f32 v21, vcc, 1.0, v6, 1.0
	v_rcp_f32_e32 v22, v7
	v_fma_f32 v23, -v7, v22, 1.0
	v_fmac_f32_e32 v22, v23, v22
	v_mul_f32_e32 v23, v21, v22
	v_fma_f32 v24, -v7, v23, v21
	v_fmac_f32_e32 v23, v24, v22
	v_fma_f32 v7, -v7, v23, v21
	v_div_fmas_f32 v7, v7, v22, v23
	v_div_fixup_f32 v7, v7, v6, 1.0
	v_mul_f32_e32 v21, v5, v7
.LBB6_23:                               ;   in Loop: Header=BB6_11 Depth=1
	s_or_b64 exec, exec, s[26:27]
.LBB6_24:                               ;   in Loop: Header=BB6_11 Depth=1
	s_or_b64 exec, exec, s[24:25]
.LBB6_25:                               ;   in Loop: Header=BB6_11 Depth=1
	s_or_b64 exec, exec, s[22:23]
	v_mul_f32_e32 v5, v4, v7
	v_and_b32_e32 v6, 0x7fffffff, v4
	v_div_scale_f32 v7, s[8:9], v6, v6, v5
	v_div_scale_f32 v6, vcc, v5, v6, v5
	v_rcp_f32_e32 v22, v7
	v_fma_f32 v23, -v7, v22, 1.0
	v_fmac_f32_e32 v22, v23, v22
	v_mul_f32_e32 v23, v6, v22
	v_fma_f32 v24, -v7, v23, v6
	v_fmac_f32_e32 v23, v24, v22
	v_fma_f32 v6, -v7, v23, v6
	v_div_fmas_f32 v6, v6, v22, v23
	v_div_fixup_f32 v5, v6, |v4|, v5
.LBB6_26:                               ;   in Loop: Header=BB6_11 Depth=1
	s_or_b64 exec, exec, s[20:21]
	ds_write_b32 v8, v21
	ds_write_b32 v9, v5
.LBB6_27:                               ;   in Loop: Header=BB6_11 Depth=1
	s_or_b64 exec, exec, s[18:19]
	s_and_b64 s[4:5], s[4:5], s[6:7]
	s_waitcnt vmcnt(0) lgkmcnt(0)
	s_barrier
	s_and_saveexec_b64 s[6:7], s[4:5]
	s_cbranch_execz .LBB6_35
; %bb.28:                               ;   in Loop: Header=BB6_11 Depth=1
	ds_read_b32 v21, v8
	ds_read_b32 v20, v9
	s_andn2_b64 vcc, exec, s[14:15]
	s_cbranch_vccnz .LBB6_32
; %bb.29:                               ;   in Loop: Header=BB6_11 Depth=1
	v_subrev_u32_e32 v5, s29, v2
	v_add_u32_e32 v6, v5, v10
	v_subrev_u32_e32 v4, s29, v3
	v_ashrrev_i32_e32 v7, 31, v6
	v_lshlrev_b64 v[6:7], 2, v[6:7]
	v_add_u32_e32 v22, v4, v10
	v_ashrrev_i32_e32 v23, 31, v22
	v_mov_b32_e32 v24, s13
	v_add_co_u32_e32 v6, vcc, s12, v6
	v_lshlrev_b64 v[22:23], 2, v[22:23]
	v_addc_co_u32_e32 v7, vcc, v24, v7, vcc
	v_add_co_u32_e32 v22, vcc, s12, v22
	v_addc_co_u32_e32 v23, vcc, v24, v23, vcc
	global_load_dword v24, v[22:23], off
	global_load_dword v25, v[6:7], off
	s_waitcnt vmcnt(1) lgkmcnt(0)
	v_mul_f32_e32 v26, v20, v24
	s_waitcnt vmcnt(0)
	v_mul_f32_e32 v27, v20, v25
	v_fmac_f32_e32 v26, v21, v25
	v_fma_f32 v24, v21, v24, -v27
	global_store_dword v[6:7], v26, off
	global_store_dword v[22:23], v24, off
	s_and_saveexec_b64 s[8:9], s[2:3]
	s_cbranch_execz .LBB6_31
; %bb.30:                               ;   in Loop: Header=BB6_11 Depth=1
	v_add_u32_e32 v5, v5, v11
	v_ashrrev_i32_e32 v6, 31, v5
	v_lshlrev_b64 v[5:6], 2, v[5:6]
	v_add_u32_e32 v22, v4, v11
	v_ashrrev_i32_e32 v23, 31, v22
	v_mov_b32_e32 v7, s13
	v_add_co_u32_e32 v5, vcc, s12, v5
	v_lshlrev_b64 v[22:23], 2, v[22:23]
	v_addc_co_u32_e32 v6, vcc, v7, v6, vcc
	v_add_co_u32_e32 v22, vcc, s12, v22
	v_addc_co_u32_e32 v23, vcc, v7, v23, vcc
	global_load_dword v4, v[22:23], off
	global_load_dword v7, v[5:6], off
	s_waitcnt vmcnt(1)
	v_mul_f32_e32 v24, v20, v4
	s_waitcnt vmcnt(0)
	v_mul_f32_e32 v25, v20, v7
	v_fmac_f32_e32 v24, v21, v7
	v_fma_f32 v4, v21, v4, -v25
	global_store_dword v[5:6], v24, off
	global_store_dword v[22:23], v4, off
.LBB6_31:                               ;   in Loop: Header=BB6_11 Depth=1
	s_or_b64 exec, exec, s[8:9]
.LBB6_32:                               ;   in Loop: Header=BB6_11 Depth=1
	v_mad_u64_u32 v[4:5], s[8:9], v2, s11, v[1:2]
	v_mad_u64_u32 v[6:7], s[8:9], v3, s11, v[1:2]
	v_ashrrev_i32_e32 v5, 31, v4
	v_lshlrev_b64 v[4:5], 2, v[4:5]
	v_ashrrev_i32_e32 v7, 31, v6
	v_mov_b32_e32 v22, s31
	v_add_co_u32_e32 v4, vcc, s10, v4
	v_lshlrev_b64 v[6:7], 2, v[6:7]
	v_addc_co_u32_e32 v5, vcc, v22, v5, vcc
	v_add_co_u32_e32 v6, vcc, s10, v6
	v_addc_co_u32_e32 v7, vcc, v22, v7, vcc
	global_load_dword v22, v[6:7], off
	global_load_dword v23, v[4:5], off
	s_waitcnt vmcnt(1) lgkmcnt(0)
	v_mul_f32_e32 v24, v20, v22
	s_waitcnt vmcnt(0)
	v_mul_f32_e32 v25, v20, v23
	v_fmac_f32_e32 v24, v21, v23
	v_fma_f32 v22, v21, v22, -v25
	global_store_dword v[4:5], v24, off
	global_store_dword v[6:7], v22, off
	s_and_saveexec_b64 s[8:9], s[2:3]
	s_cbranch_execz .LBB6_34
; %bb.33:                               ;   in Loop: Header=BB6_11 Depth=1
	global_load_dword v22, v[6:7], off offset:4
	global_load_dword v23, v[4:5], off offset:4
	s_waitcnt vmcnt(1)
	v_mul_f32_e32 v24, v20, v22
	s_waitcnt vmcnt(0)
	v_mul_f32_e32 v25, v20, v23
	v_fmac_f32_e32 v24, v21, v23
	v_fma_f32 v22, v21, v22, -v25
	global_store_dword v[4:5], v24, off offset:4
	global_store_dword v[6:7], v22, off offset:4
.LBB6_34:                               ;   in Loop: Header=BB6_11 Depth=1
	s_or_b64 exec, exec, s[8:9]
	v_mov_b32_e32 v5, v20
.LBB6_35:                               ;   in Loop: Header=BB6_11 Depth=1
	s_or_b64 exec, exec, s[6:7]
	s_waitcnt vmcnt(0)
	s_barrier
	s_and_saveexec_b64 s[6:7], s[4:5]
	s_cbranch_execz .LBB6_38
; %bb.36:                               ;   in Loop: Header=BB6_11 Depth=1
	v_add_u32_e32 v6, v2, v14
	v_ashrrev_i32_e32 v7, 31, v6
	v_lshlrev_b64 v[6:7], 2, v[6:7]
	v_add_u32_e32 v22, v3, v14
	v_ashrrev_i32_e32 v23, 31, v22
	v_mov_b32_e32 v4, s31
	v_add_co_u32_e32 v6, vcc, s10, v6
	v_lshlrev_b64 v[22:23], 2, v[22:23]
	v_addc_co_u32_e32 v7, vcc, v4, v7, vcc
	v_add_co_u32_e32 v22, vcc, s10, v22
	v_addc_co_u32_e32 v23, vcc, v4, v23, vcc
	global_load_dword v4, v[22:23], off
	global_load_dword v24, v[6:7], off
	s_waitcnt vmcnt(1)
	v_mul_f32_e32 v25, v5, v4
	s_waitcnt vmcnt(0)
	v_mul_f32_e32 v26, v20, v24
	v_fmac_f32_e32 v25, v21, v24
	v_fma_f32 v4, v21, v4, -v26
	global_store_dword v[6:7], v25, off
	global_store_dword v[22:23], v4, off
	s_and_b64 exec, exec, s[2:3]
	s_cbranch_execz .LBB6_38
; %bb.37:                               ;   in Loop: Header=BB6_11 Depth=1
	v_add_u32_e32 v6, v2, v15
	v_ashrrev_i32_e32 v7, 31, v6
	v_lshlrev_b64 v[6:7], 2, v[6:7]
	v_add_u32_e32 v22, v3, v15
	v_ashrrev_i32_e32 v23, 31, v22
	v_mov_b32_e32 v4, s31
	v_add_co_u32_e32 v6, vcc, s10, v6
	v_lshlrev_b64 v[22:23], 2, v[22:23]
	v_addc_co_u32_e32 v7, vcc, v4, v7, vcc
	v_add_co_u32_e32 v22, vcc, s10, v22
	v_addc_co_u32_e32 v23, vcc, v4, v23, vcc
	global_load_dword v4, v[22:23], off
	global_load_dword v24, v[6:7], off
	s_waitcnt vmcnt(1)
	v_mul_f32_e32 v25, v5, v4
	s_waitcnt vmcnt(0)
	v_mul_f32_e32 v26, v20, v24
	v_fmac_f32_e32 v25, v21, v24
	v_fma_f32 v4, v21, v4, -v26
	global_store_dword v[6:7], v25, off
	global_store_dword v[22:23], v4, off
.LBB6_38:                               ;   in Loop: Header=BB6_11 Depth=1
	s_or_b64 exec, exec, s[6:7]
	s_waitcnt vmcnt(0)
	s_barrier
	s_and_saveexec_b64 s[4:5], s[16:17]
	s_cbranch_execz .LBB6_40
; %bb.39:                               ;   in Loop: Header=BB6_11 Depth=1
	v_mad_u64_u32 v[6:7], s[6:7], v3, s11, v[2:3]
	v_mad_u64_u32 v[3:4], s[6:7], v2, s11, v[3:4]
	v_ashrrev_i32_e32 v7, 31, v6
	v_lshlrev_b64 v[6:7], 2, v[6:7]
	v_ashrrev_i32_e32 v4, 31, v3
	v_mov_b32_e32 v22, s31
	v_add_co_u32_e32 v6, vcc, s10, v6
	v_lshlrev_b64 v[3:4], 2, v[3:4]
	v_addc_co_u32_e32 v7, vcc, v22, v7, vcc
	global_store_dword v[6:7], v19, off
	v_mov_b32_e32 v6, s31
	v_add_co_u32_e32 v3, vcc, s10, v3
	v_addc_co_u32_e32 v4, vcc, v6, v4, vcc
	global_store_dword v[3:4], v19, off
.LBB6_40:                               ;   in Loop: Header=BB6_11 Depth=1
	s_or_b64 exec, exec, s[4:5]
	v_cmp_lt_i32_e32 vcc, 0, v0
	s_and_saveexec_b64 s[4:5], vcc
	s_cbranch_execz .LBB6_46
; %bb.41:                               ;   in Loop: Header=BB6_11 Depth=1
	v_cmp_ne_u32_e32 vcc, 1, v0
                                        ; implicit-def: $vgpr2
	s_and_saveexec_b64 s[6:7], vcc
	s_xor_b64 s[6:7], exec, s[6:7]
; %bb.42:                               ;   in Loop: Header=BB6_11 Depth=1
	v_add_u32_e32 v2, -4, v12
	ds_read_b32 v2, v2
; %bb.43:                               ;   in Loop: Header=BB6_11 Depth=1
	s_andn2_saveexec_b64 s[6:7], s[6:7]
	s_cbranch_execz .LBB6_45
; %bb.44:                               ;   in Loop: Header=BB6_11 Depth=1
	s_waitcnt lgkmcnt(0)
	v_mov_b32_e32 v2, s30
	ds_read_b32 v2, v2
.LBB6_45:                               ;   in Loop: Header=BB6_11 Depth=1
	s_or_b64 exec, exec, s[6:7]
.LBB6_46:                               ;   in Loop: Header=BB6_11 Depth=1
	s_or_b64 exec, exec, s[4:5]
	ds_read_b32 v3, v17
	s_waitcnt vmcnt(0) lgkmcnt(0)
	s_barrier
	s_and_saveexec_b64 s[4:5], s[0:1]
	s_cbranch_execz .LBB6_10
; %bb.47:                               ;   in Loop: Header=BB6_11 Depth=1
	ds_write_b32 v12, v2
	ds_write_b32 v13, v3
	s_branch .LBB6_10
.LBB6_48:
	s_endpgm
	.section	.rodata,"a",@progbits
	.p2align	6, 0x0
	.amdhsa_kernel _ZN9rocsolver6v33100L17syevj_diag_kernelIffPfEEviT1_iilT0_PT_Pi
		.amdhsa_group_segment_fixed_size 0
		.amdhsa_private_segment_fixed_size 0
		.amdhsa_kernarg_size 312
		.amdhsa_user_sgpr_count 6
		.amdhsa_user_sgpr_private_segment_buffer 1
		.amdhsa_user_sgpr_dispatch_ptr 0
		.amdhsa_user_sgpr_queue_ptr 0
		.amdhsa_user_sgpr_kernarg_segment_ptr 1
		.amdhsa_user_sgpr_dispatch_id 0
		.amdhsa_user_sgpr_flat_scratch_init 0
		.amdhsa_user_sgpr_private_segment_size 0
		.amdhsa_uses_dynamic_stack 0
		.amdhsa_system_sgpr_private_segment_wavefront_offset 0
		.amdhsa_system_sgpr_workgroup_id_x 1
		.amdhsa_system_sgpr_workgroup_id_y 0
		.amdhsa_system_sgpr_workgroup_id_z 1
		.amdhsa_system_sgpr_workgroup_info 0
		.amdhsa_system_vgpr_workitem_id 1
		.amdhsa_next_free_vgpr 28
		.amdhsa_next_free_sgpr 37
		.amdhsa_reserve_vcc 1
		.amdhsa_reserve_flat_scratch 0
		.amdhsa_float_round_mode_32 0
		.amdhsa_float_round_mode_16_64 0
		.amdhsa_float_denorm_mode_32 3
		.amdhsa_float_denorm_mode_16_64 3
		.amdhsa_dx10_clamp 1
		.amdhsa_ieee_mode 1
		.amdhsa_fp16_overflow 0
		.amdhsa_exception_fp_ieee_invalid_op 0
		.amdhsa_exception_fp_denorm_src 0
		.amdhsa_exception_fp_ieee_div_zero 0
		.amdhsa_exception_fp_ieee_overflow 0
		.amdhsa_exception_fp_ieee_underflow 0
		.amdhsa_exception_fp_ieee_inexact 0
		.amdhsa_exception_int_div_zero 0
	.end_amdhsa_kernel
	.section	.text._ZN9rocsolver6v33100L17syevj_diag_kernelIffPfEEviT1_iilT0_PT_Pi,"axG",@progbits,_ZN9rocsolver6v33100L17syevj_diag_kernelIffPfEEviT1_iilT0_PT_Pi,comdat
.Lfunc_end6:
	.size	_ZN9rocsolver6v33100L17syevj_diag_kernelIffPfEEviT1_iilT0_PT_Pi, .Lfunc_end6-_ZN9rocsolver6v33100L17syevj_diag_kernelIffPfEEviT1_iilT0_PT_Pi
                                        ; -- End function
	.set _ZN9rocsolver6v33100L17syevj_diag_kernelIffPfEEviT1_iilT0_PT_Pi.num_vgpr, 28
	.set _ZN9rocsolver6v33100L17syevj_diag_kernelIffPfEEviT1_iilT0_PT_Pi.num_agpr, 0
	.set _ZN9rocsolver6v33100L17syevj_diag_kernelIffPfEEviT1_iilT0_PT_Pi.numbered_sgpr, 37
	.set _ZN9rocsolver6v33100L17syevj_diag_kernelIffPfEEviT1_iilT0_PT_Pi.num_named_barrier, 0
	.set _ZN9rocsolver6v33100L17syevj_diag_kernelIffPfEEviT1_iilT0_PT_Pi.private_seg_size, 0
	.set _ZN9rocsolver6v33100L17syevj_diag_kernelIffPfEEviT1_iilT0_PT_Pi.uses_vcc, 1
	.set _ZN9rocsolver6v33100L17syevj_diag_kernelIffPfEEviT1_iilT0_PT_Pi.uses_flat_scratch, 0
	.set _ZN9rocsolver6v33100L17syevj_diag_kernelIffPfEEviT1_iilT0_PT_Pi.has_dyn_sized_stack, 0
	.set _ZN9rocsolver6v33100L17syevj_diag_kernelIffPfEEviT1_iilT0_PT_Pi.has_recursion, 0
	.set _ZN9rocsolver6v33100L17syevj_diag_kernelIffPfEEviT1_iilT0_PT_Pi.has_indirect_call, 0
	.section	.AMDGPU.csdata,"",@progbits
; Kernel info:
; codeLenInByte = 2648
; TotalNumSgprs: 41
; NumVgprs: 28
; ScratchSize: 0
; MemoryBound: 0
; FloatMode: 240
; IeeeMode: 1
; LDSByteSize: 0 bytes/workgroup (compile time only)
; SGPRBlocks: 5
; VGPRBlocks: 6
; NumSGPRsForWavesPerEU: 41
; NumVGPRsForWavesPerEU: 28
; Occupancy: 9
; WaveLimiterHint : 0
; COMPUTE_PGM_RSRC2:SCRATCH_EN: 0
; COMPUTE_PGM_RSRC2:USER_SGPR: 6
; COMPUTE_PGM_RSRC2:TRAP_HANDLER: 0
; COMPUTE_PGM_RSRC2:TGID_X_EN: 1
; COMPUTE_PGM_RSRC2:TGID_Y_EN: 0
; COMPUTE_PGM_RSRC2:TGID_Z_EN: 1
; COMPUTE_PGM_RSRC2:TIDIG_COMP_CNT: 1
	.section	.text._ZN9rocsolver6v33100L21syevj_diag_rotate_orgILb0EffPfEEvbiT2_iilPT0_Pi,"axG",@progbits,_ZN9rocsolver6v33100L21syevj_diag_rotate_orgILb0EffPfEEvbiT2_iilPT0_Pi,comdat
	.globl	_ZN9rocsolver6v33100L21syevj_diag_rotate_orgILb0EffPfEEvbiT2_iilPT0_Pi ; -- Begin function _ZN9rocsolver6v33100L21syevj_diag_rotate_orgILb0EffPfEEvbiT2_iilPT0_Pi
	.p2align	8
	.type	_ZN9rocsolver6v33100L21syevj_diag_rotate_orgILb0EffPfEEvbiT2_iilPT0_Pi,@function
_ZN9rocsolver6v33100L21syevj_diag_rotate_orgILb0EffPfEEvbiT2_iilPT0_Pi: ; @_ZN9rocsolver6v33100L21syevj_diag_rotate_orgILb0EffPfEEvbiT2_iilPT0_Pi
; %bb.0:
	s_load_dwordx2 s[0:1], s[4:5], 0x0
	s_load_dwordx2 s[2:3], s[4:5], 0x28
	s_waitcnt lgkmcnt(0)
	s_bitcmp1_b32 s0, 0
	s_cselect_b64 s[10:11], -1, 0
	s_ashr_i32 s9, s8, 31
	s_lshl_b64 s[12:13], s[8:9], 2
	s_add_u32 s2, s2, s12
	s_addc_u32 s3, s3, s13
	s_load_dword s0, s[2:3], 0x4
	s_waitcnt lgkmcnt(0)
	s_cmp_lg_u32 s0, 0
	s_cselect_b64 s[2:3], -1, 0
	s_cmp_eq_u32 s6, s7
	s_cselect_b64 s[12:13], -1, 0
	s_and_b64 s[10:11], s[12:13], s[10:11]
	s_or_b64 s[2:3], s[10:11], s[2:3]
	s_and_b64 vcc, exec, s[2:3]
	s_cbranch_vccnz .LBB7_7
; %bb.1:
	s_load_dword s0, s[4:5], 0x3c
	s_add_u32 s2, s4, 48
	s_addc_u32 s3, s5, 0
	s_waitcnt lgkmcnt(0)
	s_and_b32 s10, s0, 0xffff
	s_mul_i32 s0, s6, s10
	s_mul_i32 s11, s7, s10
	v_add_u32_e32 v5, s0, v0
	v_add_u32_e32 v2, s11, v1
	v_max_i32_e32 v3, v5, v2
	v_cmp_gt_i32_e32 vcc, s1, v3
	s_and_saveexec_b64 s[12:13], vcc
	s_cbranch_execz .LBB7_7
; %bb.2:
	s_load_dwordx8 s[12:19], s[4:5], 0x8
	s_sub_i32 s0, s1, s0
	s_min_i32 s4, s0, s10
	s_waitcnt lgkmcnt(0)
	s_mul_i32 s5, s16, s9
	s_mul_hi_u32 s9, s16, s8
	s_add_i32 s5, s9, s5
	s_mul_i32 s9, s17, s8
	s_add_i32 s17, s5, s9
	s_mul_i32 s16, s16, s8
	s_ashr_i32 s1, s14, 31
	s_lshl_b64 s[16:17], s[16:17], 2
	s_mov_b32 s0, s14
	s_add_u32 s5, s12, s16
	s_addc_u32 s9, s13, s17
	s_lshl_b64 s[0:1], s[0:1], 2
	s_add_u32 s0, s5, s0
	s_addc_u32 s1, s9, s1
	s_cmp_lt_i32 s4, 1
	s_cbranch_scc1 .LBB7_5
; %bb.3:
	s_load_dword s2, s[2:3], 0x0
	s_mul_i32 s3, s6, s15
	s_add_i32 s3, s7, s3
	s_mul_i32 s3, s3, s10
	v_add_u32_e32 v3, s3, v1
	s_waitcnt lgkmcnt(0)
	s_mul_i32 s2, s2, s8
	s_add_i32 s2, s2, s6
	s_mul_i32 s2, s2, s10
	s_mul_i32 s2, s2, s10
	s_ashr_i32 s3, s2, 31
	s_lshl_b64 s[2:3], s[2:3], 2
	s_add_u32 s2, s18, s2
	v_lshlrev_b32_e32 v0, 2, v0
	s_addc_u32 s3, s19, s3
	v_mov_b32_e32 v1, s3
	v_add_co_u32_e32 v0, vcc, s2, v0
	v_mov_b32_e32 v6, 0
	v_addc_co_u32_e32 v1, vcc, 0, v1, vcc
	s_lshl_b32 s2, s10, 2
	v_mov_b32_e32 v7, s1
.LBB7_4:                                ; =>This Inner Loop Header: Depth=1
	v_ashrrev_i32_e32 v4, 31, v3
	v_lshlrev_b64 v[8:9], 2, v[3:4]
	global_load_dword v10, v[0:1], off
	v_add_co_u32_e32 v8, vcc, s0, v8
	v_addc_co_u32_e32 v9, vcc, v7, v9, vcc
	global_load_dword v4, v[8:9], off
	s_add_i32 s4, s4, -1
	v_add_co_u32_e32 v0, vcc, s2, v0
	v_addc_co_u32_e32 v1, vcc, 0, v1, vcc
	v_add_u32_e32 v3, s15, v3
	s_cmp_lg_u32 s4, 0
	s_waitcnt vmcnt(0)
	v_fmac_f32_e32 v6, v10, v4
	s_cbranch_scc1 .LBB7_4
	s_branch .LBB7_6
.LBB7_5:
	v_mov_b32_e32 v6, 0
.LBB7_6:
	v_mad_u64_u32 v[0:1], s[2:3], v5, s15, v[2:3]
	v_mov_b32_e32 v2, s1
	v_ashrrev_i32_e32 v1, 31, v0
	v_lshlrev_b64 v[0:1], 2, v[0:1]
	s_barrier
	v_add_co_u32_e32 v0, vcc, s0, v0
	v_addc_co_u32_e32 v1, vcc, v2, v1, vcc
	global_store_dword v[0:1], v6, off
.LBB7_7:
	s_endpgm
	.section	.rodata,"a",@progbits
	.p2align	6, 0x0
	.amdhsa_kernel _ZN9rocsolver6v33100L21syevj_diag_rotate_orgILb0EffPfEEvbiT2_iilPT0_Pi
		.amdhsa_group_segment_fixed_size 0
		.amdhsa_private_segment_fixed_size 0
		.amdhsa_kernarg_size 304
		.amdhsa_user_sgpr_count 6
		.amdhsa_user_sgpr_private_segment_buffer 1
		.amdhsa_user_sgpr_dispatch_ptr 0
		.amdhsa_user_sgpr_queue_ptr 0
		.amdhsa_user_sgpr_kernarg_segment_ptr 1
		.amdhsa_user_sgpr_dispatch_id 0
		.amdhsa_user_sgpr_flat_scratch_init 0
		.amdhsa_user_sgpr_private_segment_size 0
		.amdhsa_uses_dynamic_stack 0
		.amdhsa_system_sgpr_private_segment_wavefront_offset 0
		.amdhsa_system_sgpr_workgroup_id_x 1
		.amdhsa_system_sgpr_workgroup_id_y 1
		.amdhsa_system_sgpr_workgroup_id_z 1
		.amdhsa_system_sgpr_workgroup_info 0
		.amdhsa_system_vgpr_workitem_id 1
		.amdhsa_next_free_vgpr 11
		.amdhsa_next_free_sgpr 20
		.amdhsa_reserve_vcc 1
		.amdhsa_reserve_flat_scratch 0
		.amdhsa_float_round_mode_32 0
		.amdhsa_float_round_mode_16_64 0
		.amdhsa_float_denorm_mode_32 3
		.amdhsa_float_denorm_mode_16_64 3
		.amdhsa_dx10_clamp 1
		.amdhsa_ieee_mode 1
		.amdhsa_fp16_overflow 0
		.amdhsa_exception_fp_ieee_invalid_op 0
		.amdhsa_exception_fp_denorm_src 0
		.amdhsa_exception_fp_ieee_div_zero 0
		.amdhsa_exception_fp_ieee_overflow 0
		.amdhsa_exception_fp_ieee_underflow 0
		.amdhsa_exception_fp_ieee_inexact 0
		.amdhsa_exception_int_div_zero 0
	.end_amdhsa_kernel
	.section	.text._ZN9rocsolver6v33100L21syevj_diag_rotate_orgILb0EffPfEEvbiT2_iilPT0_Pi,"axG",@progbits,_ZN9rocsolver6v33100L21syevj_diag_rotate_orgILb0EffPfEEvbiT2_iilPT0_Pi,comdat
.Lfunc_end7:
	.size	_ZN9rocsolver6v33100L21syevj_diag_rotate_orgILb0EffPfEEvbiT2_iilPT0_Pi, .Lfunc_end7-_ZN9rocsolver6v33100L21syevj_diag_rotate_orgILb0EffPfEEvbiT2_iilPT0_Pi
                                        ; -- End function
	.set _ZN9rocsolver6v33100L21syevj_diag_rotate_orgILb0EffPfEEvbiT2_iilPT0_Pi.num_vgpr, 11
	.set _ZN9rocsolver6v33100L21syevj_diag_rotate_orgILb0EffPfEEvbiT2_iilPT0_Pi.num_agpr, 0
	.set _ZN9rocsolver6v33100L21syevj_diag_rotate_orgILb0EffPfEEvbiT2_iilPT0_Pi.numbered_sgpr, 20
	.set _ZN9rocsolver6v33100L21syevj_diag_rotate_orgILb0EffPfEEvbiT2_iilPT0_Pi.num_named_barrier, 0
	.set _ZN9rocsolver6v33100L21syevj_diag_rotate_orgILb0EffPfEEvbiT2_iilPT0_Pi.private_seg_size, 0
	.set _ZN9rocsolver6v33100L21syevj_diag_rotate_orgILb0EffPfEEvbiT2_iilPT0_Pi.uses_vcc, 1
	.set _ZN9rocsolver6v33100L21syevj_diag_rotate_orgILb0EffPfEEvbiT2_iilPT0_Pi.uses_flat_scratch, 0
	.set _ZN9rocsolver6v33100L21syevj_diag_rotate_orgILb0EffPfEEvbiT2_iilPT0_Pi.has_dyn_sized_stack, 0
	.set _ZN9rocsolver6v33100L21syevj_diag_rotate_orgILb0EffPfEEvbiT2_iilPT0_Pi.has_recursion, 0
	.set _ZN9rocsolver6v33100L21syevj_diag_rotate_orgILb0EffPfEEvbiT2_iilPT0_Pi.has_indirect_call, 0
	.section	.AMDGPU.csdata,"",@progbits
; Kernel info:
; codeLenInByte = 444
; TotalNumSgprs: 24
; NumVgprs: 11
; ScratchSize: 0
; MemoryBound: 0
; FloatMode: 240
; IeeeMode: 1
; LDSByteSize: 0 bytes/workgroup (compile time only)
; SGPRBlocks: 2
; VGPRBlocks: 2
; NumSGPRsForWavesPerEU: 24
; NumVGPRsForWavesPerEU: 11
; Occupancy: 10
; WaveLimiterHint : 0
; COMPUTE_PGM_RSRC2:SCRATCH_EN: 0
; COMPUTE_PGM_RSRC2:USER_SGPR: 6
; COMPUTE_PGM_RSRC2:TRAP_HANDLER: 0
; COMPUTE_PGM_RSRC2:TGID_X_EN: 1
; COMPUTE_PGM_RSRC2:TGID_Y_EN: 1
; COMPUTE_PGM_RSRC2:TGID_Z_EN: 1
; COMPUTE_PGM_RSRC2:TIDIG_COMP_CNT: 1
	.section	.text._ZN9rocsolver6v33100L21syevj_diag_rotate_orgILb1EffPfEEvbiT2_iilPT0_Pi,"axG",@progbits,_ZN9rocsolver6v33100L21syevj_diag_rotate_orgILb1EffPfEEvbiT2_iilPT0_Pi,comdat
	.globl	_ZN9rocsolver6v33100L21syevj_diag_rotate_orgILb1EffPfEEvbiT2_iilPT0_Pi ; -- Begin function _ZN9rocsolver6v33100L21syevj_diag_rotate_orgILb1EffPfEEvbiT2_iilPT0_Pi
	.p2align	8
	.type	_ZN9rocsolver6v33100L21syevj_diag_rotate_orgILb1EffPfEEvbiT2_iilPT0_Pi,@function
_ZN9rocsolver6v33100L21syevj_diag_rotate_orgILb1EffPfEEvbiT2_iilPT0_Pi: ; @_ZN9rocsolver6v33100L21syevj_diag_rotate_orgILb1EffPfEEvbiT2_iilPT0_Pi
; %bb.0:
	s_load_dwordx2 s[2:3], s[4:5], 0x0
	s_load_dwordx2 s[0:1], s[4:5], 0x28
	s_waitcnt lgkmcnt(0)
	s_bitcmp1_b32 s2, 0
	s_cselect_b64 s[10:11], -1, 0
	s_ashr_i32 s9, s8, 31
	s_lshl_b64 s[12:13], s[8:9], 2
	s_add_u32 s0, s0, s12
	s_addc_u32 s1, s1, s13
	s_load_dword s0, s[0:1], 0x4
	s_waitcnt lgkmcnt(0)
	s_cmp_lg_u32 s0, 0
	s_cselect_b64 s[0:1], -1, 0
	s_cmp_eq_u32 s6, s7
	s_cselect_b64 s[12:13], -1, 0
	s_and_b64 s[10:11], s[12:13], s[10:11]
	s_or_b64 s[0:1], s[10:11], s[0:1]
	s_and_b64 vcc, exec, s[0:1]
	s_cbranch_vccnz .LBB8_7
; %bb.1:
	s_load_dword s2, s[4:5], 0x3c
	s_add_u32 s0, s4, 48
	s_addc_u32 s1, s5, 0
	s_waitcnt lgkmcnt(0)
	s_and_b32 s11, s2, 0xffff
	s_mul_i32 s10, s6, s11
	s_mul_i32 s7, s7, s11
	v_add_u32_e32 v4, s10, v0
	v_add_u32_e32 v1, s7, v1
	v_max_i32_e32 v2, v4, v1
	v_cmp_gt_i32_e32 vcc, s3, v2
	s_and_saveexec_b64 s[12:13], vcc
	s_cbranch_execz .LBB8_7
; %bb.2:
	s_load_dwordx8 s[12:19], s[4:5], 0x8
	s_sub_i32 s2, s3, s10
	s_min_i32 s3, s2, s11
	s_waitcnt lgkmcnt(0)
	s_mul_i32 s2, s16, s9
	s_mul_hi_u32 s7, s16, s8
	s_add_i32 s2, s7, s2
	s_mul_i32 s7, s17, s8
	s_add_i32 s17, s2, s7
	s_mul_i32 s16, s16, s8
	s_ashr_i32 s5, s14, 31
	s_lshl_b64 s[16:17], s[16:17], 2
	s_mov_b32 s4, s14
	s_add_u32 s2, s12, s16
	s_addc_u32 s7, s13, s17
	s_lshl_b64 s[4:5], s[4:5], 2
	v_mul_lo_u32 v5, v1, s15
	s_add_u32 s2, s2, s4
	s_addc_u32 s4, s7, s5
	s_cmp_lt_i32 s3, 1
	s_cbranch_scc1 .LBB8_5
; %bb.3:
	s_load_dword s0, s[0:1], 0x0
	v_lshlrev_b32_e32 v0, 2, v0
	v_mov_b32_e32 v6, 0
	v_add_u32_e32 v2, s10, v5
	v_mov_b32_e32 v7, s4
	s_waitcnt lgkmcnt(0)
	s_mul_i32 s0, s0, s8
	s_add_i32 s0, s0, s6
	s_mul_i32 s0, s0, s11
	s_mul_i32 s0, s0, s11
	s_ashr_i32 s1, s0, 31
	s_lshl_b64 s[0:1], s[0:1], 2
	s_add_u32 s0, s18, s0
	s_addc_u32 s1, s19, s1
	v_mov_b32_e32 v1, s1
	v_add_co_u32_e32 v0, vcc, s0, v0
	v_addc_co_u32_e32 v1, vcc, 0, v1, vcc
	s_lshl_b32 s0, s11, 2
.LBB8_4:                                ; =>This Inner Loop Header: Depth=1
	v_ashrrev_i32_e32 v3, 31, v2
	v_lshlrev_b64 v[8:9], 2, v[2:3]
	global_load_dword v10, v[0:1], off
	v_add_co_u32_e32 v8, vcc, s2, v8
	v_addc_co_u32_e32 v9, vcc, v7, v9, vcc
	global_load_dword v3, v[8:9], off
	s_add_i32 s3, s3, -1
	v_add_co_u32_e32 v0, vcc, s0, v0
	v_addc_co_u32_e32 v1, vcc, 0, v1, vcc
	v_add_u32_e32 v2, 1, v2
	s_cmp_lg_u32 s3, 0
	s_waitcnt vmcnt(0)
	v_fmac_f32_e32 v6, v10, v3
	s_cbranch_scc1 .LBB8_4
	s_branch .LBB8_6
.LBB8_5:
	v_mov_b32_e32 v6, 0
.LBB8_6:
	v_add_u32_e32 v0, v5, v4
	v_ashrrev_i32_e32 v1, 31, v0
	v_lshlrev_b64 v[0:1], 2, v[0:1]
	v_mov_b32_e32 v2, s4
	v_add_co_u32_e32 v0, vcc, s2, v0
	v_addc_co_u32_e32 v1, vcc, v2, v1, vcc
	s_barrier
	global_store_dword v[0:1], v6, off
.LBB8_7:
	s_endpgm
	.section	.rodata,"a",@progbits
	.p2align	6, 0x0
	.amdhsa_kernel _ZN9rocsolver6v33100L21syevj_diag_rotate_orgILb1EffPfEEvbiT2_iilPT0_Pi
		.amdhsa_group_segment_fixed_size 0
		.amdhsa_private_segment_fixed_size 0
		.amdhsa_kernarg_size 304
		.amdhsa_user_sgpr_count 6
		.amdhsa_user_sgpr_private_segment_buffer 1
		.amdhsa_user_sgpr_dispatch_ptr 0
		.amdhsa_user_sgpr_queue_ptr 0
		.amdhsa_user_sgpr_kernarg_segment_ptr 1
		.amdhsa_user_sgpr_dispatch_id 0
		.amdhsa_user_sgpr_flat_scratch_init 0
		.amdhsa_user_sgpr_private_segment_size 0
		.amdhsa_uses_dynamic_stack 0
		.amdhsa_system_sgpr_private_segment_wavefront_offset 0
		.amdhsa_system_sgpr_workgroup_id_x 1
		.amdhsa_system_sgpr_workgroup_id_y 1
		.amdhsa_system_sgpr_workgroup_id_z 1
		.amdhsa_system_sgpr_workgroup_info 0
		.amdhsa_system_vgpr_workitem_id 1
		.amdhsa_next_free_vgpr 11
		.amdhsa_next_free_sgpr 20
		.amdhsa_reserve_vcc 1
		.amdhsa_reserve_flat_scratch 0
		.amdhsa_float_round_mode_32 0
		.amdhsa_float_round_mode_16_64 0
		.amdhsa_float_denorm_mode_32 3
		.amdhsa_float_denorm_mode_16_64 3
		.amdhsa_dx10_clamp 1
		.amdhsa_ieee_mode 1
		.amdhsa_fp16_overflow 0
		.amdhsa_exception_fp_ieee_invalid_op 0
		.amdhsa_exception_fp_denorm_src 0
		.amdhsa_exception_fp_ieee_div_zero 0
		.amdhsa_exception_fp_ieee_overflow 0
		.amdhsa_exception_fp_ieee_underflow 0
		.amdhsa_exception_fp_ieee_inexact 0
		.amdhsa_exception_int_div_zero 0
	.end_amdhsa_kernel
	.section	.text._ZN9rocsolver6v33100L21syevj_diag_rotate_orgILb1EffPfEEvbiT2_iilPT0_Pi,"axG",@progbits,_ZN9rocsolver6v33100L21syevj_diag_rotate_orgILb1EffPfEEvbiT2_iilPT0_Pi,comdat
.Lfunc_end8:
	.size	_ZN9rocsolver6v33100L21syevj_diag_rotate_orgILb1EffPfEEvbiT2_iilPT0_Pi, .Lfunc_end8-_ZN9rocsolver6v33100L21syevj_diag_rotate_orgILb1EffPfEEvbiT2_iilPT0_Pi
                                        ; -- End function
	.set _ZN9rocsolver6v33100L21syevj_diag_rotate_orgILb1EffPfEEvbiT2_iilPT0_Pi.num_vgpr, 11
	.set _ZN9rocsolver6v33100L21syevj_diag_rotate_orgILb1EffPfEEvbiT2_iilPT0_Pi.num_agpr, 0
	.set _ZN9rocsolver6v33100L21syevj_diag_rotate_orgILb1EffPfEEvbiT2_iilPT0_Pi.numbered_sgpr, 20
	.set _ZN9rocsolver6v33100L21syevj_diag_rotate_orgILb1EffPfEEvbiT2_iilPT0_Pi.num_named_barrier, 0
	.set _ZN9rocsolver6v33100L21syevj_diag_rotate_orgILb1EffPfEEvbiT2_iilPT0_Pi.private_seg_size, 0
	.set _ZN9rocsolver6v33100L21syevj_diag_rotate_orgILb1EffPfEEvbiT2_iilPT0_Pi.uses_vcc, 1
	.set _ZN9rocsolver6v33100L21syevj_diag_rotate_orgILb1EffPfEEvbiT2_iilPT0_Pi.uses_flat_scratch, 0
	.set _ZN9rocsolver6v33100L21syevj_diag_rotate_orgILb1EffPfEEvbiT2_iilPT0_Pi.has_dyn_sized_stack, 0
	.set _ZN9rocsolver6v33100L21syevj_diag_rotate_orgILb1EffPfEEvbiT2_iilPT0_Pi.has_recursion, 0
	.set _ZN9rocsolver6v33100L21syevj_diag_rotate_orgILb1EffPfEEvbiT2_iilPT0_Pi.has_indirect_call, 0
	.section	.AMDGPU.csdata,"",@progbits
; Kernel info:
; codeLenInByte = 436
; TotalNumSgprs: 24
; NumVgprs: 11
; ScratchSize: 0
; MemoryBound: 0
; FloatMode: 240
; IeeeMode: 1
; LDSByteSize: 0 bytes/workgroup (compile time only)
; SGPRBlocks: 2
; VGPRBlocks: 2
; NumSGPRsForWavesPerEU: 24
; NumVGPRsForWavesPerEU: 11
; Occupancy: 10
; WaveLimiterHint : 0
; COMPUTE_PGM_RSRC2:SCRATCH_EN: 0
; COMPUTE_PGM_RSRC2:USER_SGPR: 6
; COMPUTE_PGM_RSRC2:TRAP_HANDLER: 0
; COMPUTE_PGM_RSRC2:TGID_X_EN: 1
; COMPUTE_PGM_RSRC2:TGID_Y_EN: 1
; COMPUTE_PGM_RSRC2:TGID_Z_EN: 1
; COMPUTE_PGM_RSRC2:TIDIG_COMP_CNT: 1
	.text
	.p2align	2                               ; -- Begin function __ockl_fprintf_append_string_n
	.type	__ockl_fprintf_append_string_n,@function
__ockl_fprintf_append_string_n:         ; @__ockl_fprintf_append_string_n
; %bb.0:
	s_waitcnt vmcnt(0) expcnt(0) lgkmcnt(0)
	v_or_b32_e32 v2, 2, v0
	v_cmp_eq_u32_e32 vcc, 0, v6
	s_getpc_b64 s[4:5]
	s_add_u32 s4, s4, .str.3@rel32@lo+4
	s_addc_u32 s5, s5, .str.3@rel32@hi+12
	s_mov_b32 s20, 0
	v_cndmask_b32_e32 v36, v2, v0, vcc
	s_mov_b64 s[6:7], 0
	s_cmp_lg_u64 s[4:5], 0
	v_mbcnt_lo_u32_b32 v37, -1, 0
	s_cbranch_scc0 .LBB9_112
; %bb.1:
	s_load_dwordx2 s[10:11], s[8:9], 0x50
	s_getpc_b64 s[4:5]
	s_add_u32 s4, s4, .str.3@rel32@lo+4
	s_addc_u32 s5, s5, .str.3@rel32@hi+12
	v_and_b32_e32 v0, -3, v36
	v_mov_b32_e32 v31, s5
	v_mov_b32_e32 v11, v1
	v_and_b32_e32 v38, 2, v36
	v_mov_b32_e32 v3, 0
	v_mbcnt_hi_u32_b32 v39, -1, v37
	v_mov_b32_e32 v30, s4
	s_movk_i32 s21, 0x1e0
	v_mov_b32_e32 v8, 2
	v_mov_b32_e32 v9, 1
	v_mov_b32_e32 v10, v0
	s_branch .LBB9_3
.LBB9_2:                                ;   in Loop: Header=BB9_3 Depth=1
	s_or_b64 exec, exec, s[14:15]
	v_sub_co_u32_e32 v4, vcc, v4, v32
	v_subb_co_u32_e32 v5, vcc, v5, v33, vcc
	v_cmp_eq_u64_e32 vcc, 0, v[4:5]
	s_or_b64 s[6:7], vcc, s[6:7]
	v_add_co_u32_e32 v30, vcc, v30, v32
	v_addc_co_u32_e32 v31, vcc, v31, v33, vcc
	s_andn2_b64 exec, exec, s[6:7]
	s_cbranch_execz .LBB9_85
.LBB9_3:                                ; =>This Loop Header: Depth=1
                                        ;     Child Loop BB9_6 Depth 2
                                        ;     Child Loop BB9_14 Depth 2
	;; [unrolled: 1-line block ×11, first 2 shown]
	v_cmp_gt_u64_e32 vcc, 56, v[4:5]
	v_add_co_u32_e64 v16, s[4:5], 8, v30
	v_cndmask_b32_e32 v33, 0, v5, vcc
	v_cndmask_b32_e32 v32, 56, v4, vcc
	v_cmp_gt_u64_e32 vcc, 8, v[4:5]
	v_addc_co_u32_e64 v17, s[4:5], 0, v31, s[4:5]
	s_and_saveexec_b64 s[4:5], vcc
	s_xor_b64 s[4:5], exec, s[4:5]
	s_cbranch_execz .LBB9_9
; %bb.4:                                ;   in Loop: Header=BB9_3 Depth=1
	s_waitcnt vmcnt(0)
	v_mov_b32_e32 v12, 0
	v_cmp_ne_u64_e32 vcc, 0, v[4:5]
	v_mov_b32_e32 v13, 0
	s_and_saveexec_b64 s[12:13], vcc
	s_cbranch_execz .LBB9_8
; %bb.5:                                ;   in Loop: Header=BB9_3 Depth=1
	v_lshlrev_b64 v[6:7], 3, v[32:33]
	v_mov_b32_e32 v12, 0
	v_mov_b32_e32 v14, v30
	s_mov_b64 s[14:15], 0
	v_mov_b32_e32 v13, 0
	v_mov_b32_e32 v15, v31
	s_mov_b64 s[16:17], 0
.LBB9_6:                                ;   Parent Loop BB9_3 Depth=1
                                        ; =>  This Inner Loop Header: Depth=2
	global_load_ubyte v0, v[14:15], off
	v_mov_b32_e32 v17, s20
	v_add_co_u32_e32 v14, vcc, 1, v14
	v_addc_co_u32_e32 v15, vcc, 0, v15, vcc
	s_waitcnt vmcnt(0)
	v_and_b32_e32 v16, 0xffff, v0
	v_lshlrev_b64 v[16:17], s16, v[16:17]
	s_add_u32 s16, s16, 8
	s_addc_u32 s17, s17, 0
	v_cmp_eq_u32_e32 vcc, s16, v6
	v_or_b32_e32 v13, v17, v13
	s_or_b64 s[14:15], vcc, s[14:15]
	v_or_b32_e32 v12, v16, v12
	s_andn2_b64 exec, exec, s[14:15]
	s_cbranch_execnz .LBB9_6
; %bb.7:                                ;   in Loop: Header=BB9_3 Depth=1
	s_or_b64 exec, exec, s[14:15]
.LBB9_8:                                ;   in Loop: Header=BB9_3 Depth=1
	s_or_b64 exec, exec, s[12:13]
	v_mov_b32_e32 v16, v30
	v_mov_b32_e32 v17, v31
.LBB9_9:                                ;   in Loop: Header=BB9_3 Depth=1
	s_or_saveexec_b64 s[4:5], s[4:5]
	v_mov_b32_e32 v0, 0
	s_xor_b64 exec, exec, s[4:5]
	s_cbranch_execz .LBB9_11
; %bb.10:                               ;   in Loop: Header=BB9_3 Depth=1
	global_load_dwordx2 v[12:13], v[30:31], off
	v_add_u32_e32 v0, -8, v32
.LBB9_11:                               ;   in Loop: Header=BB9_3 Depth=1
	s_or_b64 exec, exec, s[4:5]
	v_add_co_u32_e64 v6, s[4:5], 8, v16
	v_cmp_gt_u32_e32 vcc, 8, v0
	v_addc_co_u32_e64 v7, s[4:5], 0, v17, s[4:5]
                                        ; implicit-def: $vgpr14_vgpr15
	s_and_saveexec_b64 s[4:5], vcc
	s_xor_b64 s[4:5], exec, s[4:5]
	s_cbranch_execz .LBB9_17
; %bb.12:                               ;   in Loop: Header=BB9_3 Depth=1
	v_mov_b32_e32 v14, 0
	v_mov_b32_e32 v15, 0
	v_cmp_ne_u32_e32 vcc, 0, v0
	s_and_saveexec_b64 s[12:13], vcc
	s_cbranch_execz .LBB9_16
; %bb.13:                               ;   in Loop: Header=BB9_3 Depth=1
	v_mov_b32_e32 v14, 0
	s_mov_b64 s[14:15], 0
	v_mov_b32_e32 v15, 0
	s_mov_b64 s[16:17], 0
	s_mov_b64 s[18:19], 0
.LBB9_14:                               ;   Parent Loop BB9_3 Depth=1
                                        ; =>  This Inner Loop Header: Depth=2
	v_mov_b32_e32 v2, s19
	v_add_co_u32_e32 v6, vcc, s18, v16
	v_addc_co_u32_e32 v7, vcc, v17, v2, vcc
	global_load_ubyte v2, v[6:7], off
	s_add_u32 s18, s18, 1
	v_mov_b32_e32 v7, s20
	s_addc_u32 s19, s19, 0
	v_cmp_eq_u32_e32 vcc, s18, v0
	s_waitcnt vmcnt(0)
	v_and_b32_e32 v6, 0xffff, v2
	v_lshlrev_b64 v[6:7], s16, v[6:7]
	s_add_u32 s16, s16, 8
	s_addc_u32 s17, s17, 0
	v_or_b32_e32 v15, v7, v15
	s_or_b64 s[14:15], vcc, s[14:15]
	v_or_b32_e32 v14, v6, v14
	s_andn2_b64 exec, exec, s[14:15]
	s_cbranch_execnz .LBB9_14
; %bb.15:                               ;   in Loop: Header=BB9_3 Depth=1
	s_or_b64 exec, exec, s[14:15]
.LBB9_16:                               ;   in Loop: Header=BB9_3 Depth=1
	s_or_b64 exec, exec, s[12:13]
	v_mov_b32_e32 v6, v16
	v_mov_b32_e32 v7, v17
                                        ; implicit-def: $vgpr0
.LBB9_17:                               ;   in Loop: Header=BB9_3 Depth=1
	s_or_saveexec_b64 s[4:5], s[4:5]
	v_mov_b32_e32 v2, 0
	s_xor_b64 exec, exec, s[4:5]
	s_cbranch_execz .LBB9_19
; %bb.18:                               ;   in Loop: Header=BB9_3 Depth=1
	global_load_dwordx2 v[14:15], v[16:17], off
	v_add_u32_e32 v2, -8, v0
.LBB9_19:                               ;   in Loop: Header=BB9_3 Depth=1
	s_or_b64 exec, exec, s[4:5]
	v_add_co_u32_e64 v20, s[4:5], 8, v6
	v_cmp_gt_u32_e32 vcc, 8, v2
	v_addc_co_u32_e64 v21, s[4:5], 0, v7, s[4:5]
	s_and_saveexec_b64 s[4:5], vcc
	s_xor_b64 s[4:5], exec, s[4:5]
	s_cbranch_execz .LBB9_25
; %bb.20:                               ;   in Loop: Header=BB9_3 Depth=1
	v_mov_b32_e32 v16, 0
	v_mov_b32_e32 v17, 0
	v_cmp_ne_u32_e32 vcc, 0, v2
	s_and_saveexec_b64 s[12:13], vcc
	s_cbranch_execz .LBB9_24
; %bb.21:                               ;   in Loop: Header=BB9_3 Depth=1
	v_mov_b32_e32 v16, 0
	s_mov_b64 s[14:15], 0
	v_mov_b32_e32 v17, 0
	s_mov_b64 s[16:17], 0
	s_mov_b64 s[18:19], 0
.LBB9_22:                               ;   Parent Loop BB9_3 Depth=1
                                        ; =>  This Inner Loop Header: Depth=2
	v_mov_b32_e32 v0, s19
	v_add_co_u32_e32 v18, vcc, s18, v6
	v_addc_co_u32_e32 v19, vcc, v7, v0, vcc
	global_load_ubyte v0, v[18:19], off
	s_add_u32 s18, s18, 1
	v_mov_b32_e32 v19, s20
	s_addc_u32 s19, s19, 0
	v_cmp_eq_u32_e32 vcc, s18, v2
	s_waitcnt vmcnt(0)
	v_and_b32_e32 v18, 0xffff, v0
	v_lshlrev_b64 v[18:19], s16, v[18:19]
	s_add_u32 s16, s16, 8
	s_addc_u32 s17, s17, 0
	v_or_b32_e32 v17, v19, v17
	s_or_b64 s[14:15], vcc, s[14:15]
	v_or_b32_e32 v16, v18, v16
	s_andn2_b64 exec, exec, s[14:15]
	s_cbranch_execnz .LBB9_22
; %bb.23:                               ;   in Loop: Header=BB9_3 Depth=1
	s_or_b64 exec, exec, s[14:15]
.LBB9_24:                               ;   in Loop: Header=BB9_3 Depth=1
	s_or_b64 exec, exec, s[12:13]
	v_mov_b32_e32 v21, v7
	v_mov_b32_e32 v20, v6
                                        ; implicit-def: $vgpr2
.LBB9_25:                               ;   in Loop: Header=BB9_3 Depth=1
	s_or_saveexec_b64 s[4:5], s[4:5]
	v_mov_b32_e32 v0, 0
	s_xor_b64 exec, exec, s[4:5]
	s_cbranch_execz .LBB9_27
; %bb.26:                               ;   in Loop: Header=BB9_3 Depth=1
	global_load_dwordx2 v[16:17], v[6:7], off
	v_add_u32_e32 v0, -8, v2
.LBB9_27:                               ;   in Loop: Header=BB9_3 Depth=1
	s_or_b64 exec, exec, s[4:5]
	v_add_co_u32_e64 v6, s[4:5], 8, v20
	v_cmp_gt_u32_e32 vcc, 8, v0
	v_addc_co_u32_e64 v7, s[4:5], 0, v21, s[4:5]
                                        ; implicit-def: $vgpr18_vgpr19
	s_and_saveexec_b64 s[4:5], vcc
	s_xor_b64 s[4:5], exec, s[4:5]
	s_cbranch_execz .LBB9_33
; %bb.28:                               ;   in Loop: Header=BB9_3 Depth=1
	v_mov_b32_e32 v18, 0
	v_mov_b32_e32 v19, 0
	v_cmp_ne_u32_e32 vcc, 0, v0
	s_and_saveexec_b64 s[12:13], vcc
	s_cbranch_execz .LBB9_32
; %bb.29:                               ;   in Loop: Header=BB9_3 Depth=1
	v_mov_b32_e32 v18, 0
	s_mov_b64 s[14:15], 0
	v_mov_b32_e32 v19, 0
	s_mov_b64 s[16:17], 0
	s_mov_b64 s[18:19], 0
.LBB9_30:                               ;   Parent Loop BB9_3 Depth=1
                                        ; =>  This Inner Loop Header: Depth=2
	v_mov_b32_e32 v2, s19
	v_add_co_u32_e32 v6, vcc, s18, v20
	v_addc_co_u32_e32 v7, vcc, v21, v2, vcc
	global_load_ubyte v2, v[6:7], off
	s_add_u32 s18, s18, 1
	v_mov_b32_e32 v7, s20
	s_addc_u32 s19, s19, 0
	v_cmp_eq_u32_e32 vcc, s18, v0
	s_waitcnt vmcnt(0)
	v_and_b32_e32 v6, 0xffff, v2
	v_lshlrev_b64 v[6:7], s16, v[6:7]
	s_add_u32 s16, s16, 8
	s_addc_u32 s17, s17, 0
	v_or_b32_e32 v19, v7, v19
	s_or_b64 s[14:15], vcc, s[14:15]
	v_or_b32_e32 v18, v6, v18
	s_andn2_b64 exec, exec, s[14:15]
	s_cbranch_execnz .LBB9_30
; %bb.31:                               ;   in Loop: Header=BB9_3 Depth=1
	s_or_b64 exec, exec, s[14:15]
.LBB9_32:                               ;   in Loop: Header=BB9_3 Depth=1
	s_or_b64 exec, exec, s[12:13]
	v_mov_b32_e32 v6, v20
	v_mov_b32_e32 v7, v21
                                        ; implicit-def: $vgpr0
.LBB9_33:                               ;   in Loop: Header=BB9_3 Depth=1
	s_or_saveexec_b64 s[4:5], s[4:5]
	v_mov_b32_e32 v2, 0
	s_xor_b64 exec, exec, s[4:5]
	s_cbranch_execz .LBB9_35
; %bb.34:                               ;   in Loop: Header=BB9_3 Depth=1
	global_load_dwordx2 v[18:19], v[20:21], off
	v_add_u32_e32 v2, -8, v0
.LBB9_35:                               ;   in Loop: Header=BB9_3 Depth=1
	s_or_b64 exec, exec, s[4:5]
	v_add_co_u32_e64 v24, s[4:5], 8, v6
	v_cmp_gt_u32_e32 vcc, 8, v2
	v_addc_co_u32_e64 v25, s[4:5], 0, v7, s[4:5]
	s_and_saveexec_b64 s[4:5], vcc
	s_xor_b64 s[4:5], exec, s[4:5]
	s_cbranch_execz .LBB9_41
; %bb.36:                               ;   in Loop: Header=BB9_3 Depth=1
	v_mov_b32_e32 v20, 0
	v_mov_b32_e32 v21, 0
	v_cmp_ne_u32_e32 vcc, 0, v2
	s_and_saveexec_b64 s[12:13], vcc
	s_cbranch_execz .LBB9_40
; %bb.37:                               ;   in Loop: Header=BB9_3 Depth=1
	v_mov_b32_e32 v20, 0
	s_mov_b64 s[14:15], 0
	v_mov_b32_e32 v21, 0
	s_mov_b64 s[16:17], 0
	s_mov_b64 s[18:19], 0
.LBB9_38:                               ;   Parent Loop BB9_3 Depth=1
                                        ; =>  This Inner Loop Header: Depth=2
	v_mov_b32_e32 v0, s19
	v_add_co_u32_e32 v22, vcc, s18, v6
	v_addc_co_u32_e32 v23, vcc, v7, v0, vcc
	global_load_ubyte v0, v[22:23], off
	s_add_u32 s18, s18, 1
	v_mov_b32_e32 v23, s20
	s_addc_u32 s19, s19, 0
	v_cmp_eq_u32_e32 vcc, s18, v2
	s_waitcnt vmcnt(0)
	v_and_b32_e32 v22, 0xffff, v0
	v_lshlrev_b64 v[22:23], s16, v[22:23]
	s_add_u32 s16, s16, 8
	s_addc_u32 s17, s17, 0
	v_or_b32_e32 v21, v23, v21
	s_or_b64 s[14:15], vcc, s[14:15]
	v_or_b32_e32 v20, v22, v20
	s_andn2_b64 exec, exec, s[14:15]
	s_cbranch_execnz .LBB9_38
; %bb.39:                               ;   in Loop: Header=BB9_3 Depth=1
	s_or_b64 exec, exec, s[14:15]
.LBB9_40:                               ;   in Loop: Header=BB9_3 Depth=1
	s_or_b64 exec, exec, s[12:13]
	v_mov_b32_e32 v25, v7
	v_mov_b32_e32 v24, v6
                                        ; implicit-def: $vgpr2
.LBB9_41:                               ;   in Loop: Header=BB9_3 Depth=1
	s_or_saveexec_b64 s[4:5], s[4:5]
	v_mov_b32_e32 v0, 0
	s_xor_b64 exec, exec, s[4:5]
	s_cbranch_execz .LBB9_43
; %bb.42:                               ;   in Loop: Header=BB9_3 Depth=1
	global_load_dwordx2 v[20:21], v[6:7], off
	v_add_u32_e32 v0, -8, v2
.LBB9_43:                               ;   in Loop: Header=BB9_3 Depth=1
	s_or_b64 exec, exec, s[4:5]
	v_add_co_u32_e64 v6, s[4:5], 8, v24
	v_cmp_gt_u32_e32 vcc, 8, v0
	v_addc_co_u32_e64 v7, s[4:5], 0, v25, s[4:5]
                                        ; implicit-def: $vgpr22_vgpr23
	s_and_saveexec_b64 s[4:5], vcc
	s_xor_b64 s[4:5], exec, s[4:5]
	s_cbranch_execz .LBB9_49
; %bb.44:                               ;   in Loop: Header=BB9_3 Depth=1
	v_mov_b32_e32 v22, 0
	v_mov_b32_e32 v23, 0
	v_cmp_ne_u32_e32 vcc, 0, v0
	s_and_saveexec_b64 s[12:13], vcc
	s_cbranch_execz .LBB9_48
; %bb.45:                               ;   in Loop: Header=BB9_3 Depth=1
	v_mov_b32_e32 v22, 0
	s_mov_b64 s[14:15], 0
	v_mov_b32_e32 v23, 0
	s_mov_b64 s[16:17], 0
	s_mov_b64 s[18:19], 0
.LBB9_46:                               ;   Parent Loop BB9_3 Depth=1
                                        ; =>  This Inner Loop Header: Depth=2
	v_mov_b32_e32 v2, s19
	v_add_co_u32_e32 v6, vcc, s18, v24
	v_addc_co_u32_e32 v7, vcc, v25, v2, vcc
	global_load_ubyte v2, v[6:7], off
	s_add_u32 s18, s18, 1
	v_mov_b32_e32 v7, s20
	s_addc_u32 s19, s19, 0
	v_cmp_eq_u32_e32 vcc, s18, v0
	s_waitcnt vmcnt(0)
	v_and_b32_e32 v6, 0xffff, v2
	v_lshlrev_b64 v[6:7], s16, v[6:7]
	s_add_u32 s16, s16, 8
	s_addc_u32 s17, s17, 0
	v_or_b32_e32 v23, v7, v23
	s_or_b64 s[14:15], vcc, s[14:15]
	v_or_b32_e32 v22, v6, v22
	s_andn2_b64 exec, exec, s[14:15]
	s_cbranch_execnz .LBB9_46
; %bb.47:                               ;   in Loop: Header=BB9_3 Depth=1
	s_or_b64 exec, exec, s[14:15]
.LBB9_48:                               ;   in Loop: Header=BB9_3 Depth=1
	s_or_b64 exec, exec, s[12:13]
	v_mov_b32_e32 v6, v24
	v_mov_b32_e32 v7, v25
                                        ; implicit-def: $vgpr0
.LBB9_49:                               ;   in Loop: Header=BB9_3 Depth=1
	s_or_saveexec_b64 s[4:5], s[4:5]
	v_mov_b32_e32 v2, 0
	s_xor_b64 exec, exec, s[4:5]
	s_cbranch_execz .LBB9_51
; %bb.50:                               ;   in Loop: Header=BB9_3 Depth=1
	global_load_dwordx2 v[22:23], v[24:25], off
	v_add_u32_e32 v2, -8, v0
.LBB9_51:                               ;   in Loop: Header=BB9_3 Depth=1
	s_or_b64 exec, exec, s[4:5]
	v_cmp_gt_u32_e32 vcc, 8, v2
	s_and_saveexec_b64 s[4:5], vcc
	s_xor_b64 s[4:5], exec, s[4:5]
	s_cbranch_execz .LBB9_57
; %bb.52:                               ;   in Loop: Header=BB9_3 Depth=1
	v_mov_b32_e32 v24, 0
	v_mov_b32_e32 v25, 0
	v_cmp_ne_u32_e32 vcc, 0, v2
	s_and_saveexec_b64 s[12:13], vcc
	s_cbranch_execz .LBB9_56
; %bb.53:                               ;   in Loop: Header=BB9_3 Depth=1
	v_mov_b32_e32 v24, 0
	s_mov_b64 s[14:15], 0
	v_mov_b32_e32 v25, 0
	s_mov_b64 s[16:17], 0
.LBB9_54:                               ;   Parent Loop BB9_3 Depth=1
                                        ; =>  This Inner Loop Header: Depth=2
	global_load_ubyte v0, v[6:7], off
	v_mov_b32_e32 v27, s20
	v_add_co_u32_e32 v6, vcc, 1, v6
	v_add_u32_e32 v2, -1, v2
	v_addc_co_u32_e32 v7, vcc, 0, v7, vcc
	v_cmp_eq_u32_e32 vcc, 0, v2
	s_waitcnt vmcnt(0)
	v_and_b32_e32 v26, 0xffff, v0
	v_lshlrev_b64 v[26:27], s16, v[26:27]
	s_add_u32 s16, s16, 8
	s_addc_u32 s17, s17, 0
	v_or_b32_e32 v25, v27, v25
	s_or_b64 s[14:15], vcc, s[14:15]
	v_or_b32_e32 v24, v26, v24
	s_andn2_b64 exec, exec, s[14:15]
	s_cbranch_execnz .LBB9_54
; %bb.55:                               ;   in Loop: Header=BB9_3 Depth=1
	s_or_b64 exec, exec, s[14:15]
.LBB9_56:                               ;   in Loop: Header=BB9_3 Depth=1
	s_or_b64 exec, exec, s[12:13]
                                        ; implicit-def: $vgpr6_vgpr7
.LBB9_57:                               ;   in Loop: Header=BB9_3 Depth=1
	s_andn2_saveexec_b64 s[4:5], s[4:5]
	s_cbranch_execz .LBB9_59
; %bb.58:                               ;   in Loop: Header=BB9_3 Depth=1
	global_load_dwordx2 v[24:25], v[6:7], off
.LBB9_59:                               ;   in Loop: Header=BB9_3 Depth=1
	s_or_b64 exec, exec, s[4:5]
	v_readfirstlane_b32 s4, v39
	v_mov_b32_e32 v6, 0
	v_mov_b32_e32 v7, 0
	v_cmp_eq_u32_e64 s[4:5], s4, v39
	s_and_saveexec_b64 s[12:13], s[4:5]
	s_cbranch_execz .LBB9_65
; %bb.60:                               ;   in Loop: Header=BB9_3 Depth=1
	s_waitcnt lgkmcnt(0)
	global_load_dwordx2 v[28:29], v3, s[10:11] offset:24 glc
	s_waitcnt vmcnt(0)
	buffer_wbinvl1_vol
	global_load_dwordx2 v[6:7], v3, s[10:11] offset:40
	global_load_dwordx2 v[26:27], v3, s[10:11]
	s_waitcnt vmcnt(1)
	v_and_b32_e32 v0, v6, v28
	v_and_b32_e32 v2, v7, v29
	v_mul_lo_u32 v2, v2, 24
	v_mul_hi_u32 v6, v0, 24
	v_mul_lo_u32 v0, v0, 24
	v_add_u32_e32 v2, v6, v2
	s_waitcnt vmcnt(0)
	v_add_co_u32_e32 v6, vcc, v26, v0
	v_addc_co_u32_e32 v7, vcc, v27, v2, vcc
	global_load_dwordx2 v[26:27], v[6:7], off glc
	s_waitcnt vmcnt(0)
	global_atomic_cmpswap_x2 v[6:7], v3, v[26:29], s[10:11] offset:24 glc
	s_waitcnt vmcnt(0)
	buffer_wbinvl1_vol
	v_cmp_ne_u64_e32 vcc, v[6:7], v[28:29]
	s_and_saveexec_b64 s[14:15], vcc
	s_cbranch_execz .LBB9_64
; %bb.61:                               ;   in Loop: Header=BB9_3 Depth=1
	s_mov_b64 s[16:17], 0
.LBB9_62:                               ;   Parent Loop BB9_3 Depth=1
                                        ; =>  This Inner Loop Header: Depth=2
	s_sleep 1
	global_load_dwordx2 v[26:27], v3, s[10:11] offset:40
	global_load_dwordx2 v[34:35], v3, s[10:11]
	v_mov_b32_e32 v29, v7
	v_mov_b32_e32 v28, v6
	s_waitcnt vmcnt(1)
	v_and_b32_e32 v0, v26, v28
	s_waitcnt vmcnt(0)
	v_mad_u64_u32 v[6:7], s[18:19], v0, 24, v[34:35]
	v_and_b32_e32 v2, v27, v29
	v_mov_b32_e32 v0, v7
	v_mad_u64_u32 v[26:27], s[18:19], v2, 24, v[0:1]
	v_mov_b32_e32 v7, v26
	global_load_dwordx2 v[26:27], v[6:7], off glc
	s_waitcnt vmcnt(0)
	global_atomic_cmpswap_x2 v[6:7], v3, v[26:29], s[10:11] offset:24 glc
	s_waitcnt vmcnt(0)
	buffer_wbinvl1_vol
	v_cmp_eq_u64_e32 vcc, v[6:7], v[28:29]
	s_or_b64 s[16:17], vcc, s[16:17]
	s_andn2_b64 exec, exec, s[16:17]
	s_cbranch_execnz .LBB9_62
; %bb.63:                               ;   in Loop: Header=BB9_3 Depth=1
	s_or_b64 exec, exec, s[16:17]
.LBB9_64:                               ;   in Loop: Header=BB9_3 Depth=1
	s_or_b64 exec, exec, s[14:15]
.LBB9_65:                               ;   in Loop: Header=BB9_3 Depth=1
	s_or_b64 exec, exec, s[12:13]
	s_waitcnt lgkmcnt(0)
	global_load_dwordx2 v[34:35], v3, s[10:11] offset:40
	global_load_dwordx4 v[26:29], v3, s[10:11]
	v_readfirstlane_b32 s13, v7
	v_readfirstlane_b32 s12, v6
	s_mov_b64 s[14:15], exec
	s_waitcnt vmcnt(1)
	v_readfirstlane_b32 s16, v34
	v_readfirstlane_b32 s17, v35
	s_and_b64 s[16:17], s[16:17], s[12:13]
	s_mul_i32 s18, s17, 24
	s_mul_hi_u32 s19, s16, 24
	s_mul_i32 s22, s16, 24
	s_add_i32 s18, s19, s18
	v_mov_b32_e32 v0, s18
	s_waitcnt vmcnt(0)
	v_add_co_u32_e32 v34, vcc, s22, v26
	v_addc_co_u32_e32 v35, vcc, v27, v0, vcc
	s_and_saveexec_b64 s[18:19], s[4:5]
	s_cbranch_execz .LBB9_67
; %bb.66:                               ;   in Loop: Header=BB9_3 Depth=1
	v_mov_b32_e32 v6, s14
	v_mov_b32_e32 v7, s15
	global_store_dwordx4 v[34:35], v[6:9], off offset:8
.LBB9_67:                               ;   in Loop: Header=BB9_3 Depth=1
	s_or_b64 exec, exec, s[18:19]
	s_lshl_b64 s[14:15], s[16:17], 12
	v_mov_b32_e32 v2, s15
	v_add_co_u32_e32 v0, vcc, s14, v28
	v_addc_co_u32_e32 v28, vcc, v29, v2, vcc
	v_cmp_gt_u64_e32 vcc, 57, v[4:5]
	v_and_b32_e32 v7, 0xffffff1f, v10
	v_cndmask_b32_e32 v2, 0, v38, vcc
	v_lshl_add_u32 v6, v32, 2, 28
	v_or_b32_e32 v2, v7, v2
	v_and_or_b32 v10, v6, s21, v2
	v_lshlrev_b32_e32 v29, 6, v39
	v_readfirstlane_b32 s14, v0
	v_readfirstlane_b32 s15, v28
	s_nop 4
	global_store_dwordx4 v29, v[10:13], s[14:15]
	global_store_dwordx4 v29, v[14:17], s[14:15] offset:16
	global_store_dwordx4 v29, v[18:21], s[14:15] offset:32
	;; [unrolled: 1-line block ×3, first 2 shown]
	s_and_saveexec_b64 s[14:15], s[4:5]
	s_cbranch_execz .LBB9_75
; %bb.68:                               ;   in Loop: Header=BB9_3 Depth=1
	global_load_dwordx2 v[14:15], v3, s[10:11] offset:32 glc
	global_load_dwordx2 v[6:7], v3, s[10:11] offset:40
	v_mov_b32_e32 v12, s12
	v_mov_b32_e32 v13, s13
	s_waitcnt vmcnt(0)
	v_readfirstlane_b32 s16, v6
	v_readfirstlane_b32 s17, v7
	s_and_b64 s[16:17], s[16:17], s[12:13]
	s_mul_i32 s17, s17, 24
	s_mul_hi_u32 s18, s16, 24
	s_mul_i32 s16, s16, 24
	s_add_i32 s17, s18, s17
	v_mov_b32_e32 v2, s17
	v_add_co_u32_e32 v6, vcc, s16, v26
	v_addc_co_u32_e32 v7, vcc, v27, v2, vcc
	global_store_dwordx2 v[6:7], v[14:15], off
	s_waitcnt vmcnt(0)
	global_atomic_cmpswap_x2 v[12:13], v3, v[12:15], s[10:11] offset:32 glc
	s_waitcnt vmcnt(0)
	v_cmp_ne_u64_e32 vcc, v[12:13], v[14:15]
	s_and_saveexec_b64 s[16:17], vcc
	s_cbranch_execz .LBB9_71
; %bb.69:                               ;   in Loop: Header=BB9_3 Depth=1
	s_mov_b64 s[18:19], 0
.LBB9_70:                               ;   Parent Loop BB9_3 Depth=1
                                        ; =>  This Inner Loop Header: Depth=2
	s_sleep 1
	global_store_dwordx2 v[6:7], v[12:13], off
	v_mov_b32_e32 v10, s12
	v_mov_b32_e32 v11, s13
	s_waitcnt vmcnt(0)
	global_atomic_cmpswap_x2 v[10:11], v3, v[10:13], s[10:11] offset:32 glc
	s_waitcnt vmcnt(0)
	v_cmp_eq_u64_e32 vcc, v[10:11], v[12:13]
	v_mov_b32_e32 v13, v11
	s_or_b64 s[18:19], vcc, s[18:19]
	v_mov_b32_e32 v12, v10
	s_andn2_b64 exec, exec, s[18:19]
	s_cbranch_execnz .LBB9_70
.LBB9_71:                               ;   in Loop: Header=BB9_3 Depth=1
	s_or_b64 exec, exec, s[16:17]
	global_load_dwordx2 v[6:7], v3, s[10:11] offset:16
	s_mov_b64 s[18:19], exec
	v_mbcnt_lo_u32_b32 v2, s18, 0
	v_mbcnt_hi_u32_b32 v2, s19, v2
	v_cmp_eq_u32_e32 vcc, 0, v2
	s_and_saveexec_b64 s[16:17], vcc
	s_cbranch_execz .LBB9_73
; %bb.72:                               ;   in Loop: Header=BB9_3 Depth=1
	s_bcnt1_i32_b64 s18, s[18:19]
	v_mov_b32_e32 v2, s18
	s_waitcnt vmcnt(0)
	global_atomic_add_x2 v[6:7], v[2:3], off offset:8
.LBB9_73:                               ;   in Loop: Header=BB9_3 Depth=1
	s_or_b64 exec, exec, s[16:17]
	s_waitcnt vmcnt(0)
	global_load_dwordx2 v[10:11], v[6:7], off offset:16
	s_waitcnt vmcnt(0)
	v_cmp_eq_u64_e32 vcc, 0, v[10:11]
	s_cbranch_vccnz .LBB9_75
; %bb.74:                               ;   in Loop: Header=BB9_3 Depth=1
	global_load_dword v2, v[6:7], off offset:24
	s_waitcnt vmcnt(0)
	v_readfirstlane_b32 s16, v2
	s_and_b32 m0, s16, 0xffffff
	global_store_dwordx2 v[10:11], v[2:3], off
	s_sendmsg sendmsg(MSG_INTERRUPT)
.LBB9_75:                               ;   in Loop: Header=BB9_3 Depth=1
	s_or_b64 exec, exec, s[14:15]
	v_add_co_u32_e32 v6, vcc, v0, v29
	v_addc_co_u32_e32 v7, vcc, 0, v28, vcc
	s_branch .LBB9_79
.LBB9_76:                               ;   in Loop: Header=BB9_79 Depth=2
	s_or_b64 exec, exec, s[14:15]
	v_readfirstlane_b32 s14, v0
	s_cmp_eq_u32 s14, 0
	s_cbranch_scc1 .LBB9_78
; %bb.77:                               ;   in Loop: Header=BB9_79 Depth=2
	s_sleep 1
	s_cbranch_execnz .LBB9_79
	s_branch .LBB9_81
.LBB9_78:                               ;   in Loop: Header=BB9_3 Depth=1
	s_branch .LBB9_81
.LBB9_79:                               ;   Parent Loop BB9_3 Depth=1
                                        ; =>  This Inner Loop Header: Depth=2
	v_mov_b32_e32 v0, 1
	s_and_saveexec_b64 s[14:15], s[4:5]
	s_cbranch_execz .LBB9_76
; %bb.80:                               ;   in Loop: Header=BB9_79 Depth=2
	global_load_dword v0, v[34:35], off offset:20 glc
	s_waitcnt vmcnt(0)
	buffer_wbinvl1_vol
	v_and_b32_e32 v0, 1, v0
	s_branch .LBB9_76
.LBB9_81:                               ;   in Loop: Header=BB9_3 Depth=1
	global_load_dwordx4 v[10:13], v[6:7], off
	s_and_saveexec_b64 s[14:15], s[4:5]
	s_cbranch_execz .LBB9_2
; %bb.82:                               ;   in Loop: Header=BB9_3 Depth=1
	global_load_dwordx2 v[6:7], v3, s[10:11] offset:40
	global_load_dwordx2 v[16:17], v3, s[10:11] offset:24 glc
	global_load_dwordx2 v[12:13], v3, s[10:11]
	s_waitcnt vmcnt(2)
	v_readfirstlane_b32 s16, v6
	v_readfirstlane_b32 s17, v7
	s_add_u32 s18, s16, 1
	s_addc_u32 s19, s17, 0
	s_add_u32 s4, s18, s12
	s_addc_u32 s5, s19, s13
	s_cmp_eq_u64 s[4:5], 0
	s_cselect_b32 s5, s19, s5
	s_cselect_b32 s4, s18, s4
	s_and_b64 s[12:13], s[4:5], s[16:17]
	s_mul_i32 s13, s13, 24
	s_mul_hi_u32 s16, s12, 24
	s_mul_i32 s12, s12, 24
	s_add_i32 s13, s16, s13
	v_mov_b32_e32 v0, s13
	s_waitcnt vmcnt(0)
	v_add_co_u32_e32 v6, vcc, s12, v12
	v_addc_co_u32_e32 v7, vcc, v13, v0, vcc
	v_mov_b32_e32 v14, s4
	global_store_dwordx2 v[6:7], v[16:17], off
	v_mov_b32_e32 v15, s5
	s_waitcnt vmcnt(0)
	global_atomic_cmpswap_x2 v[14:15], v3, v[14:17], s[10:11] offset:24 glc
	s_waitcnt vmcnt(0)
	v_cmp_ne_u64_e32 vcc, v[14:15], v[16:17]
	s_and_b64 exec, exec, vcc
	s_cbranch_execz .LBB9_2
; %bb.83:                               ;   in Loop: Header=BB9_3 Depth=1
	s_mov_b64 s[12:13], 0
.LBB9_84:                               ;   Parent Loop BB9_3 Depth=1
                                        ; =>  This Inner Loop Header: Depth=2
	s_sleep 1
	global_store_dwordx2 v[6:7], v[14:15], off
	v_mov_b32_e32 v12, s4
	v_mov_b32_e32 v13, s5
	s_waitcnt vmcnt(0)
	global_atomic_cmpswap_x2 v[12:13], v3, v[12:15], s[10:11] offset:24 glc
	s_waitcnt vmcnt(0)
	v_cmp_eq_u64_e32 vcc, v[12:13], v[14:15]
	v_mov_b32_e32 v15, v13
	s_or_b64 s[12:13], vcc, s[12:13]
	v_mov_b32_e32 v14, v12
	s_andn2_b64 exec, exec, s[12:13]
	s_cbranch_execnz .LBB9_84
	s_branch .LBB9_2
.LBB9_85:
	s_or_b64 exec, exec, s[6:7]
	s_branch .LBB9_113
.LBB9_86:
	s_load_dwordx2 s[6:7], s[8:9], 0x50
	v_mbcnt_hi_u32_b32 v3, -1, v37
	v_readfirstlane_b32 s4, v3
	v_mov_b32_e32 v8, 0
	v_mov_b32_e32 v9, 0
	v_cmp_eq_u32_e64 s[4:5], s4, v3
	s_and_saveexec_b64 s[8:9], s[4:5]
	s_cbranch_execz .LBB9_92
; %bb.87:
	v_mov_b32_e32 v0, 0
	s_waitcnt lgkmcnt(0)
	global_load_dwordx2 v[6:7], v0, s[6:7] offset:24 glc
	s_waitcnt vmcnt(0)
	buffer_wbinvl1_vol
	global_load_dwordx2 v[4:5], v0, s[6:7] offset:40
	global_load_dwordx2 v[8:9], v0, s[6:7]
	s_waitcnt vmcnt(1)
	v_and_b32_e32 v2, v4, v6
	v_and_b32_e32 v4, v5, v7
	v_mul_lo_u32 v4, v4, 24
	v_mul_hi_u32 v5, v2, 24
	v_mul_lo_u32 v2, v2, 24
	v_add_u32_e32 v5, v5, v4
	s_waitcnt vmcnt(0)
	v_add_co_u32_e32 v4, vcc, v8, v2
	v_addc_co_u32_e32 v5, vcc, v9, v5, vcc
	global_load_dwordx2 v[4:5], v[4:5], off glc
	s_waitcnt vmcnt(0)
	global_atomic_cmpswap_x2 v[8:9], v0, v[4:7], s[6:7] offset:24 glc
	s_waitcnt vmcnt(0)
	buffer_wbinvl1_vol
	v_cmp_ne_u64_e32 vcc, v[8:9], v[6:7]
	s_and_saveexec_b64 s[10:11], vcc
	s_cbranch_execz .LBB9_91
; %bb.88:
	s_mov_b64 s[12:13], 0
.LBB9_89:                               ; =>This Inner Loop Header: Depth=1
	s_sleep 1
	global_load_dwordx2 v[4:5], v0, s[6:7] offset:40
	global_load_dwordx2 v[10:11], v0, s[6:7]
	v_mov_b32_e32 v6, v8
	v_mov_b32_e32 v7, v9
	s_waitcnt vmcnt(1)
	v_and_b32_e32 v2, v4, v6
	s_waitcnt vmcnt(0)
	v_mad_u64_u32 v[8:9], s[14:15], v2, 24, v[10:11]
	v_and_b32_e32 v4, v5, v7
	v_mov_b32_e32 v2, v9
	v_mad_u64_u32 v[4:5], s[14:15], v4, 24, v[2:3]
	v_mov_b32_e32 v9, v4
	global_load_dwordx2 v[4:5], v[8:9], off glc
	s_waitcnt vmcnt(0)
	global_atomic_cmpswap_x2 v[8:9], v0, v[4:7], s[6:7] offset:24 glc
	s_waitcnt vmcnt(0)
	buffer_wbinvl1_vol
	v_cmp_eq_u64_e32 vcc, v[8:9], v[6:7]
	s_or_b64 s[12:13], vcc, s[12:13]
	s_andn2_b64 exec, exec, s[12:13]
	s_cbranch_execnz .LBB9_89
; %bb.90:
	s_or_b64 exec, exec, s[12:13]
.LBB9_91:
	s_or_b64 exec, exec, s[10:11]
.LBB9_92:
	s_or_b64 exec, exec, s[8:9]
	v_mov_b32_e32 v2, 0
	s_waitcnt lgkmcnt(0)
	global_load_dwordx2 v[10:11], v2, s[6:7] offset:40
	global_load_dwordx4 v[4:7], v2, s[6:7]
	v_readfirstlane_b32 s9, v9
	v_readfirstlane_b32 s8, v8
	s_mov_b64 s[10:11], exec
	s_waitcnt vmcnt(1)
	v_readfirstlane_b32 s12, v10
	v_readfirstlane_b32 s13, v11
	s_and_b64 s[12:13], s[12:13], s[8:9]
	s_mul_i32 s14, s13, 24
	s_mul_hi_u32 s15, s12, 24
	s_mul_i32 s16, s12, 24
	s_add_i32 s14, s15, s14
	v_mov_b32_e32 v0, s14
	s_waitcnt vmcnt(0)
	v_add_co_u32_e32 v8, vcc, s16, v4
	v_addc_co_u32_e32 v9, vcc, v5, v0, vcc
	s_and_saveexec_b64 s[14:15], s[4:5]
	s_cbranch_execz .LBB9_94
; %bb.93:
	v_mov_b32_e32 v10, s10
	v_mov_b32_e32 v11, s11
	;; [unrolled: 1-line block ×4, first 2 shown]
	global_store_dwordx4 v[8:9], v[10:13], off offset:8
.LBB9_94:
	s_or_b64 exec, exec, s[14:15]
	s_lshl_b64 s[10:11], s[12:13], 12
	v_mov_b32_e32 v0, s11
	v_add_co_u32_e32 v6, vcc, s10, v6
	v_addc_co_u32_e32 v7, vcc, v7, v0, vcc
	s_movk_i32 s10, 0xff1f
	v_and_or_b32 v0, v36, s10, 32
	v_lshlrev_b32_e32 v10, 6, v3
	s_mov_b32 s12, 0
	v_mov_b32_e32 v3, v2
	v_readfirstlane_b32 s10, v6
	v_readfirstlane_b32 s11, v7
	s_mov_b32 s13, s12
	s_mov_b32 s14, s12
	;; [unrolled: 1-line block ×3, first 2 shown]
	s_nop 1
	global_store_dwordx4 v10, v[0:3], s[10:11]
	s_nop 0
	v_mov_b32_e32 v0, s12
	v_mov_b32_e32 v1, s13
	;; [unrolled: 1-line block ×4, first 2 shown]
	global_store_dwordx4 v10, v[0:3], s[10:11] offset:16
	global_store_dwordx4 v10, v[0:3], s[10:11] offset:32
	;; [unrolled: 1-line block ×3, first 2 shown]
	s_and_saveexec_b64 s[10:11], s[4:5]
	s_cbranch_execz .LBB9_102
; %bb.95:
	v_mov_b32_e32 v6, 0
	global_load_dwordx2 v[12:13], v6, s[6:7] offset:32 glc
	global_load_dwordx2 v[0:1], v6, s[6:7] offset:40
	v_mov_b32_e32 v10, s8
	v_mov_b32_e32 v11, s9
	s_waitcnt vmcnt(0)
	v_and_b32_e32 v0, s8, v0
	v_and_b32_e32 v1, s9, v1
	v_mul_lo_u32 v1, v1, 24
	v_mul_hi_u32 v2, v0, 24
	v_mul_lo_u32 v0, v0, 24
	v_add_u32_e32 v1, v2, v1
	v_add_co_u32_e32 v4, vcc, v4, v0
	v_addc_co_u32_e32 v5, vcc, v5, v1, vcc
	global_store_dwordx2 v[4:5], v[12:13], off
	s_waitcnt vmcnt(0)
	global_atomic_cmpswap_x2 v[2:3], v6, v[10:13], s[6:7] offset:32 glc
	s_waitcnt vmcnt(0)
	v_cmp_ne_u64_e32 vcc, v[2:3], v[12:13]
	s_and_saveexec_b64 s[12:13], vcc
	s_cbranch_execz .LBB9_98
; %bb.96:
	s_mov_b64 s[14:15], 0
.LBB9_97:                               ; =>This Inner Loop Header: Depth=1
	s_sleep 1
	global_store_dwordx2 v[4:5], v[2:3], off
	v_mov_b32_e32 v0, s8
	v_mov_b32_e32 v1, s9
	s_waitcnt vmcnt(0)
	global_atomic_cmpswap_x2 v[0:1], v6, v[0:3], s[6:7] offset:32 glc
	s_waitcnt vmcnt(0)
	v_cmp_eq_u64_e32 vcc, v[0:1], v[2:3]
	v_mov_b32_e32 v3, v1
	s_or_b64 s[14:15], vcc, s[14:15]
	v_mov_b32_e32 v2, v0
	s_andn2_b64 exec, exec, s[14:15]
	s_cbranch_execnz .LBB9_97
.LBB9_98:
	s_or_b64 exec, exec, s[12:13]
	v_mov_b32_e32 v3, 0
	global_load_dwordx2 v[0:1], v3, s[6:7] offset:16
	s_mov_b64 s[12:13], exec
	v_mbcnt_lo_u32_b32 v2, s12, 0
	v_mbcnt_hi_u32_b32 v2, s13, v2
	v_cmp_eq_u32_e32 vcc, 0, v2
	s_and_saveexec_b64 s[14:15], vcc
	s_cbranch_execz .LBB9_100
; %bb.99:
	s_bcnt1_i32_b64 s12, s[12:13]
	v_mov_b32_e32 v2, s12
	s_waitcnt vmcnt(0)
	global_atomic_add_x2 v[0:1], v[2:3], off offset:8
.LBB9_100:
	s_or_b64 exec, exec, s[14:15]
	s_waitcnt vmcnt(0)
	global_load_dwordx2 v[2:3], v[0:1], off offset:16
	s_waitcnt vmcnt(0)
	v_cmp_eq_u64_e32 vcc, 0, v[2:3]
	s_cbranch_vccnz .LBB9_102
; %bb.101:
	global_load_dword v0, v[0:1], off offset:24
	v_mov_b32_e32 v1, 0
	s_waitcnt vmcnt(0)
	v_readfirstlane_b32 s12, v0
	s_and_b32 m0, s12, 0xffffff
	global_store_dwordx2 v[2:3], v[0:1], off
	s_sendmsg sendmsg(MSG_INTERRUPT)
.LBB9_102:
	s_or_b64 exec, exec, s[10:11]
	s_branch .LBB9_106
.LBB9_103:                              ;   in Loop: Header=BB9_106 Depth=1
	s_or_b64 exec, exec, s[10:11]
	v_readfirstlane_b32 s10, v0
	s_cmp_eq_u32 s10, 0
	s_cbranch_scc1 .LBB9_105
; %bb.104:                              ;   in Loop: Header=BB9_106 Depth=1
	s_sleep 1
	s_cbranch_execnz .LBB9_106
	s_branch .LBB9_108
.LBB9_105:
	s_branch .LBB9_108
.LBB9_106:                              ; =>This Inner Loop Header: Depth=1
	v_mov_b32_e32 v0, 1
	s_and_saveexec_b64 s[10:11], s[4:5]
	s_cbranch_execz .LBB9_103
; %bb.107:                              ;   in Loop: Header=BB9_106 Depth=1
	global_load_dword v0, v[8:9], off offset:20 glc
	s_waitcnt vmcnt(0)
	buffer_wbinvl1_vol
	v_and_b32_e32 v0, 1, v0
	s_branch .LBB9_103
.LBB9_108:
	s_and_saveexec_b64 s[10:11], s[4:5]
	s_cbranch_execz .LBB9_111
; %bb.109:
	v_mov_b32_e32 v6, 0
	global_load_dwordx2 v[0:1], v6, s[6:7] offset:40
	global_load_dwordx2 v[9:10], v6, s[6:7] offset:24 glc
	global_load_dwordx2 v[2:3], v6, s[6:7]
	s_waitcnt vmcnt(2)
	v_readfirstlane_b32 s12, v0
	v_readfirstlane_b32 s13, v1
	s_add_u32 s14, s12, 1
	s_addc_u32 s15, s13, 0
	s_add_u32 s4, s14, s8
	s_addc_u32 s5, s15, s9
	s_cmp_eq_u64 s[4:5], 0
	s_cselect_b32 s5, s15, s5
	s_cselect_b32 s4, s14, s4
	s_and_b64 s[8:9], s[4:5], s[12:13]
	s_mul_i32 s9, s9, 24
	s_mul_hi_u32 s12, s8, 24
	s_mul_i32 s8, s8, 24
	s_add_i32 s9, s12, s9
	v_mov_b32_e32 v0, s9
	s_waitcnt vmcnt(0)
	v_add_co_u32_e32 v4, vcc, s8, v2
	v_addc_co_u32_e32 v5, vcc, v3, v0, vcc
	v_mov_b32_e32 v7, s4
	global_store_dwordx2 v[4:5], v[9:10], off
	v_mov_b32_e32 v8, s5
	s_waitcnt vmcnt(0)
	global_atomic_cmpswap_x2 v[2:3], v6, v[7:10], s[6:7] offset:24 glc
	s_mov_b64 s[8:9], 0
	s_waitcnt vmcnt(0)
	v_cmp_ne_u64_e32 vcc, v[2:3], v[9:10]
	s_and_b64 exec, exec, vcc
	s_cbranch_execz .LBB9_111
.LBB9_110:                              ; =>This Inner Loop Header: Depth=1
	s_sleep 1
	global_store_dwordx2 v[4:5], v[2:3], off
	v_mov_b32_e32 v0, s4
	v_mov_b32_e32 v1, s5
	s_waitcnt vmcnt(0)
	global_atomic_cmpswap_x2 v[0:1], v6, v[0:3], s[6:7] offset:24 glc
	s_waitcnt vmcnt(0)
	v_cmp_eq_u64_e32 vcc, v[0:1], v[2:3]
	v_mov_b32_e32 v3, v1
	s_or_b64 s[8:9], vcc, s[8:9]
	v_mov_b32_e32 v2, v0
	s_andn2_b64 exec, exec, s[8:9]
	s_cbranch_execnz .LBB9_110
.LBB9_111:
	s_or_b64 exec, exec, s[10:11]
	s_waitcnt vmcnt(0) lgkmcnt(0)
	s_setpc_b64 s[30:31]
.LBB9_112:
	s_cbranch_execnz .LBB9_86
.LBB9_113:
	s_waitcnt vmcnt(0) lgkmcnt(0)
	s_setpc_b64 s[30:31]
.Lfunc_end9:
	.size	__ockl_fprintf_append_string_n, .Lfunc_end9-__ockl_fprintf_append_string_n
                                        ; -- End function
	.set .L__ockl_fprintf_append_string_n.num_vgpr, 40
	.set .L__ockl_fprintf_append_string_n.num_agpr, 0
	.set .L__ockl_fprintf_append_string_n.numbered_sgpr, 32
	.set .L__ockl_fprintf_append_string_n.num_named_barrier, 0
	.set .L__ockl_fprintf_append_string_n.private_seg_size, 0
	.set .L__ockl_fprintf_append_string_n.uses_vcc, 1
	.set .L__ockl_fprintf_append_string_n.uses_flat_scratch, 0
	.set .L__ockl_fprintf_append_string_n.has_dyn_sized_stack, 0
	.set .L__ockl_fprintf_append_string_n.has_recursion, 0
	.set .L__ockl_fprintf_append_string_n.has_indirect_call, 0
	.section	.AMDGPU.csdata,"",@progbits
; Function info:
; codeLenInByte = 3900
; TotalNumSgprs: 36
; NumVgprs: 40
; ScratchSize: 0
; MemoryBound: 0
	.text
	.p2align	2                               ; -- Begin function __assert_fail
	.type	__assert_fail,@function
__assert_fail:                          ; @__assert_fail
; %bb.0:
	s_waitcnt vmcnt(0) expcnt(0) lgkmcnt(0)
	s_mov_b32 s25, s33
	s_mov_b32 s33, s32
	s_or_saveexec_b64 s[4:5], -1
	buffer_store_dword v40, off, s[0:3], s33 offset:48 ; 4-byte Folded Spill
	s_mov_b64 exec, s[4:5]
	v_writelane_b32 v40, s30, 0
	s_addk_i32 s32, 0x1000
	v_writelane_b32 v40, s31, 1
	v_mov_b32_e32 v8, 0
	s_getpc_b64 s[4:5]
	s_add_u32 s4, s4, __const.__assert_fail.fmt@rel32@lo+35
	s_addc_u32 s5, s5, __const.__assert_fail.fmt@rel32@hi+43
	v_mov_b32_e32 v5, v1
	v_mov_b32_e32 v4, v0
	global_load_dwordx4 v[0:3], v8, s[4:5]
	s_getpc_b64 s[16:17]
	s_add_u32 s16, s16, __const.__assert_fail.fmt@rel32@lo+4
	s_addc_u32 s17, s17, __const.__assert_fail.fmt@rel32@hi+12
	s_getpc_b64 s[18:19]
	s_add_u32 s18, s18, __const.__assert_fail.fmt@rel32@lo+20
	s_addc_u32 s19, s19, __const.__assert_fail.fmt@rel32@hi+28
	v_mbcnt_lo_u32_b32 v9, -1, 0
	s_load_dwordx4 s[4:7], s[16:17], 0x0
	s_load_dwordx4 s[12:15], s[18:19], 0x0
	s_load_dwordx2 s[10:11], s[8:9], 0x50
	v_mbcnt_hi_u32_b32 v34, -1, v9
	v_mov_b32_e32 v6, 0
	v_readfirstlane_b32 s16, v34
	v_mov_b32_e32 v7, 0
	s_waitcnt lgkmcnt(0)
	v_mov_b32_e32 v9, s7
	v_mov_b32_e32 v11, s5
	;; [unrolled: 1-line block ×3, first 2 shown]
	v_cmp_eq_u32_e64 s[4:5], s16, v34
	v_mov_b32_e32 v10, s6
	v_mov_b32_e32 v13, s15
	;; [unrolled: 1-line block ×5, first 2 shown]
	buffer_store_dword v9, off, s[0:3], s33 offset:12
	buffer_store_dword v10, off, s[0:3], s33 offset:8
	buffer_store_dword v11, off, s[0:3], s33 offset:4
	buffer_store_dword v12, off, s[0:3], s33
	buffer_store_dword v13, off, s[0:3], s33 offset:28
	buffer_store_dword v14, off, s[0:3], s33 offset:24
	;; [unrolled: 1-line block ×4, first 2 shown]
	s_waitcnt vmcnt(8)
	buffer_store_dword v3, off, s[0:3], s33 offset:43
	buffer_store_dword v2, off, s[0:3], s33 offset:39
	;; [unrolled: 1-line block ×4, first 2 shown]
	s_and_saveexec_b64 s[6:7], s[4:5]
	s_cbranch_execz .LBB10_6
; %bb.1:
	global_load_dwordx2 v[2:3], v8, s[10:11] offset:24 glc
	s_waitcnt vmcnt(0)
	buffer_wbinvl1_vol
	global_load_dwordx2 v[0:1], v8, s[10:11] offset:40
	global_load_dwordx2 v[6:7], v8, s[10:11]
	s_waitcnt vmcnt(1)
	v_and_b32_e32 v0, v0, v2
	v_and_b32_e32 v1, v1, v3
	v_mul_lo_u32 v1, v1, 24
	v_mul_hi_u32 v9, v0, 24
	v_mul_lo_u32 v0, v0, 24
	v_add_u32_e32 v1, v9, v1
	s_waitcnt vmcnt(0)
	v_add_co_u32_e32 v0, vcc, v6, v0
	v_addc_co_u32_e32 v1, vcc, v7, v1, vcc
	global_load_dwordx2 v[0:1], v[0:1], off glc
	s_waitcnt vmcnt(0)
	global_atomic_cmpswap_x2 v[6:7], v8, v[0:3], s[10:11] offset:24 glc
	s_waitcnt vmcnt(0)
	buffer_wbinvl1_vol
	v_cmp_ne_u64_e32 vcc, v[6:7], v[2:3]
	s_and_saveexec_b64 s[12:13], vcc
	s_cbranch_execz .LBB10_5
; %bb.2:
	s_mov_b64 s[14:15], 0
	v_mov_b32_e32 v0, 0
.LBB10_3:                               ; =>This Inner Loop Header: Depth=1
	s_sleep 1
	global_load_dwordx2 v[1:2], v0, s[10:11] offset:40
	global_load_dwordx2 v[9:10], v0, s[10:11]
	v_mov_b32_e32 v12, v7
	v_mov_b32_e32 v11, v6
	s_waitcnt vmcnt(1)
	v_and_b32_e32 v1, v1, v11
	s_waitcnt vmcnt(0)
	v_mad_u64_u32 v[6:7], s[16:17], v1, 24, v[9:10]
	v_and_b32_e32 v2, v2, v12
	v_mov_b32_e32 v1, v7
	v_mad_u64_u32 v[1:2], s[16:17], v2, 24, v[1:2]
	v_mov_b32_e32 v7, v1
	global_load_dwordx2 v[9:10], v[6:7], off glc
	s_waitcnt vmcnt(0)
	global_atomic_cmpswap_x2 v[6:7], v0, v[9:12], s[10:11] offset:24 glc
	s_waitcnt vmcnt(0)
	buffer_wbinvl1_vol
	v_cmp_eq_u64_e32 vcc, v[6:7], v[11:12]
	s_or_b64 s[14:15], vcc, s[14:15]
	s_andn2_b64 exec, exec, s[14:15]
	s_cbranch_execnz .LBB10_3
; %bb.4:
	s_or_b64 exec, exec, s[14:15]
.LBB10_5:
	s_or_b64 exec, exec, s[12:13]
.LBB10_6:
	s_or_b64 exec, exec, s[6:7]
	global_load_dwordx2 v[9:10], v8, s[10:11] offset:40
	global_load_dwordx4 v[0:3], v8, s[10:11]
	v_readfirstlane_b32 s7, v7
	v_readfirstlane_b32 s6, v6
	s_mov_b64 s[12:13], exec
	s_waitcnt vmcnt(1)
	v_readfirstlane_b32 s14, v9
	v_readfirstlane_b32 s15, v10
	s_and_b64 s[14:15], s[14:15], s[6:7]
	s_mul_i32 s16, s15, 24
	s_mul_hi_u32 s17, s14, 24
	s_mul_i32 s18, s14, 24
	s_add_i32 s16, s17, s16
	v_mov_b32_e32 v6, s16
	s_waitcnt vmcnt(0)
	v_add_co_u32_e32 v10, vcc, s18, v0
	v_addc_co_u32_e32 v11, vcc, v1, v6, vcc
	s_and_saveexec_b64 s[16:17], s[4:5]
	s_cbranch_execz .LBB10_8
; %bb.7:
	v_mov_b32_e32 v6, s12
	v_mov_b32_e32 v7, s13
	;; [unrolled: 1-line block ×4, first 2 shown]
	global_store_dwordx4 v[10:11], v[6:9], off offset:8
.LBB10_8:
	s_or_b64 exec, exec, s[16:17]
	s_lshl_b64 s[12:13], s[14:15], 12
	v_mov_b32_e32 v6, s13
	v_add_co_u32_e32 v2, vcc, s12, v2
	s_mov_b32 s12, 0
	v_addc_co_u32_e32 v3, vcc, v3, v6, vcc
	v_lshlrev_b32_e32 v35, 6, v34
	s_mov_b32 s15, s12
	v_mov_b32_e32 v7, 0
	v_add_co_u32_e32 v12, vcc, v2, v35
	s_mov_b32 s13, s12
	s_mov_b32 s14, s12
	v_mov_b32_e32 v17, s15
	v_addc_co_u32_e32 v13, vcc, 0, v3, vcc
	v_mov_b32_e32 v6, 33
	v_mov_b32_e32 v8, 1
	;; [unrolled: 1-line block ×3, first 2 shown]
	v_readfirstlane_b32 s16, v2
	v_readfirstlane_b32 s17, v3
	v_mov_b32_e32 v16, s14
	v_mov_b32_e32 v15, s13
	;; [unrolled: 1-line block ×3, first 2 shown]
	s_nop 1
	global_store_dwordx4 v35, v[6:9], s[16:17]
	global_store_dwordx4 v35, v[14:17], s[16:17] offset:16
	global_store_dwordx4 v35, v[14:17], s[16:17] offset:32
	;; [unrolled: 1-line block ×3, first 2 shown]
	s_and_saveexec_b64 s[12:13], s[4:5]
	s_cbranch_execz .LBB10_16
; %bb.9:
	global_load_dwordx2 v[16:17], v7, s[10:11] offset:32 glc
	global_load_dwordx2 v[2:3], v7, s[10:11] offset:40
	v_mov_b32_e32 v14, s6
	v_mov_b32_e32 v15, s7
	s_waitcnt vmcnt(0)
	v_and_b32_e32 v2, s6, v2
	v_and_b32_e32 v3, s7, v3
	v_mul_lo_u32 v3, v3, 24
	v_mul_hi_u32 v6, v2, 24
	v_mul_lo_u32 v2, v2, 24
	v_add_u32_e32 v3, v6, v3
	v_add_co_u32_e32 v8, vcc, v0, v2
	v_addc_co_u32_e32 v9, vcc, v1, v3, vcc
	global_store_dwordx2 v[8:9], v[16:17], off
	s_waitcnt vmcnt(0)
	global_atomic_cmpswap_x2 v[2:3], v7, v[14:17], s[10:11] offset:32 glc
	s_waitcnt vmcnt(0)
	v_cmp_ne_u64_e32 vcc, v[2:3], v[16:17]
	s_and_saveexec_b64 s[14:15], vcc
	s_cbranch_execz .LBB10_12
; %bb.10:
	s_mov_b64 s[16:17], 0
	v_mov_b32_e32 v6, 0
.LBB10_11:                              ; =>This Inner Loop Header: Depth=1
	s_sleep 1
	global_store_dwordx2 v[8:9], v[2:3], off
	v_mov_b32_e32 v0, s6
	v_mov_b32_e32 v1, s7
	s_waitcnt vmcnt(0)
	global_atomic_cmpswap_x2 v[0:1], v6, v[0:3], s[10:11] offset:32 glc
	s_waitcnt vmcnt(0)
	v_cmp_eq_u64_e32 vcc, v[0:1], v[2:3]
	v_mov_b32_e32 v3, v1
	s_or_b64 s[16:17], vcc, s[16:17]
	v_mov_b32_e32 v2, v0
	s_andn2_b64 exec, exec, s[16:17]
	s_cbranch_execnz .LBB10_11
.LBB10_12:
	s_or_b64 exec, exec, s[14:15]
	v_mov_b32_e32 v3, 0
	global_load_dwordx2 v[0:1], v3, s[10:11] offset:16
	s_mov_b64 s[14:15], exec
	v_mbcnt_lo_u32_b32 v2, s14, 0
	v_mbcnt_hi_u32_b32 v2, s15, v2
	v_cmp_eq_u32_e32 vcc, 0, v2
	s_and_saveexec_b64 s[16:17], vcc
	s_cbranch_execz .LBB10_14
; %bb.13:
	s_bcnt1_i32_b64 s14, s[14:15]
	v_mov_b32_e32 v2, s14
	s_waitcnt vmcnt(0)
	global_atomic_add_x2 v[0:1], v[2:3], off offset:8
.LBB10_14:
	s_or_b64 exec, exec, s[16:17]
	s_waitcnt vmcnt(0)
	global_load_dwordx2 v[2:3], v[0:1], off offset:16
	s_waitcnt vmcnt(0)
	v_cmp_eq_u64_e32 vcc, 0, v[2:3]
	s_cbranch_vccnz .LBB10_16
; %bb.15:
	global_load_dword v0, v[0:1], off offset:24
	v_mov_b32_e32 v1, 0
	s_waitcnt vmcnt(0)
	v_readfirstlane_b32 s14, v0
	s_and_b32 m0, s14, 0xffffff
	global_store_dwordx2 v[2:3], v[0:1], off
	s_sendmsg sendmsg(MSG_INTERRUPT)
.LBB10_16:
	s_or_b64 exec, exec, s[12:13]
	s_branch .LBB10_20
.LBB10_17:                              ;   in Loop: Header=BB10_20 Depth=1
	s_or_b64 exec, exec, s[12:13]
	v_readfirstlane_b32 s12, v0
	s_cmp_eq_u32 s12, 0
	s_cbranch_scc1 .LBB10_19
; %bb.18:                               ;   in Loop: Header=BB10_20 Depth=1
	s_sleep 1
	s_cbranch_execnz .LBB10_20
	s_branch .LBB10_22
.LBB10_19:
	s_branch .LBB10_22
.LBB10_20:                              ; =>This Inner Loop Header: Depth=1
	v_mov_b32_e32 v0, 1
	s_and_saveexec_b64 s[12:13], s[4:5]
	s_cbranch_execz .LBB10_17
; %bb.21:                               ;   in Loop: Header=BB10_20 Depth=1
	global_load_dword v0, v[10:11], off offset:20 glc
	s_waitcnt vmcnt(0)
	buffer_wbinvl1_vol
	v_and_b32_e32 v0, 1, v0
	s_branch .LBB10_17
.LBB10_22:
	global_load_dwordx2 v[6:7], v[12:13], off
	s_and_saveexec_b64 s[12:13], s[4:5]
	s_cbranch_execz .LBB10_25
; %bb.23:
	v_mov_b32_e32 v10, 0
	global_load_dwordx2 v[0:1], v10, s[10:11] offset:40
	global_load_dwordx2 v[13:14], v10, s[10:11] offset:24 glc
	global_load_dwordx2 v[2:3], v10, s[10:11]
	s_waitcnt vmcnt(2)
	v_readfirstlane_b32 s14, v0
	v_readfirstlane_b32 s15, v1
	s_add_u32 s16, s14, 1
	s_addc_u32 s17, s15, 0
	s_add_u32 s4, s16, s6
	s_addc_u32 s5, s17, s7
	s_cmp_eq_u64 s[4:5], 0
	s_cselect_b32 s5, s17, s5
	s_cselect_b32 s4, s16, s4
	s_and_b64 s[6:7], s[4:5], s[14:15]
	s_mul_i32 s7, s7, 24
	s_mul_hi_u32 s14, s6, 24
	s_mul_i32 s6, s6, 24
	s_add_i32 s7, s14, s7
	v_mov_b32_e32 v0, s7
	s_waitcnt vmcnt(0)
	v_add_co_u32_e32 v8, vcc, s6, v2
	v_addc_co_u32_e32 v9, vcc, v3, v0, vcc
	v_mov_b32_e32 v11, s4
	global_store_dwordx2 v[8:9], v[13:14], off
	v_mov_b32_e32 v12, s5
	s_waitcnt vmcnt(0)
	global_atomic_cmpswap_x2 v[2:3], v10, v[11:14], s[10:11] offset:24 glc
	s_mov_b64 s[6:7], 0
	s_waitcnt vmcnt(0)
	v_cmp_ne_u64_e32 vcc, v[2:3], v[13:14]
	s_and_b64 exec, exec, vcc
	s_cbranch_execz .LBB10_25
.LBB10_24:                              ; =>This Inner Loop Header: Depth=1
	s_sleep 1
	global_store_dwordx2 v[8:9], v[2:3], off
	v_mov_b32_e32 v0, s4
	v_mov_b32_e32 v1, s5
	s_waitcnt vmcnt(0)
	global_atomic_cmpswap_x2 v[0:1], v10, v[0:3], s[10:11] offset:24 glc
	s_waitcnt vmcnt(0)
	v_cmp_eq_u64_e32 vcc, v[0:1], v[2:3]
	v_mov_b32_e32 v3, v1
	s_or_b64 s[6:7], vcc, s[6:7]
	v_mov_b32_e32 v2, v0
	s_andn2_b64 exec, exec, s[6:7]
	s_cbranch_execnz .LBB10_24
.LBB10_25:
	s_or_b64 exec, exec, s[12:13]
	s_lshr_b32 s6, s33, 6
	s_mov_b64 s[4:5], 0
.LBB10_26:                              ; =>This Inner Loop Header: Depth=1
	v_mov_b32_e32 v0, s6
	buffer_load_ubyte v1, v0, s[0:3], 0 offen
	s_add_i32 s6, s6, 1
	v_mov_b32_e32 v0, s6
	s_waitcnt vmcnt(0)
	v_cmp_eq_u16_e32 vcc, 0, v1
	s_or_b64 s[4:5], vcc, s[4:5]
	s_andn2_b64 exec, exec, s[4:5]
	s_cbranch_execnz .LBB10_26
; %bb.27:
	s_or_b64 exec, exec, s[4:5]
	s_lshr_b32 s4, s33, 6
	s_cmp_lg_u32 s4, -1
	s_cbranch_scc0 .LBB10_112
; %bb.28:
	v_lshrrev_b32_e64 v1, 6, s33
	v_subrev_u32_e32 v28, v1, v0
	v_ashrrev_i32_e32 v29, 31, v28
	v_and_b32_e32 v36, 2, v6
	v_mov_b32_e32 v31, 0
	v_and_b32_e32 v0, -3, v6
	v_mov_b32_e32 v1, v7
	s_mov_b64 s[12:13], 0
	v_lshrrev_b32_e64 v37, 6, s33
	s_mov_b32 s20, 0
	s_movk_i32 s21, 0x1e0
	v_mov_b32_e32 v10, 2
	v_mov_b32_e32 v11, 1
	s_branch .LBB10_30
.LBB10_29:                              ;   in Loop: Header=BB10_30 Depth=1
	s_or_b64 exec, exec, s[6:7]
	v_sub_co_u32_e32 v28, vcc, v28, v38
	v_subb_co_u32_e32 v29, vcc, v29, v39, vcc
	v_cmp_eq_u64_e32 vcc, 0, v[28:29]
	v_add_u32_e32 v37, v37, v38
	s_or_b64 s[12:13], vcc, s[12:13]
	s_andn2_b64 exec, exec, s[12:13]
	s_cbranch_execz .LBB10_113
.LBB10_30:                              ; =>This Loop Header: Depth=1
                                        ;     Child Loop BB10_33 Depth 2
                                        ;     Child Loop BB10_41 Depth 2
	;; [unrolled: 1-line block ×11, first 2 shown]
	v_cmp_gt_u64_e32 vcc, 56, v[28:29]
	v_cmp_gt_u64_e64 s[4:5], 8, v[28:29]
	v_cndmask_b32_e32 v38, 56, v28, vcc
	v_add_u32_e32 v9, 8, v37
	s_and_saveexec_b64 s[6:7], s[4:5]
	s_xor_b64 s[6:7], exec, s[6:7]
	s_cbranch_execz .LBB10_36
; %bb.31:                               ;   in Loop: Header=BB10_30 Depth=1
	v_mov_b32_e32 v2, 0
	v_cmp_ne_u64_e64 s[4:5], 0, v[28:29]
	v_mov_b32_e32 v3, 0
	s_and_saveexec_b64 s[14:15], s[4:5]
	s_cbranch_execz .LBB10_35
; %bb.32:                               ;   in Loop: Header=BB10_30 Depth=1
	v_mov_b32_e32 v2, 0
	s_mov_b32 s22, 0
	s_mov_b64 s[16:17], 0
	v_mov_b32_e32 v3, 0
	s_mov_b64 s[18:19], 0
.LBB10_33:                              ;   Parent Loop BB10_30 Depth=1
                                        ; =>  This Inner Loop Header: Depth=2
	v_add_u32_e32 v8, s22, v37
	buffer_load_ubyte v8, v8, s[0:3], 0 offen
	v_mov_b32_e32 v9, s20
	s_add_i32 s22, s22, 1
	v_cmp_eq_u32_e64 s[4:5], s22, v38
	s_waitcnt vmcnt(0)
	v_and_b32_e32 v8, 0xffff, v8
	v_lshlrev_b64 v[8:9], s18, v[8:9]
	s_add_u32 s18, s18, 8
	s_addc_u32 s19, s19, 0
	v_or_b32_e32 v3, v9, v3
	s_or_b64 s[16:17], s[4:5], s[16:17]
	v_or_b32_e32 v2, v8, v2
	s_andn2_b64 exec, exec, s[16:17]
	s_cbranch_execnz .LBB10_33
; %bb.34:                               ;   in Loop: Header=BB10_30 Depth=1
	s_or_b64 exec, exec, s[16:17]
.LBB10_35:                              ;   in Loop: Header=BB10_30 Depth=1
	s_or_b64 exec, exec, s[14:15]
	v_mov_b32_e32 v9, v37
.LBB10_36:                              ;   in Loop: Header=BB10_30 Depth=1
	s_or_saveexec_b64 s[4:5], s[6:7]
	v_mov_b32_e32 v14, 0
	s_xor_b64 exec, exec, s[4:5]
	s_cbranch_execz .LBB10_38
; %bb.37:                               ;   in Loop: Header=BB10_30 Depth=1
	buffer_load_dword v2, v37, s[0:3], 0 offen
	buffer_load_dword v3, v37, s[0:3], 0 offen offset:4
	v_add_u32_e32 v14, -8, v38
.LBB10_38:                              ;   in Loop: Header=BB10_30 Depth=1
	s_or_b64 exec, exec, s[4:5]
	v_cmp_gt_u32_e64 s[4:5], 8, v14
	v_add_u32_e32 v8, 8, v9
                                        ; implicit-def: $vgpr12_vgpr13
	s_and_saveexec_b64 s[6:7], s[4:5]
	s_xor_b64 s[6:7], exec, s[6:7]
	s_cbranch_execz .LBB10_44
; %bb.39:                               ;   in Loop: Header=BB10_30 Depth=1
	v_mov_b32_e32 v12, 0
	v_mov_b32_e32 v13, 0
	v_cmp_ne_u32_e64 s[4:5], 0, v14
	s_and_saveexec_b64 s[14:15], s[4:5]
	s_cbranch_execz .LBB10_43
; %bb.40:                               ;   in Loop: Header=BB10_30 Depth=1
	v_mov_b32_e32 v12, 0
	s_mov_b32 s22, 0
	s_mov_b64 s[16:17], 0
	v_mov_b32_e32 v13, 0
	s_mov_b64 s[18:19], 0
.LBB10_41:                              ;   Parent Loop BB10_30 Depth=1
                                        ; =>  This Inner Loop Header: Depth=2
	v_add_u32_e32 v8, s22, v9
	buffer_load_ubyte v8, v8, s[0:3], 0 offen
	v_mov_b32_e32 v16, s20
	s_add_i32 s22, s22, 1
	v_cmp_eq_u32_e64 s[4:5], s22, v14
	s_waitcnt vmcnt(0)
	v_and_b32_e32 v15, 0xffff, v8
	v_lshlrev_b64 v[15:16], s18, v[15:16]
	s_add_u32 s18, s18, 8
	s_addc_u32 s19, s19, 0
	v_or_b32_e32 v13, v16, v13
	s_or_b64 s[16:17], s[4:5], s[16:17]
	v_or_b32_e32 v12, v15, v12
	s_andn2_b64 exec, exec, s[16:17]
	s_cbranch_execnz .LBB10_41
; %bb.42:                               ;   in Loop: Header=BB10_30 Depth=1
	s_or_b64 exec, exec, s[16:17]
.LBB10_43:                              ;   in Loop: Header=BB10_30 Depth=1
	s_or_b64 exec, exec, s[14:15]
	v_mov_b32_e32 v8, v9
                                        ; implicit-def: $vgpr14
.LBB10_44:                              ;   in Loop: Header=BB10_30 Depth=1
	s_or_saveexec_b64 s[4:5], s[6:7]
	v_mov_b32_e32 v16, 0
	s_xor_b64 exec, exec, s[4:5]
	s_cbranch_execz .LBB10_46
; %bb.45:                               ;   in Loop: Header=BB10_30 Depth=1
	buffer_load_dword v12, v9, s[0:3], 0 offen
	buffer_load_dword v13, v9, s[0:3], 0 offen offset:4
	v_add_u32_e32 v16, -8, v14
.LBB10_46:                              ;   in Loop: Header=BB10_30 Depth=1
	s_or_b64 exec, exec, s[4:5]
	v_cmp_gt_u32_e64 s[4:5], 8, v16
	v_add_u32_e32 v9, 8, v8
	s_and_saveexec_b64 s[6:7], s[4:5]
	s_xor_b64 s[6:7], exec, s[6:7]
	s_cbranch_execz .LBB10_52
; %bb.47:                               ;   in Loop: Header=BB10_30 Depth=1
	v_mov_b32_e32 v14, 0
	v_mov_b32_e32 v15, 0
	v_cmp_ne_u32_e64 s[4:5], 0, v16
	s_and_saveexec_b64 s[14:15], s[4:5]
	s_cbranch_execz .LBB10_51
; %bb.48:                               ;   in Loop: Header=BB10_30 Depth=1
	v_mov_b32_e32 v14, 0
	s_mov_b32 s22, 0
	s_mov_b64 s[16:17], 0
	v_mov_b32_e32 v15, 0
	s_mov_b64 s[18:19], 0
.LBB10_49:                              ;   Parent Loop BB10_30 Depth=1
                                        ; =>  This Inner Loop Header: Depth=2
	v_add_u32_e32 v9, s22, v8
	buffer_load_ubyte v9, v9, s[0:3], 0 offen
	v_mov_b32_e32 v18, s20
	s_add_i32 s22, s22, 1
	v_cmp_eq_u32_e64 s[4:5], s22, v16
	s_waitcnt vmcnt(0)
	v_and_b32_e32 v17, 0xffff, v9
	v_lshlrev_b64 v[17:18], s18, v[17:18]
	s_add_u32 s18, s18, 8
	s_addc_u32 s19, s19, 0
	v_or_b32_e32 v15, v18, v15
	s_or_b64 s[16:17], s[4:5], s[16:17]
	v_or_b32_e32 v14, v17, v14
	s_andn2_b64 exec, exec, s[16:17]
	s_cbranch_execnz .LBB10_49
; %bb.50:                               ;   in Loop: Header=BB10_30 Depth=1
	s_or_b64 exec, exec, s[16:17]
.LBB10_51:                              ;   in Loop: Header=BB10_30 Depth=1
	s_or_b64 exec, exec, s[14:15]
	v_mov_b32_e32 v9, v8
                                        ; implicit-def: $vgpr16
.LBB10_52:                              ;   in Loop: Header=BB10_30 Depth=1
	s_or_saveexec_b64 s[4:5], s[6:7]
	v_mov_b32_e32 v18, 0
	s_xor_b64 exec, exec, s[4:5]
	s_cbranch_execz .LBB10_54
; %bb.53:                               ;   in Loop: Header=BB10_30 Depth=1
	buffer_load_dword v14, v8, s[0:3], 0 offen
	buffer_load_dword v15, v8, s[0:3], 0 offen offset:4
	v_add_u32_e32 v18, -8, v16
.LBB10_54:                              ;   in Loop: Header=BB10_30 Depth=1
	s_or_b64 exec, exec, s[4:5]
	v_cmp_gt_u32_e64 s[4:5], 8, v18
	v_add_u32_e32 v8, 8, v9
                                        ; implicit-def: $vgpr16_vgpr17
	s_and_saveexec_b64 s[6:7], s[4:5]
	s_xor_b64 s[6:7], exec, s[6:7]
	s_cbranch_execz .LBB10_60
; %bb.55:                               ;   in Loop: Header=BB10_30 Depth=1
	v_mov_b32_e32 v16, 0
	v_mov_b32_e32 v17, 0
	v_cmp_ne_u32_e64 s[4:5], 0, v18
	s_and_saveexec_b64 s[14:15], s[4:5]
	s_cbranch_execz .LBB10_59
; %bb.56:                               ;   in Loop: Header=BB10_30 Depth=1
	v_mov_b32_e32 v16, 0
	s_mov_b32 s22, 0
	s_mov_b64 s[16:17], 0
	v_mov_b32_e32 v17, 0
	s_mov_b64 s[18:19], 0
.LBB10_57:                              ;   Parent Loop BB10_30 Depth=1
                                        ; =>  This Inner Loop Header: Depth=2
	v_add_u32_e32 v8, s22, v9
	buffer_load_ubyte v8, v8, s[0:3], 0 offen
	v_mov_b32_e32 v20, s20
	s_add_i32 s22, s22, 1
	v_cmp_eq_u32_e64 s[4:5], s22, v18
	s_waitcnt vmcnt(0)
	v_and_b32_e32 v19, 0xffff, v8
	v_lshlrev_b64 v[19:20], s18, v[19:20]
	s_add_u32 s18, s18, 8
	s_addc_u32 s19, s19, 0
	v_or_b32_e32 v17, v20, v17
	s_or_b64 s[16:17], s[4:5], s[16:17]
	v_or_b32_e32 v16, v19, v16
	s_andn2_b64 exec, exec, s[16:17]
	s_cbranch_execnz .LBB10_57
; %bb.58:                               ;   in Loop: Header=BB10_30 Depth=1
	s_or_b64 exec, exec, s[16:17]
.LBB10_59:                              ;   in Loop: Header=BB10_30 Depth=1
	s_or_b64 exec, exec, s[14:15]
	v_mov_b32_e32 v8, v9
                                        ; implicit-def: $vgpr18
.LBB10_60:                              ;   in Loop: Header=BB10_30 Depth=1
	s_or_saveexec_b64 s[4:5], s[6:7]
	v_mov_b32_e32 v20, 0
	s_xor_b64 exec, exec, s[4:5]
	s_cbranch_execz .LBB10_62
; %bb.61:                               ;   in Loop: Header=BB10_30 Depth=1
	buffer_load_dword v16, v9, s[0:3], 0 offen
	buffer_load_dword v17, v9, s[0:3], 0 offen offset:4
	v_add_u32_e32 v20, -8, v18
.LBB10_62:                              ;   in Loop: Header=BB10_30 Depth=1
	s_or_b64 exec, exec, s[4:5]
	v_cmp_gt_u32_e64 s[4:5], 8, v20
	v_add_u32_e32 v9, 8, v8
	s_and_saveexec_b64 s[6:7], s[4:5]
	s_xor_b64 s[6:7], exec, s[6:7]
	s_cbranch_execz .LBB10_68
; %bb.63:                               ;   in Loop: Header=BB10_30 Depth=1
	v_mov_b32_e32 v18, 0
	v_mov_b32_e32 v19, 0
	v_cmp_ne_u32_e64 s[4:5], 0, v20
	s_and_saveexec_b64 s[14:15], s[4:5]
	s_cbranch_execz .LBB10_67
; %bb.64:                               ;   in Loop: Header=BB10_30 Depth=1
	v_mov_b32_e32 v18, 0
	s_mov_b32 s22, 0
	s_mov_b64 s[16:17], 0
	v_mov_b32_e32 v19, 0
	s_mov_b64 s[18:19], 0
.LBB10_65:                              ;   Parent Loop BB10_30 Depth=1
                                        ; =>  This Inner Loop Header: Depth=2
	v_add_u32_e32 v9, s22, v8
	buffer_load_ubyte v9, v9, s[0:3], 0 offen
	v_mov_b32_e32 v22, s20
	s_add_i32 s22, s22, 1
	v_cmp_eq_u32_e64 s[4:5], s22, v20
	s_waitcnt vmcnt(0)
	v_and_b32_e32 v21, 0xffff, v9
	v_lshlrev_b64 v[21:22], s18, v[21:22]
	s_add_u32 s18, s18, 8
	s_addc_u32 s19, s19, 0
	v_or_b32_e32 v19, v22, v19
	s_or_b64 s[16:17], s[4:5], s[16:17]
	v_or_b32_e32 v18, v21, v18
	s_andn2_b64 exec, exec, s[16:17]
	s_cbranch_execnz .LBB10_65
; %bb.66:                               ;   in Loop: Header=BB10_30 Depth=1
	s_or_b64 exec, exec, s[16:17]
.LBB10_67:                              ;   in Loop: Header=BB10_30 Depth=1
	s_or_b64 exec, exec, s[14:15]
	v_mov_b32_e32 v9, v8
                                        ; implicit-def: $vgpr20
.LBB10_68:                              ;   in Loop: Header=BB10_30 Depth=1
	s_or_saveexec_b64 s[4:5], s[6:7]
	v_mov_b32_e32 v22, 0
	s_xor_b64 exec, exec, s[4:5]
	s_cbranch_execz .LBB10_70
; %bb.69:                               ;   in Loop: Header=BB10_30 Depth=1
	buffer_load_dword v18, v8, s[0:3], 0 offen
	buffer_load_dword v19, v8, s[0:3], 0 offen offset:4
	v_add_u32_e32 v22, -8, v20
.LBB10_70:                              ;   in Loop: Header=BB10_30 Depth=1
	s_or_b64 exec, exec, s[4:5]
	v_cmp_gt_u32_e64 s[4:5], 8, v22
	v_add_u32_e32 v8, 8, v9
                                        ; implicit-def: $vgpr20_vgpr21
	s_and_saveexec_b64 s[6:7], s[4:5]
	s_xor_b64 s[6:7], exec, s[6:7]
	s_cbranch_execz .LBB10_76
; %bb.71:                               ;   in Loop: Header=BB10_30 Depth=1
	v_mov_b32_e32 v20, 0
	v_mov_b32_e32 v21, 0
	v_cmp_ne_u32_e64 s[4:5], 0, v22
	s_and_saveexec_b64 s[14:15], s[4:5]
	s_cbranch_execz .LBB10_75
; %bb.72:                               ;   in Loop: Header=BB10_30 Depth=1
	v_mov_b32_e32 v20, 0
	s_mov_b32 s22, 0
	s_mov_b64 s[16:17], 0
	v_mov_b32_e32 v21, 0
	s_mov_b64 s[18:19], 0
.LBB10_73:                              ;   Parent Loop BB10_30 Depth=1
                                        ; =>  This Inner Loop Header: Depth=2
	v_add_u32_e32 v8, s22, v9
	buffer_load_ubyte v8, v8, s[0:3], 0 offen
	v_mov_b32_e32 v24, s20
	s_add_i32 s22, s22, 1
	v_cmp_eq_u32_e64 s[4:5], s22, v22
	s_waitcnt vmcnt(0)
	v_and_b32_e32 v23, 0xffff, v8
	v_lshlrev_b64 v[23:24], s18, v[23:24]
	s_add_u32 s18, s18, 8
	s_addc_u32 s19, s19, 0
	v_or_b32_e32 v21, v24, v21
	s_or_b64 s[16:17], s[4:5], s[16:17]
	v_or_b32_e32 v20, v23, v20
	s_andn2_b64 exec, exec, s[16:17]
	s_cbranch_execnz .LBB10_73
; %bb.74:                               ;   in Loop: Header=BB10_30 Depth=1
	s_or_b64 exec, exec, s[16:17]
.LBB10_75:                              ;   in Loop: Header=BB10_30 Depth=1
	s_or_b64 exec, exec, s[14:15]
	v_mov_b32_e32 v8, v9
                                        ; implicit-def: $vgpr22
.LBB10_76:                              ;   in Loop: Header=BB10_30 Depth=1
	s_or_saveexec_b64 s[4:5], s[6:7]
	v_mov_b32_e32 v24, 0
	s_xor_b64 exec, exec, s[4:5]
	s_cbranch_execz .LBB10_78
; %bb.77:                               ;   in Loop: Header=BB10_30 Depth=1
	buffer_load_dword v20, v9, s[0:3], 0 offen
	buffer_load_dword v21, v9, s[0:3], 0 offen offset:4
	v_add_u32_e32 v24, -8, v22
.LBB10_78:                              ;   in Loop: Header=BB10_30 Depth=1
	s_or_b64 exec, exec, s[4:5]
	v_cmp_gt_u32_e64 s[4:5], 8, v24
	s_and_saveexec_b64 s[6:7], s[4:5]
	s_xor_b64 s[6:7], exec, s[6:7]
	s_cbranch_execz .LBB10_84
; %bb.79:                               ;   in Loop: Header=BB10_30 Depth=1
	v_mov_b32_e32 v22, 0
	v_mov_b32_e32 v23, 0
	v_cmp_ne_u32_e64 s[4:5], 0, v24
	s_and_saveexec_b64 s[14:15], s[4:5]
	s_cbranch_execz .LBB10_83
; %bb.80:                               ;   in Loop: Header=BB10_30 Depth=1
	v_mov_b32_e32 v22, 0
	s_mov_b64 s[16:17], 0
	v_mov_b32_e32 v23, 0
	s_mov_b64 s[18:19], 0
.LBB10_81:                              ;   Parent Loop BB10_30 Depth=1
                                        ; =>  This Inner Loop Header: Depth=2
	buffer_load_ubyte v9, v8, s[0:3], 0 offen
	v_mov_b32_e32 v26, s20
	v_add_u32_e32 v24, -1, v24
	v_cmp_eq_u32_e64 s[4:5], 0, v24
	v_add_u32_e32 v8, 1, v8
	s_waitcnt vmcnt(0)
	v_and_b32_e32 v25, 0xffff, v9
	v_lshlrev_b64 v[25:26], s18, v[25:26]
	s_add_u32 s18, s18, 8
	s_addc_u32 s19, s19, 0
	v_or_b32_e32 v23, v26, v23
	s_or_b64 s[16:17], s[4:5], s[16:17]
	v_or_b32_e32 v22, v25, v22
	s_andn2_b64 exec, exec, s[16:17]
	s_cbranch_execnz .LBB10_81
; %bb.82:                               ;   in Loop: Header=BB10_30 Depth=1
	s_or_b64 exec, exec, s[16:17]
.LBB10_83:                              ;   in Loop: Header=BB10_30 Depth=1
	s_or_b64 exec, exec, s[14:15]
                                        ; implicit-def: $vgpr8
.LBB10_84:                              ;   in Loop: Header=BB10_30 Depth=1
	s_andn2_saveexec_b64 s[4:5], s[6:7]
	s_cbranch_execz .LBB10_86
; %bb.85:                               ;   in Loop: Header=BB10_30 Depth=1
	buffer_load_dword v22, v8, s[0:3], 0 offen
	buffer_load_dword v23, v8, s[0:3], 0 offen offset:4
.LBB10_86:                              ;   in Loop: Header=BB10_30 Depth=1
	s_or_b64 exec, exec, s[4:5]
	v_readfirstlane_b32 s4, v34
	v_mov_b32_e32 v8, 0
	v_mov_b32_e32 v9, 0
	v_cmp_eq_u32_e64 s[4:5], s4, v34
	s_and_saveexec_b64 s[14:15], s[4:5]
	s_cbranch_execz .LBB10_92
; %bb.87:                               ;   in Loop: Header=BB10_30 Depth=1
	global_load_dwordx2 v[26:27], v31, s[10:11] offset:24 glc
	s_waitcnt vmcnt(0)
	buffer_wbinvl1_vol
	global_load_dwordx2 v[8:9], v31, s[10:11] offset:40
	global_load_dwordx2 v[24:25], v31, s[10:11]
	s_waitcnt vmcnt(1)
	v_and_b32_e32 v8, v8, v26
	v_and_b32_e32 v9, v9, v27
	v_mul_lo_u32 v9, v9, 24
	v_mul_hi_u32 v30, v8, 24
	v_mul_lo_u32 v8, v8, 24
	v_add_u32_e32 v9, v30, v9
	s_waitcnt vmcnt(0)
	v_add_co_u32_e64 v8, s[6:7], v24, v8
	v_addc_co_u32_e64 v9, s[6:7], v25, v9, s[6:7]
	global_load_dwordx2 v[24:25], v[8:9], off glc
	s_waitcnt vmcnt(0)
	global_atomic_cmpswap_x2 v[8:9], v31, v[24:27], s[10:11] offset:24 glc
	s_waitcnt vmcnt(0)
	buffer_wbinvl1_vol
	v_cmp_ne_u64_e64 s[6:7], v[8:9], v[26:27]
	s_and_saveexec_b64 s[16:17], s[6:7]
	s_cbranch_execz .LBB10_91
; %bb.88:                               ;   in Loop: Header=BB10_30 Depth=1
	s_mov_b64 s[18:19], 0
.LBB10_89:                              ;   Parent Loop BB10_30 Depth=1
                                        ; =>  This Inner Loop Header: Depth=2
	s_sleep 1
	global_load_dwordx2 v[24:25], v31, s[10:11] offset:40
	global_load_dwordx2 v[32:33], v31, s[10:11]
	v_mov_b32_e32 v27, v9
	v_mov_b32_e32 v26, v8
	s_waitcnt vmcnt(1)
	v_and_b32_e32 v8, v24, v26
	s_waitcnt vmcnt(0)
	v_mad_u64_u32 v[8:9], s[6:7], v8, 24, v[32:33]
	v_and_b32_e32 v24, v25, v27
	v_mad_u64_u32 v[24:25], s[6:7], v24, 24, v[9:10]
	v_mov_b32_e32 v9, v24
	global_load_dwordx2 v[24:25], v[8:9], off glc
	s_waitcnt vmcnt(0)
	global_atomic_cmpswap_x2 v[8:9], v31, v[24:27], s[10:11] offset:24 glc
	s_waitcnt vmcnt(0)
	buffer_wbinvl1_vol
	v_cmp_eq_u64_e64 s[6:7], v[8:9], v[26:27]
	s_or_b64 s[18:19], s[6:7], s[18:19]
	s_andn2_b64 exec, exec, s[18:19]
	s_cbranch_execnz .LBB10_89
; %bb.90:                               ;   in Loop: Header=BB10_30 Depth=1
	s_or_b64 exec, exec, s[18:19]
.LBB10_91:                              ;   in Loop: Header=BB10_30 Depth=1
	s_or_b64 exec, exec, s[16:17]
.LBB10_92:                              ;   in Loop: Header=BB10_30 Depth=1
	s_or_b64 exec, exec, s[14:15]
	global_load_dwordx2 v[32:33], v31, s[10:11] offset:40
	global_load_dwordx4 v[24:27], v31, s[10:11]
	v_readfirstlane_b32 s15, v9
	v_readfirstlane_b32 s14, v8
	s_mov_b64 s[16:17], exec
	s_waitcnt vmcnt(1)
	v_readfirstlane_b32 s6, v32
	v_readfirstlane_b32 s7, v33
	s_and_b64 s[18:19], s[6:7], s[14:15]
	s_mul_i32 s6, s19, 24
	s_mul_hi_u32 s7, s18, 24
	s_mul_i32 s22, s18, 24
	s_add_i32 s6, s7, s6
	v_mov_b32_e32 v8, s6
	s_waitcnt vmcnt(0)
	v_add_co_u32_e64 v32, s[6:7], s22, v24
	v_addc_co_u32_e64 v33, s[6:7], v25, v8, s[6:7]
	s_and_saveexec_b64 s[6:7], s[4:5]
	s_cbranch_execz .LBB10_94
; %bb.93:                               ;   in Loop: Header=BB10_30 Depth=1
	v_mov_b32_e32 v8, s16
	v_mov_b32_e32 v9, s17
	global_store_dwordx4 v[32:33], v[8:11], off offset:8
.LBB10_94:                              ;   in Loop: Header=BB10_30 Depth=1
	s_or_b64 exec, exec, s[6:7]
	s_lshl_b64 s[6:7], s[18:19], 12
	v_cndmask_b32_e32 v39, 0, v29, vcc
	v_mov_b32_e32 v8, s7
	v_add_co_u32_e32 v26, vcc, s6, v26
	v_addc_co_u32_e32 v27, vcc, v27, v8, vcc
	v_cmp_gt_u64_e32 vcc, 57, v[28:29]
	v_and_b32_e32 v0, 0xffffff1f, v0
	v_cndmask_b32_e32 v8, 0, v36, vcc
	v_lshl_add_u32 v9, v38, 2, 28
	v_or_b32_e32 v0, v0, v8
	v_and_or_b32 v0, v9, s21, v0
	v_readfirstlane_b32 s6, v26
	v_readfirstlane_b32 s7, v27
	s_nop 4
	global_store_dwordx4 v35, v[0:3], s[6:7]
	global_store_dwordx4 v35, v[12:15], s[6:7] offset:16
	global_store_dwordx4 v35, v[16:19], s[6:7] offset:32
	;; [unrolled: 1-line block ×3, first 2 shown]
	s_and_saveexec_b64 s[6:7], s[4:5]
	s_cbranch_execz .LBB10_102
; %bb.95:                               ;   in Loop: Header=BB10_30 Depth=1
	global_load_dwordx2 v[14:15], v31, s[10:11] offset:32 glc
	global_load_dwordx2 v[0:1], v31, s[10:11] offset:40
	v_mov_b32_e32 v12, s14
	v_mov_b32_e32 v13, s15
	s_waitcnt vmcnt(0)
	v_readfirstlane_b32 s16, v0
	v_readfirstlane_b32 s17, v1
	s_and_b64 s[16:17], s[16:17], s[14:15]
	s_mul_i32 s17, s17, 24
	s_mul_hi_u32 s18, s16, 24
	s_mul_i32 s16, s16, 24
	s_add_i32 s17, s18, s17
	v_mov_b32_e32 v0, s17
	v_add_co_u32_e32 v8, vcc, s16, v24
	v_addc_co_u32_e32 v9, vcc, v25, v0, vcc
	global_store_dwordx2 v[8:9], v[14:15], off
	s_waitcnt vmcnt(0)
	global_atomic_cmpswap_x2 v[2:3], v31, v[12:15], s[10:11] offset:32 glc
	s_waitcnt vmcnt(0)
	v_cmp_ne_u64_e32 vcc, v[2:3], v[14:15]
	s_and_saveexec_b64 s[16:17], vcc
	s_cbranch_execz .LBB10_98
; %bb.96:                               ;   in Loop: Header=BB10_30 Depth=1
	s_mov_b64 s[18:19], 0
.LBB10_97:                              ;   Parent Loop BB10_30 Depth=1
                                        ; =>  This Inner Loop Header: Depth=2
	s_sleep 1
	global_store_dwordx2 v[8:9], v[2:3], off
	v_mov_b32_e32 v0, s14
	v_mov_b32_e32 v1, s15
	s_waitcnt vmcnt(0)
	global_atomic_cmpswap_x2 v[0:1], v31, v[0:3], s[10:11] offset:32 glc
	s_waitcnt vmcnt(0)
	v_cmp_eq_u64_e32 vcc, v[0:1], v[2:3]
	v_mov_b32_e32 v3, v1
	s_or_b64 s[18:19], vcc, s[18:19]
	v_mov_b32_e32 v2, v0
	s_andn2_b64 exec, exec, s[18:19]
	s_cbranch_execnz .LBB10_97
.LBB10_98:                              ;   in Loop: Header=BB10_30 Depth=1
	s_or_b64 exec, exec, s[16:17]
	global_load_dwordx2 v[0:1], v31, s[10:11] offset:16
	s_mov_b64 s[18:19], exec
	v_mbcnt_lo_u32_b32 v2, s18, 0
	v_mbcnt_hi_u32_b32 v2, s19, v2
	v_cmp_eq_u32_e32 vcc, 0, v2
	s_and_saveexec_b64 s[16:17], vcc
	s_cbranch_execz .LBB10_100
; %bb.99:                               ;   in Loop: Header=BB10_30 Depth=1
	s_bcnt1_i32_b64 s18, s[18:19]
	v_mov_b32_e32 v30, s18
	s_waitcnt vmcnt(0)
	global_atomic_add_x2 v[0:1], v[30:31], off offset:8
.LBB10_100:                             ;   in Loop: Header=BB10_30 Depth=1
	s_or_b64 exec, exec, s[16:17]
	s_waitcnt vmcnt(0)
	global_load_dwordx2 v[2:3], v[0:1], off offset:16
	s_waitcnt vmcnt(0)
	v_cmp_eq_u64_e32 vcc, 0, v[2:3]
	s_cbranch_vccnz .LBB10_102
; %bb.101:                              ;   in Loop: Header=BB10_30 Depth=1
	global_load_dword v30, v[0:1], off offset:24
	s_waitcnt vmcnt(0)
	v_readfirstlane_b32 s16, v30
	s_and_b32 m0, s16, 0xffffff
	global_store_dwordx2 v[2:3], v[30:31], off
	s_sendmsg sendmsg(MSG_INTERRUPT)
.LBB10_102:                             ;   in Loop: Header=BB10_30 Depth=1
	s_or_b64 exec, exec, s[6:7]
	v_add_co_u32_e32 v0, vcc, v26, v35
	v_addc_co_u32_e32 v1, vcc, 0, v27, vcc
	s_branch .LBB10_106
.LBB10_103:                             ;   in Loop: Header=BB10_106 Depth=2
	s_or_b64 exec, exec, s[6:7]
	v_readfirstlane_b32 s6, v2
	s_cmp_eq_u32 s6, 0
	s_cbranch_scc1 .LBB10_105
; %bb.104:                              ;   in Loop: Header=BB10_106 Depth=2
	s_sleep 1
	s_cbranch_execnz .LBB10_106
	s_branch .LBB10_108
.LBB10_105:                             ;   in Loop: Header=BB10_30 Depth=1
	s_branch .LBB10_108
.LBB10_106:                             ;   Parent Loop BB10_30 Depth=1
                                        ; =>  This Inner Loop Header: Depth=2
	v_mov_b32_e32 v2, 1
	s_and_saveexec_b64 s[6:7], s[4:5]
	s_cbranch_execz .LBB10_103
; %bb.107:                              ;   in Loop: Header=BB10_106 Depth=2
	global_load_dword v2, v[32:33], off offset:20 glc
	s_waitcnt vmcnt(0)
	buffer_wbinvl1_vol
	v_and_b32_e32 v2, 1, v2
	s_branch .LBB10_103
.LBB10_108:                             ;   in Loop: Header=BB10_30 Depth=1
	global_load_dwordx2 v[0:1], v[0:1], off
	s_and_saveexec_b64 s[6:7], s[4:5]
	s_cbranch_execz .LBB10_29
; %bb.109:                              ;   in Loop: Header=BB10_30 Depth=1
	global_load_dwordx2 v[2:3], v31, s[10:11] offset:40
	global_load_dwordx2 v[16:17], v31, s[10:11] offset:24 glc
	global_load_dwordx2 v[8:9], v31, s[10:11]
	s_waitcnt vmcnt(2)
	v_readfirstlane_b32 s16, v2
	v_readfirstlane_b32 s17, v3
	s_add_u32 s18, s16, 1
	s_addc_u32 s19, s17, 0
	s_add_u32 s4, s18, s14
	s_addc_u32 s5, s19, s15
	s_cmp_eq_u64 s[4:5], 0
	s_cselect_b32 s5, s19, s5
	s_cselect_b32 s4, s18, s4
	s_and_b64 s[14:15], s[4:5], s[16:17]
	s_mul_i32 s15, s15, 24
	s_mul_hi_u32 s16, s14, 24
	s_mul_i32 s14, s14, 24
	s_add_i32 s15, s16, s15
	v_mov_b32_e32 v3, s15
	s_waitcnt vmcnt(0)
	v_add_co_u32_e32 v2, vcc, s14, v8
	v_addc_co_u32_e32 v3, vcc, v9, v3, vcc
	v_mov_b32_e32 v14, s4
	global_store_dwordx2 v[2:3], v[16:17], off
	v_mov_b32_e32 v15, s5
	s_waitcnt vmcnt(0)
	global_atomic_cmpswap_x2 v[14:15], v31, v[14:17], s[10:11] offset:24 glc
	s_waitcnt vmcnt(0)
	v_cmp_ne_u64_e32 vcc, v[14:15], v[16:17]
	s_and_b64 exec, exec, vcc
	s_cbranch_execz .LBB10_29
; %bb.110:                              ;   in Loop: Header=BB10_30 Depth=1
	s_mov_b64 s[14:15], 0
.LBB10_111:                             ;   Parent Loop BB10_30 Depth=1
                                        ; =>  This Inner Loop Header: Depth=2
	s_sleep 1
	global_store_dwordx2 v[2:3], v[14:15], off
	v_mov_b32_e32 v12, s4
	v_mov_b32_e32 v13, s5
	s_waitcnt vmcnt(0)
	global_atomic_cmpswap_x2 v[8:9], v31, v[12:15], s[10:11] offset:24 glc
	s_waitcnt vmcnt(0)
	v_cmp_eq_u64_e32 vcc, v[8:9], v[14:15]
	v_mov_b32_e32 v15, v9
	s_or_b64 s[14:15], vcc, s[14:15]
	v_mov_b32_e32 v14, v8
	s_andn2_b64 exec, exec, s[14:15]
	s_cbranch_execnz .LBB10_111
	s_branch .LBB10_29
.LBB10_112:
                                        ; implicit-def: $vgpr0_vgpr1
	s_cbranch_execnz .LBB10_114
	s_branch .LBB10_140
.LBB10_113:
	s_or_b64 exec, exec, s[12:13]
	s_branch .LBB10_140
.LBB10_114:
	v_readfirstlane_b32 s4, v34
	v_mov_b32_e32 v9, 0
	v_mov_b32_e32 v10, 0
	v_cmp_eq_u32_e64 s[4:5], s4, v34
	s_and_saveexec_b64 s[6:7], s[4:5]
	s_cbranch_execz .LBB10_120
; %bb.115:
	s_waitcnt vmcnt(0)
	v_mov_b32_e32 v0, 0
	global_load_dwordx2 v[11:12], v0, s[10:11] offset:24 glc
	s_waitcnt vmcnt(0)
	buffer_wbinvl1_vol
	global_load_dwordx2 v[1:2], v0, s[10:11] offset:40
	global_load_dwordx2 v[8:9], v0, s[10:11]
	s_waitcnt vmcnt(1)
	v_and_b32_e32 v1, v1, v11
	v_and_b32_e32 v2, v2, v12
	v_mul_lo_u32 v2, v2, 24
	v_mul_hi_u32 v3, v1, 24
	v_mul_lo_u32 v1, v1, 24
	v_add_u32_e32 v2, v3, v2
	s_waitcnt vmcnt(0)
	v_add_co_u32_e32 v1, vcc, v8, v1
	v_addc_co_u32_e32 v2, vcc, v9, v2, vcc
	global_load_dwordx2 v[9:10], v[1:2], off glc
	s_waitcnt vmcnt(0)
	global_atomic_cmpswap_x2 v[9:10], v0, v[9:12], s[10:11] offset:24 glc
	s_waitcnt vmcnt(0)
	buffer_wbinvl1_vol
	v_cmp_ne_u64_e32 vcc, v[9:10], v[11:12]
	s_and_saveexec_b64 s[12:13], vcc
	s_cbranch_execz .LBB10_119
; %bb.116:
	s_mov_b64 s[14:15], 0
.LBB10_117:                             ; =>This Inner Loop Header: Depth=1
	s_sleep 1
	global_load_dwordx2 v[1:2], v0, s[10:11] offset:40
	global_load_dwordx2 v[13:14], v0, s[10:11]
	v_mov_b32_e32 v12, v10
	v_mov_b32_e32 v11, v9
	s_waitcnt vmcnt(1)
	v_and_b32_e32 v1, v1, v11
	s_waitcnt vmcnt(0)
	v_mad_u64_u32 v[8:9], s[16:17], v1, 24, v[13:14]
	v_and_b32_e32 v2, v2, v12
	v_mov_b32_e32 v1, v9
	v_mad_u64_u32 v[1:2], s[16:17], v2, 24, v[1:2]
	v_mov_b32_e32 v9, v1
	global_load_dwordx2 v[9:10], v[8:9], off glc
	s_waitcnt vmcnt(0)
	global_atomic_cmpswap_x2 v[9:10], v0, v[9:12], s[10:11] offset:24 glc
	s_waitcnt vmcnt(0)
	buffer_wbinvl1_vol
	v_cmp_eq_u64_e32 vcc, v[9:10], v[11:12]
	s_or_b64 s[14:15], vcc, s[14:15]
	s_andn2_b64 exec, exec, s[14:15]
	s_cbranch_execnz .LBB10_117
; %bb.118:
	s_or_b64 exec, exec, s[14:15]
.LBB10_119:
	s_or_b64 exec, exec, s[12:13]
.LBB10_120:
	s_or_b64 exec, exec, s[6:7]
	v_mov_b32_e32 v8, 0
	global_load_dwordx2 v[11:12], v8, s[10:11] offset:40
	global_load_dwordx4 v[0:3], v8, s[10:11]
	v_readfirstlane_b32 s7, v10
	v_readfirstlane_b32 s6, v9
	s_mov_b64 s[12:13], exec
	s_waitcnt vmcnt(1)
	v_readfirstlane_b32 s14, v11
	v_readfirstlane_b32 s15, v12
	s_and_b64 s[14:15], s[14:15], s[6:7]
	s_mul_i32 s16, s15, 24
	s_mul_hi_u32 s17, s14, 24
	s_mul_i32 s18, s14, 24
	s_add_i32 s16, s17, s16
	v_mov_b32_e32 v9, s16
	s_waitcnt vmcnt(0)
	v_add_co_u32_e32 v10, vcc, s18, v0
	v_addc_co_u32_e32 v11, vcc, v1, v9, vcc
	s_and_saveexec_b64 s[16:17], s[4:5]
	s_cbranch_execz .LBB10_122
; %bb.121:
	v_mov_b32_e32 v12, s12
	v_mov_b32_e32 v13, s13
	;; [unrolled: 1-line block ×4, first 2 shown]
	global_store_dwordx4 v[10:11], v[12:15], off offset:8
.LBB10_122:
	s_or_b64 exec, exec, s[16:17]
	s_lshl_b64 s[12:13], s[14:15], 12
	v_mov_b32_e32 v9, s13
	v_add_co_u32_e32 v2, vcc, s12, v2
	v_addc_co_u32_e32 v3, vcc, v3, v9, vcc
	s_movk_i32 s12, 0xff1f
	v_and_or_b32 v6, v6, s12, 32
	s_mov_b32 s12, 0
	v_mov_b32_e32 v9, v8
	v_readfirstlane_b32 s16, v2
	v_readfirstlane_b32 s17, v3
	v_add_co_u32_e32 v12, vcc, v2, v35
	s_mov_b32 s13, s12
	s_mov_b32 s14, s12
	;; [unrolled: 1-line block ×3, first 2 shown]
	s_nop 0
	global_store_dwordx4 v35, v[6:9], s[16:17]
	v_addc_co_u32_e32 v13, vcc, 0, v3, vcc
	v_mov_b32_e32 v6, s12
	v_mov_b32_e32 v7, s13
	;; [unrolled: 1-line block ×4, first 2 shown]
	global_store_dwordx4 v35, v[6:9], s[16:17] offset:16
	global_store_dwordx4 v35, v[6:9], s[16:17] offset:32
	;; [unrolled: 1-line block ×3, first 2 shown]
	s_and_saveexec_b64 s[12:13], s[4:5]
	s_cbranch_execz .LBB10_130
; %bb.123:
	v_mov_b32_e32 v8, 0
	global_load_dwordx2 v[16:17], v8, s[10:11] offset:32 glc
	global_load_dwordx2 v[2:3], v8, s[10:11] offset:40
	v_mov_b32_e32 v14, s6
	v_mov_b32_e32 v15, s7
	s_waitcnt vmcnt(0)
	v_readfirstlane_b32 s14, v2
	v_readfirstlane_b32 s15, v3
	s_and_b64 s[14:15], s[14:15], s[6:7]
	s_mul_i32 s15, s15, 24
	s_mul_hi_u32 s16, s14, 24
	s_mul_i32 s14, s14, 24
	s_add_i32 s15, s16, s15
	v_mov_b32_e32 v2, s15
	v_add_co_u32_e32 v6, vcc, s14, v0
	v_addc_co_u32_e32 v7, vcc, v1, v2, vcc
	global_store_dwordx2 v[6:7], v[16:17], off
	s_waitcnt vmcnt(0)
	global_atomic_cmpswap_x2 v[2:3], v8, v[14:17], s[10:11] offset:32 glc
	s_waitcnt vmcnt(0)
	v_cmp_ne_u64_e32 vcc, v[2:3], v[16:17]
	s_and_saveexec_b64 s[14:15], vcc
	s_cbranch_execz .LBB10_126
; %bb.124:
	s_mov_b64 s[16:17], 0
.LBB10_125:                             ; =>This Inner Loop Header: Depth=1
	s_sleep 1
	global_store_dwordx2 v[6:7], v[2:3], off
	v_mov_b32_e32 v0, s6
	v_mov_b32_e32 v1, s7
	s_waitcnt vmcnt(0)
	global_atomic_cmpswap_x2 v[0:1], v8, v[0:3], s[10:11] offset:32 glc
	s_waitcnt vmcnt(0)
	v_cmp_eq_u64_e32 vcc, v[0:1], v[2:3]
	v_mov_b32_e32 v3, v1
	s_or_b64 s[16:17], vcc, s[16:17]
	v_mov_b32_e32 v2, v0
	s_andn2_b64 exec, exec, s[16:17]
	s_cbranch_execnz .LBB10_125
.LBB10_126:
	s_or_b64 exec, exec, s[14:15]
	v_mov_b32_e32 v3, 0
	global_load_dwordx2 v[0:1], v3, s[10:11] offset:16
	s_mov_b64 s[14:15], exec
	v_mbcnt_lo_u32_b32 v2, s14, 0
	v_mbcnt_hi_u32_b32 v2, s15, v2
	v_cmp_eq_u32_e32 vcc, 0, v2
	s_and_saveexec_b64 s[16:17], vcc
	s_cbranch_execz .LBB10_128
; %bb.127:
	s_bcnt1_i32_b64 s14, s[14:15]
	v_mov_b32_e32 v2, s14
	s_waitcnt vmcnt(0)
	global_atomic_add_x2 v[0:1], v[2:3], off offset:8
.LBB10_128:
	s_or_b64 exec, exec, s[16:17]
	s_waitcnt vmcnt(0)
	global_load_dwordx2 v[2:3], v[0:1], off offset:16
	s_waitcnt vmcnt(0)
	v_cmp_eq_u64_e32 vcc, 0, v[2:3]
	s_cbranch_vccnz .LBB10_130
; %bb.129:
	global_load_dword v0, v[0:1], off offset:24
	v_mov_b32_e32 v1, 0
	s_waitcnt vmcnt(0)
	v_readfirstlane_b32 s14, v0
	s_and_b32 m0, s14, 0xffffff
	global_store_dwordx2 v[2:3], v[0:1], off
	s_sendmsg sendmsg(MSG_INTERRUPT)
.LBB10_130:
	s_or_b64 exec, exec, s[12:13]
	s_branch .LBB10_134
.LBB10_131:                             ;   in Loop: Header=BB10_134 Depth=1
	s_or_b64 exec, exec, s[12:13]
	v_readfirstlane_b32 s12, v0
	s_cmp_eq_u32 s12, 0
	s_cbranch_scc1 .LBB10_133
; %bb.132:                              ;   in Loop: Header=BB10_134 Depth=1
	s_sleep 1
	s_cbranch_execnz .LBB10_134
	s_branch .LBB10_136
.LBB10_133:
	s_branch .LBB10_136
.LBB10_134:                             ; =>This Inner Loop Header: Depth=1
	v_mov_b32_e32 v0, 1
	s_and_saveexec_b64 s[12:13], s[4:5]
	s_cbranch_execz .LBB10_131
; %bb.135:                              ;   in Loop: Header=BB10_134 Depth=1
	global_load_dword v0, v[10:11], off offset:20 glc
	s_waitcnt vmcnt(0)
	buffer_wbinvl1_vol
	v_and_b32_e32 v0, 1, v0
	s_branch .LBB10_131
.LBB10_136:
	global_load_dwordx2 v[0:1], v[12:13], off
	s_and_saveexec_b64 s[12:13], s[4:5]
	s_cbranch_execz .LBB10_139
; %bb.137:
	v_mov_b32_e32 v10, 0
	global_load_dwordx2 v[2:3], v10, s[10:11] offset:40
	global_load_dwordx2 v[13:14], v10, s[10:11] offset:24 glc
	global_load_dwordx2 v[6:7], v10, s[10:11]
	s_waitcnt vmcnt(2)
	v_readfirstlane_b32 s14, v2
	v_readfirstlane_b32 s15, v3
	s_add_u32 s16, s14, 1
	s_addc_u32 s17, s15, 0
	s_add_u32 s4, s16, s6
	s_addc_u32 s5, s17, s7
	s_cmp_eq_u64 s[4:5], 0
	s_cselect_b32 s5, s17, s5
	s_cselect_b32 s4, s16, s4
	s_and_b64 s[6:7], s[4:5], s[14:15]
	s_mul_i32 s7, s7, 24
	s_mul_hi_u32 s14, s6, 24
	s_mul_i32 s6, s6, 24
	s_add_i32 s7, s14, s7
	v_mov_b32_e32 v3, s7
	s_waitcnt vmcnt(0)
	v_add_co_u32_e32 v2, vcc, s6, v6
	v_addc_co_u32_e32 v3, vcc, v7, v3, vcc
	v_mov_b32_e32 v11, s4
	global_store_dwordx2 v[2:3], v[13:14], off
	v_mov_b32_e32 v12, s5
	s_waitcnt vmcnt(0)
	global_atomic_cmpswap_x2 v[8:9], v10, v[11:14], s[10:11] offset:24 glc
	s_mov_b64 s[6:7], 0
	s_waitcnt vmcnt(0)
	v_cmp_ne_u64_e32 vcc, v[8:9], v[13:14]
	s_and_b64 exec, exec, vcc
	s_cbranch_execz .LBB10_139
.LBB10_138:                             ; =>This Inner Loop Header: Depth=1
	s_sleep 1
	global_store_dwordx2 v[2:3], v[8:9], off
	v_mov_b32_e32 v6, s4
	v_mov_b32_e32 v7, s5
	s_waitcnt vmcnt(0)
	global_atomic_cmpswap_x2 v[6:7], v10, v[6:9], s[10:11] offset:24 glc
	s_waitcnt vmcnt(0)
	v_cmp_eq_u64_e32 vcc, v[6:7], v[8:9]
	v_mov_b32_e32 v9, v7
	s_or_b64 s[6:7], vcc, s[6:7]
	v_mov_b32_e32 v8, v6
	s_andn2_b64 exec, exec, s[6:7]
	s_cbranch_execnz .LBB10_138
.LBB10_139:
	s_or_b64 exec, exec, s[12:13]
.LBB10_140:
	s_getpc_b64 s[6:7]
	s_add_u32 s6, s6, .str.4@rel32@lo+4
	s_addc_u32 s7, s7, .str.4@rel32@hi+12
	s_cmp_lg_u64 s[6:7], 0
	s_cbranch_scc0 .LBB10_225
; %bb.141:
	s_getpc_b64 s[4:5]
	s_add_u32 s4, s4, .str.4@rel32@lo+97
	s_addc_u32 s5, s5, .str.4@rel32@hi+105
	s_sub_i32 s12, s4, s6
	s_ashr_i32 s13, s12, 31
	s_waitcnt vmcnt(0)
	v_and_b32_e32 v32, 2, v0
	v_mov_b32_e32 v3, 0
	v_and_b32_e32 v6, -3, v0
	v_mov_b32_e32 v7, v1
	v_mov_b32_e32 v12, 2
	;; [unrolled: 1-line block ×3, first 2 shown]
	s_branch .LBB10_143
.LBB10_142:                             ;   in Loop: Header=BB10_143 Depth=1
	s_or_b64 exec, exec, s[18:19]
	s_sub_u32 s12, s12, s14
	s_subb_u32 s13, s13, s15
	s_add_u32 s6, s6, s14
	s_addc_u32 s7, s7, s15
	s_cmp_lg_u64 s[12:13], 0
	s_cbranch_scc0 .LBB10_226
.LBB10_143:                             ; =>This Loop Header: Depth=1
                                        ;     Child Loop BB10_146 Depth 2
                                        ;     Child Loop BB10_154 Depth 2
	;; [unrolled: 1-line block ×11, first 2 shown]
	v_cmp_lt_u64_e64 s[4:5], s[12:13], 56
	v_cmp_gt_u64_e64 s[16:17], s[12:13], 7
	s_and_b64 s[4:5], s[4:5], exec
	s_cselect_b32 s15, s13, 0
	s_cselect_b32 s14, s12, 56
	s_add_u32 s4, s6, 8
	s_addc_u32 s5, s7, 0
	s_and_b64 vcc, exec, s[16:17]
	s_cbranch_vccnz .LBB10_147
; %bb.144:                              ;   in Loop: Header=BB10_143 Depth=1
	s_cmp_eq_u64 s[12:13], 0
	s_cbranch_scc1 .LBB10_148
; %bb.145:                              ;   in Loop: Header=BB10_143 Depth=1
	v_mov_b32_e32 v8, 0
	s_lshl_b64 s[4:5], s[14:15], 3
	s_mov_b64 s[16:17], 0
	v_mov_b32_e32 v9, 0
	s_mov_b64 s[18:19], s[6:7]
.LBB10_146:                             ;   Parent Loop BB10_143 Depth=1
                                        ; =>  This Inner Loop Header: Depth=2
	global_load_ubyte v2, v3, s[18:19]
	s_waitcnt vmcnt(0)
	v_and_b32_e32 v2, 0xffff, v2
	v_lshlrev_b64 v[10:11], s16, v[2:3]
	s_add_u32 s16, s16, 8
	s_addc_u32 s17, s17, 0
	s_add_u32 s18, s18, 1
	s_addc_u32 s19, s19, 0
	v_or_b32_e32 v8, v10, v8
	s_cmp_lg_u32 s4, s16
	v_or_b32_e32 v9, v11, v9
	s_cbranch_scc1 .LBB10_146
	s_branch .LBB10_149
.LBB10_147:                             ;   in Loop: Header=BB10_143 Depth=1
	s_mov_b32 s20, 0
	s_branch .LBB10_150
.LBB10_148:                             ;   in Loop: Header=BB10_143 Depth=1
	v_mov_b32_e32 v8, 0
	v_mov_b32_e32 v9, 0
.LBB10_149:                             ;   in Loop: Header=BB10_143 Depth=1
	s_mov_b64 s[4:5], s[6:7]
	s_mov_b32 s20, 0
	s_cbranch_execnz .LBB10_151
.LBB10_150:                             ;   in Loop: Header=BB10_143 Depth=1
	global_load_dwordx2 v[8:9], v3, s[6:7]
	s_add_i32 s20, s14, -8
.LBB10_151:                             ;   in Loop: Header=BB10_143 Depth=1
	s_add_u32 s16, s4, 8
	s_addc_u32 s17, s5, 0
	s_cmp_gt_u32 s20, 7
	s_cbranch_scc1 .LBB10_155
; %bb.152:                              ;   in Loop: Header=BB10_143 Depth=1
	s_cmp_eq_u32 s20, 0
	s_cbranch_scc1 .LBB10_156
; %bb.153:                              ;   in Loop: Header=BB10_143 Depth=1
	v_mov_b32_e32 v14, 0
	s_mov_b64 s[16:17], 0
	v_mov_b32_e32 v15, 0
	s_mov_b64 s[18:19], 0
.LBB10_154:                             ;   Parent Loop BB10_143 Depth=1
                                        ; =>  This Inner Loop Header: Depth=2
	s_add_u32 s22, s4, s18
	s_addc_u32 s23, s5, s19
	global_load_ubyte v2, v3, s[22:23]
	s_add_u32 s18, s18, 1
	s_addc_u32 s19, s19, 0
	s_waitcnt vmcnt(0)
	v_and_b32_e32 v2, 0xffff, v2
	v_lshlrev_b64 v[10:11], s16, v[2:3]
	s_add_u32 s16, s16, 8
	s_addc_u32 s17, s17, 0
	v_or_b32_e32 v14, v10, v14
	s_cmp_lg_u32 s20, s18
	v_or_b32_e32 v15, v11, v15
	s_cbranch_scc1 .LBB10_154
	s_branch .LBB10_157
.LBB10_155:                             ;   in Loop: Header=BB10_143 Depth=1
                                        ; implicit-def: $vgpr14_vgpr15
	s_mov_b32 s21, 0
	s_branch .LBB10_158
.LBB10_156:                             ;   in Loop: Header=BB10_143 Depth=1
	v_mov_b32_e32 v14, 0
	v_mov_b32_e32 v15, 0
.LBB10_157:                             ;   in Loop: Header=BB10_143 Depth=1
	s_mov_b64 s[16:17], s[4:5]
	s_mov_b32 s21, 0
	s_cbranch_execnz .LBB10_159
.LBB10_158:                             ;   in Loop: Header=BB10_143 Depth=1
	global_load_dwordx2 v[14:15], v3, s[4:5]
	s_add_i32 s21, s20, -8
.LBB10_159:                             ;   in Loop: Header=BB10_143 Depth=1
	s_add_u32 s4, s16, 8
	s_addc_u32 s5, s17, 0
	s_cmp_gt_u32 s21, 7
	s_cbranch_scc1 .LBB10_163
; %bb.160:                              ;   in Loop: Header=BB10_143 Depth=1
	s_cmp_eq_u32 s21, 0
	s_cbranch_scc1 .LBB10_164
; %bb.161:                              ;   in Loop: Header=BB10_143 Depth=1
	v_mov_b32_e32 v16, 0
	s_mov_b64 s[4:5], 0
	v_mov_b32_e32 v17, 0
	s_mov_b64 s[18:19], 0
.LBB10_162:                             ;   Parent Loop BB10_143 Depth=1
                                        ; =>  This Inner Loop Header: Depth=2
	s_add_u32 s22, s16, s18
	s_addc_u32 s23, s17, s19
	global_load_ubyte v2, v3, s[22:23]
	s_add_u32 s18, s18, 1
	s_addc_u32 s19, s19, 0
	s_waitcnt vmcnt(0)
	v_and_b32_e32 v2, 0xffff, v2
	v_lshlrev_b64 v[10:11], s4, v[2:3]
	s_add_u32 s4, s4, 8
	s_addc_u32 s5, s5, 0
	v_or_b32_e32 v16, v10, v16
	s_cmp_lg_u32 s21, s18
	v_or_b32_e32 v17, v11, v17
	s_cbranch_scc1 .LBB10_162
	s_branch .LBB10_165
.LBB10_163:                             ;   in Loop: Header=BB10_143 Depth=1
	s_mov_b32 s20, 0
	s_branch .LBB10_166
.LBB10_164:                             ;   in Loop: Header=BB10_143 Depth=1
	v_mov_b32_e32 v16, 0
	v_mov_b32_e32 v17, 0
.LBB10_165:                             ;   in Loop: Header=BB10_143 Depth=1
	s_mov_b64 s[4:5], s[16:17]
	s_mov_b32 s20, 0
	s_cbranch_execnz .LBB10_167
.LBB10_166:                             ;   in Loop: Header=BB10_143 Depth=1
	global_load_dwordx2 v[16:17], v3, s[16:17]
	s_add_i32 s20, s21, -8
.LBB10_167:                             ;   in Loop: Header=BB10_143 Depth=1
	s_add_u32 s16, s4, 8
	s_addc_u32 s17, s5, 0
	s_cmp_gt_u32 s20, 7
	s_cbranch_scc1 .LBB10_171
; %bb.168:                              ;   in Loop: Header=BB10_143 Depth=1
	s_cmp_eq_u32 s20, 0
	s_cbranch_scc1 .LBB10_172
; %bb.169:                              ;   in Loop: Header=BB10_143 Depth=1
	v_mov_b32_e32 v18, 0
	s_mov_b64 s[16:17], 0
	v_mov_b32_e32 v19, 0
	s_mov_b64 s[18:19], 0
.LBB10_170:                             ;   Parent Loop BB10_143 Depth=1
                                        ; =>  This Inner Loop Header: Depth=2
	s_add_u32 s22, s4, s18
	s_addc_u32 s23, s5, s19
	global_load_ubyte v2, v3, s[22:23]
	s_add_u32 s18, s18, 1
	s_addc_u32 s19, s19, 0
	s_waitcnt vmcnt(0)
	v_and_b32_e32 v2, 0xffff, v2
	v_lshlrev_b64 v[10:11], s16, v[2:3]
	s_add_u32 s16, s16, 8
	s_addc_u32 s17, s17, 0
	v_or_b32_e32 v18, v10, v18
	s_cmp_lg_u32 s20, s18
	v_or_b32_e32 v19, v11, v19
	s_cbranch_scc1 .LBB10_170
	s_branch .LBB10_173
.LBB10_171:                             ;   in Loop: Header=BB10_143 Depth=1
                                        ; implicit-def: $vgpr18_vgpr19
	s_mov_b32 s21, 0
	s_branch .LBB10_174
.LBB10_172:                             ;   in Loop: Header=BB10_143 Depth=1
	v_mov_b32_e32 v18, 0
	v_mov_b32_e32 v19, 0
.LBB10_173:                             ;   in Loop: Header=BB10_143 Depth=1
	s_mov_b64 s[16:17], s[4:5]
	s_mov_b32 s21, 0
	s_cbranch_execnz .LBB10_175
.LBB10_174:                             ;   in Loop: Header=BB10_143 Depth=1
	global_load_dwordx2 v[18:19], v3, s[4:5]
	s_add_i32 s21, s20, -8
.LBB10_175:                             ;   in Loop: Header=BB10_143 Depth=1
	s_add_u32 s4, s16, 8
	s_addc_u32 s5, s17, 0
	s_cmp_gt_u32 s21, 7
	s_cbranch_scc1 .LBB10_179
; %bb.176:                              ;   in Loop: Header=BB10_143 Depth=1
	s_cmp_eq_u32 s21, 0
	s_cbranch_scc1 .LBB10_180
; %bb.177:                              ;   in Loop: Header=BB10_143 Depth=1
	v_mov_b32_e32 v20, 0
	s_mov_b64 s[4:5], 0
	v_mov_b32_e32 v21, 0
	s_mov_b64 s[18:19], 0
.LBB10_178:                             ;   Parent Loop BB10_143 Depth=1
                                        ; =>  This Inner Loop Header: Depth=2
	s_add_u32 s22, s16, s18
	s_addc_u32 s23, s17, s19
	global_load_ubyte v2, v3, s[22:23]
	s_add_u32 s18, s18, 1
	s_addc_u32 s19, s19, 0
	s_waitcnt vmcnt(0)
	v_and_b32_e32 v2, 0xffff, v2
	v_lshlrev_b64 v[10:11], s4, v[2:3]
	s_add_u32 s4, s4, 8
	s_addc_u32 s5, s5, 0
	v_or_b32_e32 v20, v10, v20
	s_cmp_lg_u32 s21, s18
	v_or_b32_e32 v21, v11, v21
	s_cbranch_scc1 .LBB10_178
	s_branch .LBB10_181
.LBB10_179:                             ;   in Loop: Header=BB10_143 Depth=1
	s_mov_b32 s20, 0
	s_branch .LBB10_182
.LBB10_180:                             ;   in Loop: Header=BB10_143 Depth=1
	v_mov_b32_e32 v20, 0
	v_mov_b32_e32 v21, 0
.LBB10_181:                             ;   in Loop: Header=BB10_143 Depth=1
	s_mov_b64 s[4:5], s[16:17]
	s_mov_b32 s20, 0
	s_cbranch_execnz .LBB10_183
.LBB10_182:                             ;   in Loop: Header=BB10_143 Depth=1
	global_load_dwordx2 v[20:21], v3, s[16:17]
	s_add_i32 s20, s21, -8
.LBB10_183:                             ;   in Loop: Header=BB10_143 Depth=1
	s_add_u32 s16, s4, 8
	s_addc_u32 s17, s5, 0
	s_cmp_gt_u32 s20, 7
	s_cbranch_scc1 .LBB10_187
; %bb.184:                              ;   in Loop: Header=BB10_143 Depth=1
	s_cmp_eq_u32 s20, 0
	s_cbranch_scc1 .LBB10_188
; %bb.185:                              ;   in Loop: Header=BB10_143 Depth=1
	v_mov_b32_e32 v22, 0
	s_mov_b64 s[16:17], 0
	v_mov_b32_e32 v23, 0
	s_mov_b64 s[18:19], 0
.LBB10_186:                             ;   Parent Loop BB10_143 Depth=1
                                        ; =>  This Inner Loop Header: Depth=2
	s_add_u32 s22, s4, s18
	s_addc_u32 s23, s5, s19
	global_load_ubyte v2, v3, s[22:23]
	s_add_u32 s18, s18, 1
	s_addc_u32 s19, s19, 0
	s_waitcnt vmcnt(0)
	v_and_b32_e32 v2, 0xffff, v2
	v_lshlrev_b64 v[10:11], s16, v[2:3]
	s_add_u32 s16, s16, 8
	s_addc_u32 s17, s17, 0
	v_or_b32_e32 v22, v10, v22
	s_cmp_lg_u32 s20, s18
	v_or_b32_e32 v23, v11, v23
	s_cbranch_scc1 .LBB10_186
	s_branch .LBB10_189
.LBB10_187:                             ;   in Loop: Header=BB10_143 Depth=1
                                        ; implicit-def: $vgpr22_vgpr23
	s_mov_b32 s21, 0
	s_branch .LBB10_190
.LBB10_188:                             ;   in Loop: Header=BB10_143 Depth=1
	v_mov_b32_e32 v22, 0
	v_mov_b32_e32 v23, 0
.LBB10_189:                             ;   in Loop: Header=BB10_143 Depth=1
	s_mov_b64 s[16:17], s[4:5]
	s_mov_b32 s21, 0
	s_cbranch_execnz .LBB10_191
.LBB10_190:                             ;   in Loop: Header=BB10_143 Depth=1
	global_load_dwordx2 v[22:23], v3, s[4:5]
	s_add_i32 s21, s20, -8
.LBB10_191:                             ;   in Loop: Header=BB10_143 Depth=1
	s_cmp_gt_u32 s21, 7
	s_cbranch_scc1 .LBB10_195
; %bb.192:                              ;   in Loop: Header=BB10_143 Depth=1
	s_cmp_eq_u32 s21, 0
	s_cbranch_scc1 .LBB10_196
; %bb.193:                              ;   in Loop: Header=BB10_143 Depth=1
	v_mov_b32_e32 v24, 0
	s_mov_b64 s[4:5], 0
	v_mov_b32_e32 v25, 0
	s_mov_b64 s[18:19], s[16:17]
.LBB10_194:                             ;   Parent Loop BB10_143 Depth=1
                                        ; =>  This Inner Loop Header: Depth=2
	global_load_ubyte v2, v3, s[18:19]
	s_add_i32 s21, s21, -1
	s_waitcnt vmcnt(0)
	v_and_b32_e32 v2, 0xffff, v2
	v_lshlrev_b64 v[10:11], s4, v[2:3]
	s_add_u32 s4, s4, 8
	s_addc_u32 s5, s5, 0
	s_add_u32 s18, s18, 1
	s_addc_u32 s19, s19, 0
	v_or_b32_e32 v24, v10, v24
	s_cmp_lg_u32 s21, 0
	v_or_b32_e32 v25, v11, v25
	s_cbranch_scc1 .LBB10_194
	s_branch .LBB10_197
.LBB10_195:                             ;   in Loop: Header=BB10_143 Depth=1
	s_branch .LBB10_198
.LBB10_196:                             ;   in Loop: Header=BB10_143 Depth=1
	v_mov_b32_e32 v24, 0
	v_mov_b32_e32 v25, 0
.LBB10_197:                             ;   in Loop: Header=BB10_143 Depth=1
	s_cbranch_execnz .LBB10_199
.LBB10_198:                             ;   in Loop: Header=BB10_143 Depth=1
	global_load_dwordx2 v[24:25], v3, s[16:17]
.LBB10_199:                             ;   in Loop: Header=BB10_143 Depth=1
	v_readfirstlane_b32 s4, v34
	v_mov_b32_e32 v10, 0
	v_mov_b32_e32 v11, 0
	v_cmp_eq_u32_e64 s[4:5], s4, v34
	s_and_saveexec_b64 s[16:17], s[4:5]
	s_cbranch_execz .LBB10_205
; %bb.200:                              ;   in Loop: Header=BB10_143 Depth=1
	global_load_dwordx2 v[28:29], v3, s[10:11] offset:24 glc
	s_waitcnt vmcnt(0)
	buffer_wbinvl1_vol
	global_load_dwordx2 v[10:11], v3, s[10:11] offset:40
	global_load_dwordx2 v[26:27], v3, s[10:11]
	s_waitcnt vmcnt(1)
	v_and_b32_e32 v2, v10, v28
	v_and_b32_e32 v10, v11, v29
	v_mul_lo_u32 v10, v10, 24
	v_mul_hi_u32 v11, v2, 24
	v_mul_lo_u32 v2, v2, 24
	v_add_u32_e32 v11, v11, v10
	s_waitcnt vmcnt(0)
	v_add_co_u32_e32 v10, vcc, v26, v2
	v_addc_co_u32_e32 v11, vcc, v27, v11, vcc
	global_load_dwordx2 v[26:27], v[10:11], off glc
	s_waitcnt vmcnt(0)
	global_atomic_cmpswap_x2 v[10:11], v3, v[26:29], s[10:11] offset:24 glc
	s_waitcnt vmcnt(0)
	buffer_wbinvl1_vol
	v_cmp_ne_u64_e32 vcc, v[10:11], v[28:29]
	s_and_saveexec_b64 s[18:19], vcc
	s_cbranch_execz .LBB10_204
; %bb.201:                              ;   in Loop: Header=BB10_143 Depth=1
	s_mov_b64 s[20:21], 0
.LBB10_202:                             ;   Parent Loop BB10_143 Depth=1
                                        ; =>  This Inner Loop Header: Depth=2
	s_sleep 1
	global_load_dwordx2 v[26:27], v3, s[10:11] offset:40
	global_load_dwordx2 v[30:31], v3, s[10:11]
	v_mov_b32_e32 v29, v11
	v_mov_b32_e32 v28, v10
	s_waitcnt vmcnt(1)
	v_and_b32_e32 v2, v26, v28
	s_waitcnt vmcnt(0)
	v_mad_u64_u32 v[10:11], s[22:23], v2, 24, v[30:31]
	v_and_b32_e32 v26, v27, v29
	v_mov_b32_e32 v2, v11
	v_mad_u64_u32 v[26:27], s[22:23], v26, 24, v[2:3]
	v_mov_b32_e32 v11, v26
	global_load_dwordx2 v[26:27], v[10:11], off glc
	s_waitcnt vmcnt(0)
	global_atomic_cmpswap_x2 v[10:11], v3, v[26:29], s[10:11] offset:24 glc
	s_waitcnt vmcnt(0)
	buffer_wbinvl1_vol
	v_cmp_eq_u64_e32 vcc, v[10:11], v[28:29]
	s_or_b64 s[20:21], vcc, s[20:21]
	s_andn2_b64 exec, exec, s[20:21]
	s_cbranch_execnz .LBB10_202
; %bb.203:                              ;   in Loop: Header=BB10_143 Depth=1
	s_or_b64 exec, exec, s[20:21]
.LBB10_204:                             ;   in Loop: Header=BB10_143 Depth=1
	s_or_b64 exec, exec, s[18:19]
.LBB10_205:                             ;   in Loop: Header=BB10_143 Depth=1
	s_or_b64 exec, exec, s[16:17]
	global_load_dwordx2 v[30:31], v3, s[10:11] offset:40
	global_load_dwordx4 v[26:29], v3, s[10:11]
	v_readfirstlane_b32 s17, v11
	v_readfirstlane_b32 s16, v10
	s_mov_b64 s[18:19], exec
	s_waitcnt vmcnt(1)
	v_readfirstlane_b32 s20, v30
	v_readfirstlane_b32 s21, v31
	s_and_b64 s[20:21], s[20:21], s[16:17]
	s_mul_i32 s22, s21, 24
	s_mul_hi_u32 s23, s20, 24
	s_mul_i32 s24, s20, 24
	s_add_i32 s22, s23, s22
	v_mov_b32_e32 v2, s22
	s_waitcnt vmcnt(0)
	v_add_co_u32_e32 v30, vcc, s24, v26
	v_addc_co_u32_e32 v31, vcc, v27, v2, vcc
	s_and_saveexec_b64 s[22:23], s[4:5]
	s_cbranch_execz .LBB10_207
; %bb.206:                              ;   in Loop: Header=BB10_143 Depth=1
	v_mov_b32_e32 v10, s18
	v_mov_b32_e32 v11, s19
	global_store_dwordx4 v[30:31], v[10:13], off offset:8
.LBB10_207:                             ;   in Loop: Header=BB10_143 Depth=1
	s_or_b64 exec, exec, s[22:23]
	s_lshl_b64 s[18:19], s[20:21], 12
	v_mov_b32_e32 v2, s19
	v_add_co_u32_e32 v28, vcc, s18, v28
	v_addc_co_u32_e32 v29, vcc, v29, v2, vcc
	v_cmp_lt_u64_e64 vcc, s[12:13], 57
	s_lshl_b32 s18, s14, 2
	v_cndmask_b32_e32 v2, 0, v32, vcc
	s_add_i32 s18, s18, 28
	v_and_b32_e32 v6, 0xffffff1f, v6
	s_and_b32 s18, s18, 0x1e0
	v_or_b32_e32 v2, v6, v2
	v_or_b32_e32 v6, s18, v2
	v_readfirstlane_b32 s18, v28
	v_readfirstlane_b32 s19, v29
	s_nop 4
	global_store_dwordx4 v35, v[6:9], s[18:19]
	global_store_dwordx4 v35, v[14:17], s[18:19] offset:16
	global_store_dwordx4 v35, v[18:21], s[18:19] offset:32
	;; [unrolled: 1-line block ×3, first 2 shown]
	s_and_saveexec_b64 s[18:19], s[4:5]
	s_cbranch_execz .LBB10_215
; %bb.208:                              ;   in Loop: Header=BB10_143 Depth=1
	global_load_dwordx2 v[16:17], v3, s[10:11] offset:32 glc
	global_load_dwordx2 v[6:7], v3, s[10:11] offset:40
	v_mov_b32_e32 v14, s16
	v_mov_b32_e32 v15, s17
	s_waitcnt vmcnt(0)
	v_readfirstlane_b32 s20, v6
	v_readfirstlane_b32 s21, v7
	s_and_b64 s[20:21], s[20:21], s[16:17]
	s_mul_i32 s21, s21, 24
	s_mul_hi_u32 s22, s20, 24
	s_mul_i32 s20, s20, 24
	s_add_i32 s21, s22, s21
	v_mov_b32_e32 v2, s21
	v_add_co_u32_e32 v10, vcc, s20, v26
	v_addc_co_u32_e32 v11, vcc, v27, v2, vcc
	global_store_dwordx2 v[10:11], v[16:17], off
	s_waitcnt vmcnt(0)
	global_atomic_cmpswap_x2 v[8:9], v3, v[14:17], s[10:11] offset:32 glc
	s_waitcnt vmcnt(0)
	v_cmp_ne_u64_e32 vcc, v[8:9], v[16:17]
	s_and_saveexec_b64 s[20:21], vcc
	s_cbranch_execz .LBB10_211
; %bb.209:                              ;   in Loop: Header=BB10_143 Depth=1
	s_mov_b64 s[22:23], 0
.LBB10_210:                             ;   Parent Loop BB10_143 Depth=1
                                        ; =>  This Inner Loop Header: Depth=2
	s_sleep 1
	global_store_dwordx2 v[10:11], v[8:9], off
	v_mov_b32_e32 v6, s16
	v_mov_b32_e32 v7, s17
	s_waitcnt vmcnt(0)
	global_atomic_cmpswap_x2 v[6:7], v3, v[6:9], s[10:11] offset:32 glc
	s_waitcnt vmcnt(0)
	v_cmp_eq_u64_e32 vcc, v[6:7], v[8:9]
	v_mov_b32_e32 v9, v7
	s_or_b64 s[22:23], vcc, s[22:23]
	v_mov_b32_e32 v8, v6
	s_andn2_b64 exec, exec, s[22:23]
	s_cbranch_execnz .LBB10_210
.LBB10_211:                             ;   in Loop: Header=BB10_143 Depth=1
	s_or_b64 exec, exec, s[20:21]
	global_load_dwordx2 v[6:7], v3, s[10:11] offset:16
	s_mov_b64 s[22:23], exec
	v_mbcnt_lo_u32_b32 v2, s22, 0
	v_mbcnt_hi_u32_b32 v2, s23, v2
	v_cmp_eq_u32_e32 vcc, 0, v2
	s_and_saveexec_b64 s[20:21], vcc
	s_cbranch_execz .LBB10_213
; %bb.212:                              ;   in Loop: Header=BB10_143 Depth=1
	s_bcnt1_i32_b64 s22, s[22:23]
	v_mov_b32_e32 v2, s22
	s_waitcnt vmcnt(0)
	global_atomic_add_x2 v[6:7], v[2:3], off offset:8
.LBB10_213:                             ;   in Loop: Header=BB10_143 Depth=1
	s_or_b64 exec, exec, s[20:21]
	s_waitcnt vmcnt(0)
	global_load_dwordx2 v[8:9], v[6:7], off offset:16
	s_waitcnt vmcnt(0)
	v_cmp_eq_u64_e32 vcc, 0, v[8:9]
	s_cbranch_vccnz .LBB10_215
; %bb.214:                              ;   in Loop: Header=BB10_143 Depth=1
	global_load_dword v2, v[6:7], off offset:24
	s_waitcnt vmcnt(0)
	v_readfirstlane_b32 s20, v2
	s_and_b32 m0, s20, 0xffffff
	global_store_dwordx2 v[8:9], v[2:3], off
	s_sendmsg sendmsg(MSG_INTERRUPT)
.LBB10_215:                             ;   in Loop: Header=BB10_143 Depth=1
	s_or_b64 exec, exec, s[18:19]
	v_add_co_u32_e32 v6, vcc, v28, v35
	v_addc_co_u32_e32 v7, vcc, 0, v29, vcc
	s_branch .LBB10_219
.LBB10_216:                             ;   in Loop: Header=BB10_219 Depth=2
	s_or_b64 exec, exec, s[18:19]
	v_readfirstlane_b32 s18, v2
	s_cmp_eq_u32 s18, 0
	s_cbranch_scc1 .LBB10_218
; %bb.217:                              ;   in Loop: Header=BB10_219 Depth=2
	s_sleep 1
	s_cbranch_execnz .LBB10_219
	s_branch .LBB10_221
.LBB10_218:                             ;   in Loop: Header=BB10_143 Depth=1
	s_branch .LBB10_221
.LBB10_219:                             ;   Parent Loop BB10_143 Depth=1
                                        ; =>  This Inner Loop Header: Depth=2
	v_mov_b32_e32 v2, 1
	s_and_saveexec_b64 s[18:19], s[4:5]
	s_cbranch_execz .LBB10_216
; %bb.220:                              ;   in Loop: Header=BB10_219 Depth=2
	global_load_dword v2, v[30:31], off offset:20 glc
	s_waitcnt vmcnt(0)
	buffer_wbinvl1_vol
	v_and_b32_e32 v2, 1, v2
	s_branch .LBB10_216
.LBB10_221:                             ;   in Loop: Header=BB10_143 Depth=1
	global_load_dwordx2 v[6:7], v[6:7], off
	s_and_saveexec_b64 s[18:19], s[4:5]
	s_cbranch_execz .LBB10_142
; %bb.222:                              ;   in Loop: Header=BB10_143 Depth=1
	global_load_dwordx2 v[8:9], v3, s[10:11] offset:40
	global_load_dwordx2 v[18:19], v3, s[10:11] offset:24 glc
	global_load_dwordx2 v[10:11], v3, s[10:11]
	s_waitcnt vmcnt(2)
	v_readfirstlane_b32 s20, v8
	v_readfirstlane_b32 s21, v9
	s_add_u32 s22, s20, 1
	s_addc_u32 s23, s21, 0
	s_add_u32 s4, s22, s16
	s_addc_u32 s5, s23, s17
	s_cmp_eq_u64 s[4:5], 0
	s_cselect_b32 s5, s23, s5
	s_cselect_b32 s4, s22, s4
	s_and_b64 s[16:17], s[4:5], s[20:21]
	s_mul_i32 s17, s17, 24
	s_mul_hi_u32 s20, s16, 24
	s_mul_i32 s16, s16, 24
	s_add_i32 s17, s20, s17
	v_mov_b32_e32 v2, s17
	s_waitcnt vmcnt(0)
	v_add_co_u32_e32 v14, vcc, s16, v10
	v_addc_co_u32_e32 v15, vcc, v11, v2, vcc
	v_mov_b32_e32 v16, s4
	global_store_dwordx2 v[14:15], v[18:19], off
	v_mov_b32_e32 v17, s5
	s_waitcnt vmcnt(0)
	global_atomic_cmpswap_x2 v[10:11], v3, v[16:19], s[10:11] offset:24 glc
	s_waitcnt vmcnt(0)
	v_cmp_ne_u64_e32 vcc, v[10:11], v[18:19]
	s_and_b64 exec, exec, vcc
	s_cbranch_execz .LBB10_142
; %bb.223:                              ;   in Loop: Header=BB10_143 Depth=1
	s_mov_b64 s[16:17], 0
.LBB10_224:                             ;   Parent Loop BB10_143 Depth=1
                                        ; =>  This Inner Loop Header: Depth=2
	s_sleep 1
	global_store_dwordx2 v[14:15], v[10:11], off
	v_mov_b32_e32 v8, s4
	v_mov_b32_e32 v9, s5
	s_waitcnt vmcnt(0)
	global_atomic_cmpswap_x2 v[8:9], v3, v[8:11], s[10:11] offset:24 glc
	s_waitcnt vmcnt(0)
	v_cmp_eq_u64_e32 vcc, v[8:9], v[10:11]
	v_mov_b32_e32 v11, v9
	s_or_b64 s[16:17], vcc, s[16:17]
	v_mov_b32_e32 v10, v8
	s_andn2_b64 exec, exec, s[16:17]
	s_cbranch_execnz .LBB10_224
	s_branch .LBB10_142
.LBB10_225:
                                        ; implicit-def: $vgpr6_vgpr7
	s_cbranch_execnz .LBB10_227
	s_branch .LBB10_253
.LBB10_226:
	s_branch .LBB10_253
.LBB10_227:
	v_readfirstlane_b32 s4, v34
	v_mov_b32_e32 v10, 0
	v_mov_b32_e32 v11, 0
	v_cmp_eq_u32_e64 s[4:5], s4, v34
	s_and_saveexec_b64 s[6:7], s[4:5]
	s_cbranch_execz .LBB10_233
; %bb.228:
	v_mov_b32_e32 v2, 0
	global_load_dwordx2 v[8:9], v2, s[10:11] offset:24 glc
	s_waitcnt vmcnt(0)
	buffer_wbinvl1_vol
	global_load_dwordx2 v[6:7], v2, s[10:11] offset:40
	global_load_dwordx2 v[10:11], v2, s[10:11]
	s_waitcnt vmcnt(1)
	v_and_b32_e32 v3, v6, v8
	v_and_b32_e32 v6, v7, v9
	v_mul_lo_u32 v6, v6, 24
	v_mul_hi_u32 v7, v3, 24
	v_mul_lo_u32 v3, v3, 24
	v_add_u32_e32 v7, v7, v6
	s_waitcnt vmcnt(0)
	v_add_co_u32_e32 v6, vcc, v10, v3
	v_addc_co_u32_e32 v7, vcc, v11, v7, vcc
	global_load_dwordx2 v[6:7], v[6:7], off glc
	s_waitcnt vmcnt(0)
	global_atomic_cmpswap_x2 v[10:11], v2, v[6:9], s[10:11] offset:24 glc
	s_waitcnt vmcnt(0)
	buffer_wbinvl1_vol
	v_cmp_ne_u64_e32 vcc, v[10:11], v[8:9]
	s_and_saveexec_b64 s[12:13], vcc
	s_cbranch_execz .LBB10_232
; %bb.229:
	s_mov_b64 s[14:15], 0
.LBB10_230:                             ; =>This Inner Loop Header: Depth=1
	s_sleep 1
	global_load_dwordx2 v[6:7], v2, s[10:11] offset:40
	global_load_dwordx2 v[12:13], v2, s[10:11]
	v_mov_b32_e32 v8, v10
	v_mov_b32_e32 v9, v11
	s_waitcnt vmcnt(1)
	v_and_b32_e32 v3, v6, v8
	s_waitcnt vmcnt(0)
	v_mad_u64_u32 v[10:11], s[16:17], v3, 24, v[12:13]
	v_and_b32_e32 v6, v7, v9
	v_mov_b32_e32 v3, v11
	v_mad_u64_u32 v[6:7], s[16:17], v6, 24, v[3:4]
	v_mov_b32_e32 v11, v6
	global_load_dwordx2 v[6:7], v[10:11], off glc
	s_waitcnt vmcnt(0)
	global_atomic_cmpswap_x2 v[10:11], v2, v[6:9], s[10:11] offset:24 glc
	s_waitcnt vmcnt(0)
	buffer_wbinvl1_vol
	v_cmp_eq_u64_e32 vcc, v[10:11], v[8:9]
	s_or_b64 s[14:15], vcc, s[14:15]
	s_andn2_b64 exec, exec, s[14:15]
	s_cbranch_execnz .LBB10_230
; %bb.231:
	s_or_b64 exec, exec, s[14:15]
.LBB10_232:
	s_or_b64 exec, exec, s[12:13]
.LBB10_233:
	s_or_b64 exec, exec, s[6:7]
	v_mov_b32_e32 v2, 0
	global_load_dwordx2 v[12:13], v2, s[10:11] offset:40
	global_load_dwordx4 v[6:9], v2, s[10:11]
	v_readfirstlane_b32 s7, v11
	v_readfirstlane_b32 s6, v10
	s_mov_b64 s[12:13], exec
	s_waitcnt vmcnt(1)
	v_readfirstlane_b32 s14, v12
	v_readfirstlane_b32 s15, v13
	s_and_b64 s[14:15], s[14:15], s[6:7]
	s_mul_i32 s16, s15, 24
	s_mul_hi_u32 s17, s14, 24
	s_mul_i32 s18, s14, 24
	s_add_i32 s16, s17, s16
	v_mov_b32_e32 v3, s16
	s_waitcnt vmcnt(0)
	v_add_co_u32_e32 v10, vcc, s18, v6
	v_addc_co_u32_e32 v11, vcc, v7, v3, vcc
	s_and_saveexec_b64 s[16:17], s[4:5]
	s_cbranch_execz .LBB10_235
; %bb.234:
	v_mov_b32_e32 v12, s12
	v_mov_b32_e32 v13, s13
	;; [unrolled: 1-line block ×4, first 2 shown]
	global_store_dwordx4 v[10:11], v[12:15], off offset:8
.LBB10_235:
	s_or_b64 exec, exec, s[16:17]
	s_lshl_b64 s[12:13], s[14:15], 12
	v_mov_b32_e32 v3, s13
	v_add_co_u32_e32 v12, vcc, s12, v8
	v_addc_co_u32_e32 v13, vcc, v9, v3, vcc
	s_movk_i32 s12, 0xff1f
	v_and_or_b32 v0, v0, s12, 32
	s_mov_b32 s12, 0
	v_mov_b32_e32 v3, v2
	v_readfirstlane_b32 s16, v12
	v_readfirstlane_b32 s17, v13
	v_add_co_u32_e32 v8, vcc, v12, v35
	s_mov_b32 s13, s12
	s_mov_b32 s14, s12
	;; [unrolled: 1-line block ×3, first 2 shown]
	s_nop 0
	global_store_dwordx4 v35, v[0:3], s[16:17]
	v_addc_co_u32_e32 v9, vcc, 0, v13, vcc
	v_mov_b32_e32 v0, s12
	v_mov_b32_e32 v1, s13
	;; [unrolled: 1-line block ×4, first 2 shown]
	global_store_dwordx4 v35, v[0:3], s[16:17] offset:16
	global_store_dwordx4 v35, v[0:3], s[16:17] offset:32
	global_store_dwordx4 v35, v[0:3], s[16:17] offset:48
	s_and_saveexec_b64 s[12:13], s[4:5]
	s_cbranch_execz .LBB10_243
; %bb.236:
	v_mov_b32_e32 v12, 0
	global_load_dwordx2 v[15:16], v12, s[10:11] offset:32 glc
	global_load_dwordx2 v[0:1], v12, s[10:11] offset:40
	v_mov_b32_e32 v13, s6
	v_mov_b32_e32 v14, s7
	s_waitcnt vmcnt(0)
	v_readfirstlane_b32 s14, v0
	v_readfirstlane_b32 s15, v1
	s_and_b64 s[14:15], s[14:15], s[6:7]
	s_mul_i32 s15, s15, 24
	s_mul_hi_u32 s16, s14, 24
	s_mul_i32 s14, s14, 24
	s_add_i32 s15, s16, s15
	v_mov_b32_e32 v0, s15
	v_add_co_u32_e32 v6, vcc, s14, v6
	v_addc_co_u32_e32 v7, vcc, v7, v0, vcc
	global_store_dwordx2 v[6:7], v[15:16], off
	s_waitcnt vmcnt(0)
	global_atomic_cmpswap_x2 v[2:3], v12, v[13:16], s[10:11] offset:32 glc
	s_waitcnt vmcnt(0)
	v_cmp_ne_u64_e32 vcc, v[2:3], v[15:16]
	s_and_saveexec_b64 s[14:15], vcc
	s_cbranch_execz .LBB10_239
; %bb.237:
	s_mov_b64 s[16:17], 0
.LBB10_238:                             ; =>This Inner Loop Header: Depth=1
	s_sleep 1
	global_store_dwordx2 v[6:7], v[2:3], off
	v_mov_b32_e32 v0, s6
	v_mov_b32_e32 v1, s7
	s_waitcnt vmcnt(0)
	global_atomic_cmpswap_x2 v[0:1], v12, v[0:3], s[10:11] offset:32 glc
	s_waitcnt vmcnt(0)
	v_cmp_eq_u64_e32 vcc, v[0:1], v[2:3]
	v_mov_b32_e32 v3, v1
	s_or_b64 s[16:17], vcc, s[16:17]
	v_mov_b32_e32 v2, v0
	s_andn2_b64 exec, exec, s[16:17]
	s_cbranch_execnz .LBB10_238
.LBB10_239:
	s_or_b64 exec, exec, s[14:15]
	v_mov_b32_e32 v3, 0
	global_load_dwordx2 v[0:1], v3, s[10:11] offset:16
	s_mov_b64 s[14:15], exec
	v_mbcnt_lo_u32_b32 v2, s14, 0
	v_mbcnt_hi_u32_b32 v2, s15, v2
	v_cmp_eq_u32_e32 vcc, 0, v2
	s_and_saveexec_b64 s[16:17], vcc
	s_cbranch_execz .LBB10_241
; %bb.240:
	s_bcnt1_i32_b64 s14, s[14:15]
	v_mov_b32_e32 v2, s14
	s_waitcnt vmcnt(0)
	global_atomic_add_x2 v[0:1], v[2:3], off offset:8
.LBB10_241:
	s_or_b64 exec, exec, s[16:17]
	s_waitcnt vmcnt(0)
	global_load_dwordx2 v[2:3], v[0:1], off offset:16
	s_waitcnt vmcnt(0)
	v_cmp_eq_u64_e32 vcc, 0, v[2:3]
	s_cbranch_vccnz .LBB10_243
; %bb.242:
	global_load_dword v0, v[0:1], off offset:24
	v_mov_b32_e32 v1, 0
	s_waitcnt vmcnt(0)
	v_readfirstlane_b32 s14, v0
	s_and_b32 m0, s14, 0xffffff
	global_store_dwordx2 v[2:3], v[0:1], off
	s_sendmsg sendmsg(MSG_INTERRUPT)
.LBB10_243:
	s_or_b64 exec, exec, s[12:13]
	s_branch .LBB10_247
.LBB10_244:                             ;   in Loop: Header=BB10_247 Depth=1
	s_or_b64 exec, exec, s[12:13]
	v_readfirstlane_b32 s12, v0
	s_cmp_eq_u32 s12, 0
	s_cbranch_scc1 .LBB10_246
; %bb.245:                              ;   in Loop: Header=BB10_247 Depth=1
	s_sleep 1
	s_cbranch_execnz .LBB10_247
	s_branch .LBB10_249
.LBB10_246:
	s_branch .LBB10_249
.LBB10_247:                             ; =>This Inner Loop Header: Depth=1
	v_mov_b32_e32 v0, 1
	s_and_saveexec_b64 s[12:13], s[4:5]
	s_cbranch_execz .LBB10_244
; %bb.248:                              ;   in Loop: Header=BB10_247 Depth=1
	global_load_dword v0, v[10:11], off offset:20 glc
	s_waitcnt vmcnt(0)
	buffer_wbinvl1_vol
	v_and_b32_e32 v0, 1, v0
	s_branch .LBB10_244
.LBB10_249:
	global_load_dwordx2 v[6:7], v[8:9], off
	s_and_saveexec_b64 s[12:13], s[4:5]
	s_cbranch_execz .LBB10_252
; %bb.250:
	v_mov_b32_e32 v10, 0
	global_load_dwordx2 v[0:1], v10, s[10:11] offset:40
	global_load_dwordx2 v[13:14], v10, s[10:11] offset:24 glc
	global_load_dwordx2 v[2:3], v10, s[10:11]
	s_waitcnt vmcnt(2)
	v_readfirstlane_b32 s14, v0
	v_readfirstlane_b32 s15, v1
	s_add_u32 s16, s14, 1
	s_addc_u32 s17, s15, 0
	s_add_u32 s4, s16, s6
	s_addc_u32 s5, s17, s7
	s_cmp_eq_u64 s[4:5], 0
	s_cselect_b32 s5, s17, s5
	s_cselect_b32 s4, s16, s4
	s_and_b64 s[6:7], s[4:5], s[14:15]
	s_mul_i32 s7, s7, 24
	s_mul_hi_u32 s14, s6, 24
	s_mul_i32 s6, s6, 24
	s_add_i32 s7, s14, s7
	v_mov_b32_e32 v0, s7
	s_waitcnt vmcnt(0)
	v_add_co_u32_e32 v8, vcc, s6, v2
	v_addc_co_u32_e32 v9, vcc, v3, v0, vcc
	v_mov_b32_e32 v11, s4
	global_store_dwordx2 v[8:9], v[13:14], off
	v_mov_b32_e32 v12, s5
	s_waitcnt vmcnt(0)
	global_atomic_cmpswap_x2 v[2:3], v10, v[11:14], s[10:11] offset:24 glc
	s_mov_b64 s[6:7], 0
	s_waitcnt vmcnt(0)
	v_cmp_ne_u64_e32 vcc, v[2:3], v[13:14]
	s_and_b64 exec, exec, vcc
	s_cbranch_execz .LBB10_252
.LBB10_251:                             ; =>This Inner Loop Header: Depth=1
	s_sleep 1
	global_store_dwordx2 v[8:9], v[2:3], off
	v_mov_b32_e32 v0, s4
	v_mov_b32_e32 v1, s5
	s_waitcnt vmcnt(0)
	global_atomic_cmpswap_x2 v[0:1], v10, v[0:3], s[10:11] offset:24 glc
	s_waitcnt vmcnt(0)
	v_cmp_eq_u64_e32 vcc, v[0:1], v[2:3]
	v_mov_b32_e32 v3, v1
	s_or_b64 s[6:7], vcc, s[6:7]
	v_mov_b32_e32 v2, v0
	s_andn2_b64 exec, exec, s[6:7]
	s_cbranch_execnz .LBB10_251
.LBB10_252:
	s_or_b64 exec, exec, s[12:13]
.LBB10_253:
	v_readfirstlane_b32 s4, v34
	v_mov_b32_e32 v10, 0
	v_mov_b32_e32 v11, 0
	v_cmp_eq_u32_e64 s[4:5], s4, v34
	s_and_saveexec_b64 s[6:7], s[4:5]
	s_cbranch_execz .LBB10_259
; %bb.254:
	s_waitcnt vmcnt(0)
	v_mov_b32_e32 v0, 0
	global_load_dwordx2 v[12:13], v0, s[10:11] offset:24 glc
	s_waitcnt vmcnt(0)
	buffer_wbinvl1_vol
	global_load_dwordx2 v[1:2], v0, s[10:11] offset:40
	global_load_dwordx2 v[8:9], v0, s[10:11]
	s_waitcnt vmcnt(1)
	v_and_b32_e32 v1, v1, v12
	v_and_b32_e32 v2, v2, v13
	v_mul_lo_u32 v2, v2, 24
	v_mul_hi_u32 v3, v1, 24
	v_mul_lo_u32 v1, v1, 24
	v_add_u32_e32 v2, v3, v2
	s_waitcnt vmcnt(0)
	v_add_co_u32_e32 v1, vcc, v8, v1
	v_addc_co_u32_e32 v2, vcc, v9, v2, vcc
	global_load_dwordx2 v[10:11], v[1:2], off glc
	s_waitcnt vmcnt(0)
	global_atomic_cmpswap_x2 v[10:11], v0, v[10:13], s[10:11] offset:24 glc
	s_waitcnt vmcnt(0)
	buffer_wbinvl1_vol
	v_cmp_ne_u64_e32 vcc, v[10:11], v[12:13]
	s_and_saveexec_b64 s[12:13], vcc
	s_cbranch_execz .LBB10_258
; %bb.255:
	s_mov_b64 s[14:15], 0
.LBB10_256:                             ; =>This Inner Loop Header: Depth=1
	s_sleep 1
	global_load_dwordx2 v[1:2], v0, s[10:11] offset:40
	global_load_dwordx2 v[8:9], v0, s[10:11]
	v_mov_b32_e32 v13, v11
	v_mov_b32_e32 v12, v10
	s_waitcnt vmcnt(1)
	v_and_b32_e32 v1, v1, v12
	s_waitcnt vmcnt(0)
	v_mad_u64_u32 v[8:9], s[16:17], v1, 24, v[8:9]
	v_and_b32_e32 v2, v2, v13
	v_mov_b32_e32 v1, v9
	v_mad_u64_u32 v[1:2], s[16:17], v2, 24, v[1:2]
	v_mov_b32_e32 v9, v1
	global_load_dwordx2 v[10:11], v[8:9], off glc
	s_waitcnt vmcnt(0)
	global_atomic_cmpswap_x2 v[10:11], v0, v[10:13], s[10:11] offset:24 glc
	s_waitcnt vmcnt(0)
	buffer_wbinvl1_vol
	v_cmp_eq_u64_e32 vcc, v[10:11], v[12:13]
	s_or_b64 s[14:15], vcc, s[14:15]
	s_andn2_b64 exec, exec, s[14:15]
	s_cbranch_execnz .LBB10_256
; %bb.257:
	s_or_b64 exec, exec, s[14:15]
.LBB10_258:
	s_or_b64 exec, exec, s[12:13]
.LBB10_259:
	s_or_b64 exec, exec, s[6:7]
	v_mov_b32_e32 v9, 0
	global_load_dwordx2 v[12:13], v9, s[10:11] offset:40
	global_load_dwordx4 v[0:3], v9, s[10:11]
	v_readfirstlane_b32 s7, v11
	v_readfirstlane_b32 s6, v10
	s_mov_b64 s[12:13], exec
	s_waitcnt vmcnt(1)
	v_readfirstlane_b32 s14, v12
	v_readfirstlane_b32 s15, v13
	s_and_b64 s[14:15], s[14:15], s[6:7]
	s_mul_i32 s16, s15, 24
	s_mul_hi_u32 s17, s14, 24
	s_mul_i32 s18, s14, 24
	s_add_i32 s16, s17, s16
	v_mov_b32_e32 v8, s16
	s_waitcnt vmcnt(0)
	v_add_co_u32_e32 v10, vcc, s18, v0
	v_addc_co_u32_e32 v11, vcc, v1, v8, vcc
	s_and_saveexec_b64 s[16:17], s[4:5]
	s_cbranch_execz .LBB10_261
; %bb.260:
	v_mov_b32_e32 v12, s12
	v_mov_b32_e32 v13, s13
	;; [unrolled: 1-line block ×4, first 2 shown]
	global_store_dwordx4 v[10:11], v[12:15], off offset:8
.LBB10_261:
	s_or_b64 exec, exec, s[16:17]
	s_lshl_b64 s[12:13], s[14:15], 12
	v_mov_b32_e32 v8, s13
	v_add_co_u32_e32 v2, vcc, s12, v2
	v_addc_co_u32_e32 v3, vcc, v3, v8, vcc
	s_movk_i32 s12, 0xff1f
	v_and_or_b32 v6, v6, s12, 32
	s_mov_b32 s12, 0
	v_mov_b32_e32 v8, 0x385
	v_readfirstlane_b32 s16, v2
	v_readfirstlane_b32 s17, v3
	v_add_co_u32_e32 v12, vcc, v2, v35
	s_mov_b32 s13, s12
	s_mov_b32 s14, s12
	;; [unrolled: 1-line block ×3, first 2 shown]
	s_nop 0
	global_store_dwordx4 v35, v[6:9], s[16:17]
	v_addc_co_u32_e32 v13, vcc, 0, v3, vcc
	v_mov_b32_e32 v6, s12
	v_mov_b32_e32 v7, s13
	;; [unrolled: 1-line block ×4, first 2 shown]
	global_store_dwordx4 v35, v[6:9], s[16:17] offset:16
	global_store_dwordx4 v35, v[6:9], s[16:17] offset:32
	;; [unrolled: 1-line block ×3, first 2 shown]
	s_and_saveexec_b64 s[12:13], s[4:5]
	s_cbranch_execz .LBB10_269
; %bb.262:
	v_mov_b32_e32 v8, 0
	global_load_dwordx2 v[16:17], v8, s[10:11] offset:32 glc
	global_load_dwordx2 v[2:3], v8, s[10:11] offset:40
	v_mov_b32_e32 v14, s6
	v_mov_b32_e32 v15, s7
	s_waitcnt vmcnt(0)
	v_readfirstlane_b32 s14, v2
	v_readfirstlane_b32 s15, v3
	s_and_b64 s[14:15], s[14:15], s[6:7]
	s_mul_i32 s15, s15, 24
	s_mul_hi_u32 s16, s14, 24
	s_mul_i32 s14, s14, 24
	s_add_i32 s15, s16, s15
	v_mov_b32_e32 v2, s15
	v_add_co_u32_e32 v6, vcc, s14, v0
	v_addc_co_u32_e32 v7, vcc, v1, v2, vcc
	global_store_dwordx2 v[6:7], v[16:17], off
	s_waitcnt vmcnt(0)
	global_atomic_cmpswap_x2 v[2:3], v8, v[14:17], s[10:11] offset:32 glc
	s_waitcnt vmcnt(0)
	v_cmp_ne_u64_e32 vcc, v[2:3], v[16:17]
	s_and_saveexec_b64 s[14:15], vcc
	s_cbranch_execz .LBB10_265
; %bb.263:
	s_mov_b64 s[16:17], 0
.LBB10_264:                             ; =>This Inner Loop Header: Depth=1
	s_sleep 1
	global_store_dwordx2 v[6:7], v[2:3], off
	v_mov_b32_e32 v0, s6
	v_mov_b32_e32 v1, s7
	s_waitcnt vmcnt(0)
	global_atomic_cmpswap_x2 v[0:1], v8, v[0:3], s[10:11] offset:32 glc
	s_waitcnt vmcnt(0)
	v_cmp_eq_u64_e32 vcc, v[0:1], v[2:3]
	v_mov_b32_e32 v3, v1
	s_or_b64 s[16:17], vcc, s[16:17]
	v_mov_b32_e32 v2, v0
	s_andn2_b64 exec, exec, s[16:17]
	s_cbranch_execnz .LBB10_264
.LBB10_265:
	s_or_b64 exec, exec, s[14:15]
	v_mov_b32_e32 v3, 0
	global_load_dwordx2 v[0:1], v3, s[10:11] offset:16
	s_mov_b64 s[14:15], exec
	v_mbcnt_lo_u32_b32 v2, s14, 0
	v_mbcnt_hi_u32_b32 v2, s15, v2
	v_cmp_eq_u32_e32 vcc, 0, v2
	s_and_saveexec_b64 s[16:17], vcc
	s_cbranch_execz .LBB10_267
; %bb.266:
	s_bcnt1_i32_b64 s14, s[14:15]
	v_mov_b32_e32 v2, s14
	s_waitcnt vmcnt(0)
	global_atomic_add_x2 v[0:1], v[2:3], off offset:8
.LBB10_267:
	s_or_b64 exec, exec, s[16:17]
	s_waitcnt vmcnt(0)
	global_load_dwordx2 v[2:3], v[0:1], off offset:16
	s_waitcnt vmcnt(0)
	v_cmp_eq_u64_e32 vcc, 0, v[2:3]
	s_cbranch_vccnz .LBB10_269
; %bb.268:
	global_load_dword v0, v[0:1], off offset:24
	v_mov_b32_e32 v1, 0
	s_waitcnt vmcnt(0)
	v_readfirstlane_b32 s14, v0
	s_and_b32 m0, s14, 0xffffff
	global_store_dwordx2 v[2:3], v[0:1], off
	s_sendmsg sendmsg(MSG_INTERRUPT)
.LBB10_269:
	s_or_b64 exec, exec, s[12:13]
	s_branch .LBB10_273
.LBB10_270:                             ;   in Loop: Header=BB10_273 Depth=1
	s_or_b64 exec, exec, s[12:13]
	v_readfirstlane_b32 s12, v0
	s_cmp_eq_u32 s12, 0
	s_cbranch_scc1 .LBB10_272
; %bb.271:                              ;   in Loop: Header=BB10_273 Depth=1
	s_sleep 1
	s_cbranch_execnz .LBB10_273
	s_branch .LBB10_275
.LBB10_272:
	s_branch .LBB10_275
.LBB10_273:                             ; =>This Inner Loop Header: Depth=1
	v_mov_b32_e32 v0, 1
	s_and_saveexec_b64 s[12:13], s[4:5]
	s_cbranch_execz .LBB10_270
; %bb.274:                              ;   in Loop: Header=BB10_273 Depth=1
	global_load_dword v0, v[10:11], off offset:20 glc
	s_waitcnt vmcnt(0)
	buffer_wbinvl1_vol
	v_and_b32_e32 v0, 1, v0
	s_branch .LBB10_270
.LBB10_275:
	global_load_dwordx2 v[0:1], v[12:13], off
	s_and_saveexec_b64 s[12:13], s[4:5]
	s_cbranch_execz .LBB10_278
; %bb.276:
	v_mov_b32_e32 v10, 0
	global_load_dwordx2 v[2:3], v10, s[10:11] offset:40
	global_load_dwordx2 v[13:14], v10, s[10:11] offset:24 glc
	global_load_dwordx2 v[6:7], v10, s[10:11]
	s_waitcnt vmcnt(2)
	v_readfirstlane_b32 s14, v2
	v_readfirstlane_b32 s15, v3
	s_add_u32 s16, s14, 1
	s_addc_u32 s17, s15, 0
	s_add_u32 s4, s16, s6
	s_addc_u32 s5, s17, s7
	s_cmp_eq_u64 s[4:5], 0
	s_cselect_b32 s5, s17, s5
	s_cselect_b32 s4, s16, s4
	s_and_b64 s[6:7], s[4:5], s[14:15]
	s_mul_i32 s7, s7, 24
	s_mul_hi_u32 s14, s6, 24
	s_mul_i32 s6, s6, 24
	s_add_i32 s7, s14, s7
	v_mov_b32_e32 v3, s7
	s_waitcnt vmcnt(0)
	v_add_co_u32_e32 v2, vcc, s6, v6
	v_addc_co_u32_e32 v3, vcc, v7, v3, vcc
	v_mov_b32_e32 v11, s4
	global_store_dwordx2 v[2:3], v[13:14], off
	v_mov_b32_e32 v12, s5
	s_waitcnt vmcnt(0)
	global_atomic_cmpswap_x2 v[8:9], v10, v[11:14], s[10:11] offset:24 glc
	s_mov_b64 s[6:7], 0
	s_waitcnt vmcnt(0)
	v_cmp_ne_u64_e32 vcc, v[8:9], v[13:14]
	s_and_b64 exec, exec, vcc
	s_cbranch_execz .LBB10_278
.LBB10_277:                             ; =>This Inner Loop Header: Depth=1
	s_sleep 1
	global_store_dwordx2 v[2:3], v[8:9], off
	v_mov_b32_e32 v6, s4
	v_mov_b32_e32 v7, s5
	s_waitcnt vmcnt(0)
	global_atomic_cmpswap_x2 v[6:7], v10, v[6:9], s[10:11] offset:24 glc
	s_waitcnt vmcnt(0)
	v_cmp_eq_u64_e32 vcc, v[6:7], v[8:9]
	v_mov_b32_e32 v9, v7
	s_or_b64 s[6:7], vcc, s[6:7]
	v_mov_b32_e32 v8, v6
	s_andn2_b64 exec, exec, s[6:7]
	s_cbranch_execnz .LBB10_277
.LBB10_278:
	s_or_b64 exec, exec, s[12:13]
	v_mov_b32_e32 v7, v5
	s_mov_b64 s[4:5], 0
	v_mov_b32_e32 v6, v4
.LBB10_279:                             ; =>This Inner Loop Header: Depth=1
	global_load_ubyte v8, v[6:7], off
	v_add_co_u32_e32 v2, vcc, 1, v6
	v_addc_co_u32_e32 v3, vcc, 0, v7, vcc
	v_mov_b32_e32 v7, v3
	v_mov_b32_e32 v6, v2
	s_waitcnt vmcnt(0)
	v_cmp_eq_u16_e32 vcc, 0, v8
	s_or_b64 s[4:5], vcc, s[4:5]
	s_andn2_b64 exec, exec, s[4:5]
	s_cbranch_execnz .LBB10_279
; %bb.280:
	s_or_b64 exec, exec, s[4:5]
	v_cmp_ne_u64_e32 vcc, 0, v[4:5]
	s_mov_b64 s[12:13], 0
	s_and_saveexec_b64 s[4:5], vcc
	s_xor_b64 s[6:7], exec, s[4:5]
	s_cbranch_execz .LBB10_366
; %bb.281:
	v_sub_u32_e32 v26, v2, v4
	v_ashrrev_i32_e32 v27, 31, v26
	v_and_b32_e32 v36, 2, v0
	v_mov_b32_e32 v29, 0
	v_and_b32_e32 v0, -3, v0
	s_mov_b32 s22, 0
	s_movk_i32 s23, 0x1e0
	v_mov_b32_e32 v8, 2
	v_mov_b32_e32 v9, 1
	s_branch .LBB10_283
.LBB10_282:                             ;   in Loop: Header=BB10_283 Depth=1
	s_or_b64 exec, exec, s[16:17]
	v_sub_co_u32_e32 v26, vcc, v26, v30
	v_subb_co_u32_e32 v27, vcc, v27, v31, vcc
	v_cmp_eq_u64_e32 vcc, 0, v[26:27]
	s_or_b64 s[12:13], vcc, s[12:13]
	v_add_co_u32_e32 v4, vcc, v4, v30
	v_addc_co_u32_e32 v5, vcc, v5, v31, vcc
	s_andn2_b64 exec, exec, s[12:13]
	s_cbranch_execz .LBB10_365
.LBB10_283:                             ; =>This Loop Header: Depth=1
                                        ;     Child Loop BB10_286 Depth 2
                                        ;     Child Loop BB10_294 Depth 2
	;; [unrolled: 1-line block ×11, first 2 shown]
	v_cmp_gt_u64_e32 vcc, 56, v[26:27]
	v_add_co_u32_e64 v12, s[4:5], 8, v4
	v_cndmask_b32_e32 v31, 0, v27, vcc
	v_cndmask_b32_e32 v30, 56, v26, vcc
	v_cmp_gt_u64_e32 vcc, 8, v[26:27]
	v_addc_co_u32_e64 v13, s[4:5], 0, v5, s[4:5]
	s_and_saveexec_b64 s[4:5], vcc
	s_xor_b64 s[4:5], exec, s[4:5]
	s_cbranch_execz .LBB10_289
; %bb.284:                              ;   in Loop: Header=BB10_283 Depth=1
	v_mov_b32_e32 v2, 0
	v_cmp_ne_u64_e32 vcc, 0, v[26:27]
	v_mov_b32_e32 v3, 0
	s_and_saveexec_b64 s[14:15], vcc
	s_cbranch_execz .LBB10_288
; %bb.285:                              ;   in Loop: Header=BB10_283 Depth=1
	v_lshlrev_b64 v[6:7], 3, v[30:31]
	v_mov_b32_e32 v2, 0
	v_mov_b32_e32 v11, v5
	s_mov_b64 s[16:17], 0
	v_mov_b32_e32 v3, 0
	v_mov_b32_e32 v10, v4
	s_mov_b64 s[18:19], 0
.LBB10_286:                             ;   Parent Loop BB10_283 Depth=1
                                        ; =>  This Inner Loop Header: Depth=2
	global_load_ubyte v7, v[10:11], off
	v_mov_b32_e32 v13, s22
	v_add_co_u32_e32 v10, vcc, 1, v10
	v_addc_co_u32_e32 v11, vcc, 0, v11, vcc
	s_waitcnt vmcnt(0)
	v_and_b32_e32 v12, 0xffff, v7
	v_lshlrev_b64 v[12:13], s18, v[12:13]
	s_add_u32 s18, s18, 8
	s_addc_u32 s19, s19, 0
	v_cmp_eq_u32_e32 vcc, s18, v6
	v_or_b32_e32 v3, v13, v3
	s_or_b64 s[16:17], vcc, s[16:17]
	v_or_b32_e32 v2, v12, v2
	s_andn2_b64 exec, exec, s[16:17]
	s_cbranch_execnz .LBB10_286
; %bb.287:                              ;   in Loop: Header=BB10_283 Depth=1
	s_or_b64 exec, exec, s[16:17]
.LBB10_288:                             ;   in Loop: Header=BB10_283 Depth=1
	s_or_b64 exec, exec, s[14:15]
	v_mov_b32_e32 v13, v5
	v_mov_b32_e32 v12, v4
.LBB10_289:                             ;   in Loop: Header=BB10_283 Depth=1
	s_or_saveexec_b64 s[4:5], s[4:5]
	v_mov_b32_e32 v14, 0
	s_xor_b64 exec, exec, s[4:5]
	s_cbranch_execz .LBB10_291
; %bb.290:                              ;   in Loop: Header=BB10_283 Depth=1
	global_load_dwordx2 v[2:3], v[4:5], off
	v_add_u32_e32 v14, -8, v30
.LBB10_291:                             ;   in Loop: Header=BB10_283 Depth=1
	s_or_b64 exec, exec, s[4:5]
	v_add_co_u32_e64 v6, s[4:5], 8, v12
	v_cmp_gt_u32_e32 vcc, 8, v14
	v_addc_co_u32_e64 v7, s[4:5], 0, v13, s[4:5]
                                        ; implicit-def: $vgpr10_vgpr11
	s_and_saveexec_b64 s[4:5], vcc
	s_xor_b64 s[4:5], exec, s[4:5]
	s_cbranch_execz .LBB10_297
; %bb.292:                              ;   in Loop: Header=BB10_283 Depth=1
	v_mov_b32_e32 v10, 0
	v_mov_b32_e32 v11, 0
	v_cmp_ne_u32_e32 vcc, 0, v14
	s_and_saveexec_b64 s[14:15], vcc
	s_cbranch_execz .LBB10_296
; %bb.293:                              ;   in Loop: Header=BB10_283 Depth=1
	v_mov_b32_e32 v10, 0
	s_mov_b64 s[16:17], 0
	v_mov_b32_e32 v11, 0
	s_mov_b64 s[18:19], 0
	s_mov_b64 s[20:21], 0
.LBB10_294:                             ;   Parent Loop BB10_283 Depth=1
                                        ; =>  This Inner Loop Header: Depth=2
	v_mov_b32_e32 v7, s21
	v_add_co_u32_e32 v6, vcc, s20, v12
	v_addc_co_u32_e32 v7, vcc, v13, v7, vcc
	global_load_ubyte v6, v[6:7], off
	s_add_u32 s20, s20, 1
	v_mov_b32_e32 v7, s22
	s_addc_u32 s21, s21, 0
	v_cmp_eq_u32_e32 vcc, s20, v14
	s_waitcnt vmcnt(0)
	v_and_b32_e32 v6, 0xffff, v6
	v_lshlrev_b64 v[6:7], s18, v[6:7]
	s_add_u32 s18, s18, 8
	s_addc_u32 s19, s19, 0
	v_or_b32_e32 v11, v7, v11
	s_or_b64 s[16:17], vcc, s[16:17]
	v_or_b32_e32 v10, v6, v10
	s_andn2_b64 exec, exec, s[16:17]
	s_cbranch_execnz .LBB10_294
; %bb.295:                              ;   in Loop: Header=BB10_283 Depth=1
	s_or_b64 exec, exec, s[16:17]
.LBB10_296:                             ;   in Loop: Header=BB10_283 Depth=1
	s_or_b64 exec, exec, s[14:15]
	v_mov_b32_e32 v6, v12
	v_mov_b32_e32 v7, v13
                                        ; implicit-def: $vgpr14
.LBB10_297:                             ;   in Loop: Header=BB10_283 Depth=1
	s_or_saveexec_b64 s[4:5], s[4:5]
	v_mov_b32_e32 v15, 0
	s_xor_b64 exec, exec, s[4:5]
	s_cbranch_execz .LBB10_299
; %bb.298:                              ;   in Loop: Header=BB10_283 Depth=1
	global_load_dwordx2 v[10:11], v[12:13], off
	v_add_u32_e32 v15, -8, v14
.LBB10_299:                             ;   in Loop: Header=BB10_283 Depth=1
	s_or_b64 exec, exec, s[4:5]
	v_add_co_u32_e64 v16, s[4:5], 8, v6
	v_cmp_gt_u32_e32 vcc, 8, v15
	v_addc_co_u32_e64 v17, s[4:5], 0, v7, s[4:5]
	s_and_saveexec_b64 s[4:5], vcc
	s_xor_b64 s[4:5], exec, s[4:5]
	s_cbranch_execz .LBB10_305
; %bb.300:                              ;   in Loop: Header=BB10_283 Depth=1
	v_mov_b32_e32 v12, 0
	v_mov_b32_e32 v13, 0
	v_cmp_ne_u32_e32 vcc, 0, v15
	s_and_saveexec_b64 s[14:15], vcc
	s_cbranch_execz .LBB10_304
; %bb.301:                              ;   in Loop: Header=BB10_283 Depth=1
	v_mov_b32_e32 v12, 0
	s_mov_b64 s[16:17], 0
	v_mov_b32_e32 v13, 0
	s_mov_b64 s[18:19], 0
	s_mov_b64 s[20:21], 0
.LBB10_302:                             ;   Parent Loop BB10_283 Depth=1
                                        ; =>  This Inner Loop Header: Depth=2
	v_mov_b32_e32 v14, s21
	v_add_co_u32_e32 v16, vcc, s20, v6
	v_addc_co_u32_e32 v17, vcc, v7, v14, vcc
	global_load_ubyte v14, v[16:17], off
	s_add_u32 s20, s20, 1
	v_mov_b32_e32 v17, s22
	s_addc_u32 s21, s21, 0
	v_cmp_eq_u32_e32 vcc, s20, v15
	s_waitcnt vmcnt(0)
	v_and_b32_e32 v16, 0xffff, v14
	v_lshlrev_b64 v[16:17], s18, v[16:17]
	s_add_u32 s18, s18, 8
	s_addc_u32 s19, s19, 0
	v_or_b32_e32 v13, v17, v13
	s_or_b64 s[16:17], vcc, s[16:17]
	v_or_b32_e32 v12, v16, v12
	s_andn2_b64 exec, exec, s[16:17]
	s_cbranch_execnz .LBB10_302
; %bb.303:                              ;   in Loop: Header=BB10_283 Depth=1
	s_or_b64 exec, exec, s[16:17]
.LBB10_304:                             ;   in Loop: Header=BB10_283 Depth=1
	s_or_b64 exec, exec, s[14:15]
	v_mov_b32_e32 v17, v7
	v_mov_b32_e32 v16, v6
                                        ; implicit-def: $vgpr15
.LBB10_305:                             ;   in Loop: Header=BB10_283 Depth=1
	s_or_saveexec_b64 s[4:5], s[4:5]
	v_mov_b32_e32 v18, 0
	s_xor_b64 exec, exec, s[4:5]
	s_cbranch_execz .LBB10_307
; %bb.306:                              ;   in Loop: Header=BB10_283 Depth=1
	global_load_dwordx2 v[12:13], v[6:7], off
	v_add_u32_e32 v18, -8, v15
.LBB10_307:                             ;   in Loop: Header=BB10_283 Depth=1
	s_or_b64 exec, exec, s[4:5]
	v_add_co_u32_e64 v6, s[4:5], 8, v16
	v_cmp_gt_u32_e32 vcc, 8, v18
	v_addc_co_u32_e64 v7, s[4:5], 0, v17, s[4:5]
                                        ; implicit-def: $vgpr14_vgpr15
	s_and_saveexec_b64 s[4:5], vcc
	s_xor_b64 s[4:5], exec, s[4:5]
	s_cbranch_execz .LBB10_313
; %bb.308:                              ;   in Loop: Header=BB10_283 Depth=1
	v_mov_b32_e32 v14, 0
	v_mov_b32_e32 v15, 0
	v_cmp_ne_u32_e32 vcc, 0, v18
	s_and_saveexec_b64 s[14:15], vcc
	s_cbranch_execz .LBB10_312
; %bb.309:                              ;   in Loop: Header=BB10_283 Depth=1
	v_mov_b32_e32 v14, 0
	s_mov_b64 s[16:17], 0
	v_mov_b32_e32 v15, 0
	s_mov_b64 s[18:19], 0
	s_mov_b64 s[20:21], 0
.LBB10_310:                             ;   Parent Loop BB10_283 Depth=1
                                        ; =>  This Inner Loop Header: Depth=2
	v_mov_b32_e32 v7, s21
	v_add_co_u32_e32 v6, vcc, s20, v16
	v_addc_co_u32_e32 v7, vcc, v17, v7, vcc
	global_load_ubyte v6, v[6:7], off
	s_add_u32 s20, s20, 1
	v_mov_b32_e32 v7, s22
	s_addc_u32 s21, s21, 0
	v_cmp_eq_u32_e32 vcc, s20, v18
	s_waitcnt vmcnt(0)
	v_and_b32_e32 v6, 0xffff, v6
	v_lshlrev_b64 v[6:7], s18, v[6:7]
	s_add_u32 s18, s18, 8
	s_addc_u32 s19, s19, 0
	v_or_b32_e32 v15, v7, v15
	s_or_b64 s[16:17], vcc, s[16:17]
	v_or_b32_e32 v14, v6, v14
	s_andn2_b64 exec, exec, s[16:17]
	s_cbranch_execnz .LBB10_310
; %bb.311:                              ;   in Loop: Header=BB10_283 Depth=1
	s_or_b64 exec, exec, s[16:17]
.LBB10_312:                             ;   in Loop: Header=BB10_283 Depth=1
	s_or_b64 exec, exec, s[14:15]
	v_mov_b32_e32 v6, v16
	v_mov_b32_e32 v7, v17
                                        ; implicit-def: $vgpr18
.LBB10_313:                             ;   in Loop: Header=BB10_283 Depth=1
	s_or_saveexec_b64 s[4:5], s[4:5]
	v_mov_b32_e32 v19, 0
	s_xor_b64 exec, exec, s[4:5]
	s_cbranch_execz .LBB10_315
; %bb.314:                              ;   in Loop: Header=BB10_283 Depth=1
	global_load_dwordx2 v[14:15], v[16:17], off
	v_add_u32_e32 v19, -8, v18
.LBB10_315:                             ;   in Loop: Header=BB10_283 Depth=1
	s_or_b64 exec, exec, s[4:5]
	v_add_co_u32_e64 v20, s[4:5], 8, v6
	v_cmp_gt_u32_e32 vcc, 8, v19
	v_addc_co_u32_e64 v21, s[4:5], 0, v7, s[4:5]
	s_and_saveexec_b64 s[4:5], vcc
	s_xor_b64 s[4:5], exec, s[4:5]
	s_cbranch_execz .LBB10_321
; %bb.316:                              ;   in Loop: Header=BB10_283 Depth=1
	v_mov_b32_e32 v16, 0
	v_mov_b32_e32 v17, 0
	v_cmp_ne_u32_e32 vcc, 0, v19
	s_and_saveexec_b64 s[14:15], vcc
	s_cbranch_execz .LBB10_320
; %bb.317:                              ;   in Loop: Header=BB10_283 Depth=1
	v_mov_b32_e32 v16, 0
	s_mov_b64 s[16:17], 0
	v_mov_b32_e32 v17, 0
	s_mov_b64 s[18:19], 0
	s_mov_b64 s[20:21], 0
.LBB10_318:                             ;   Parent Loop BB10_283 Depth=1
                                        ; =>  This Inner Loop Header: Depth=2
	v_mov_b32_e32 v18, s21
	v_add_co_u32_e32 v20, vcc, s20, v6
	v_addc_co_u32_e32 v21, vcc, v7, v18, vcc
	global_load_ubyte v18, v[20:21], off
	s_add_u32 s20, s20, 1
	v_mov_b32_e32 v21, s22
	s_addc_u32 s21, s21, 0
	v_cmp_eq_u32_e32 vcc, s20, v19
	s_waitcnt vmcnt(0)
	v_and_b32_e32 v20, 0xffff, v18
	v_lshlrev_b64 v[20:21], s18, v[20:21]
	s_add_u32 s18, s18, 8
	s_addc_u32 s19, s19, 0
	v_or_b32_e32 v17, v21, v17
	s_or_b64 s[16:17], vcc, s[16:17]
	v_or_b32_e32 v16, v20, v16
	s_andn2_b64 exec, exec, s[16:17]
	s_cbranch_execnz .LBB10_318
; %bb.319:                              ;   in Loop: Header=BB10_283 Depth=1
	s_or_b64 exec, exec, s[16:17]
.LBB10_320:                             ;   in Loop: Header=BB10_283 Depth=1
	s_or_b64 exec, exec, s[14:15]
	v_mov_b32_e32 v21, v7
	v_mov_b32_e32 v20, v6
                                        ; implicit-def: $vgpr19
.LBB10_321:                             ;   in Loop: Header=BB10_283 Depth=1
	s_or_saveexec_b64 s[4:5], s[4:5]
	v_mov_b32_e32 v22, 0
	s_xor_b64 exec, exec, s[4:5]
	s_cbranch_execz .LBB10_323
; %bb.322:                              ;   in Loop: Header=BB10_283 Depth=1
	global_load_dwordx2 v[16:17], v[6:7], off
	v_add_u32_e32 v22, -8, v19
.LBB10_323:                             ;   in Loop: Header=BB10_283 Depth=1
	s_or_b64 exec, exec, s[4:5]
	v_add_co_u32_e64 v6, s[4:5], 8, v20
	v_cmp_gt_u32_e32 vcc, 8, v22
	v_addc_co_u32_e64 v7, s[4:5], 0, v21, s[4:5]
                                        ; implicit-def: $vgpr18_vgpr19
	s_and_saveexec_b64 s[4:5], vcc
	s_xor_b64 s[4:5], exec, s[4:5]
	s_cbranch_execz .LBB10_329
; %bb.324:                              ;   in Loop: Header=BB10_283 Depth=1
	v_mov_b32_e32 v18, 0
	v_mov_b32_e32 v19, 0
	v_cmp_ne_u32_e32 vcc, 0, v22
	s_and_saveexec_b64 s[14:15], vcc
	s_cbranch_execz .LBB10_328
; %bb.325:                              ;   in Loop: Header=BB10_283 Depth=1
	v_mov_b32_e32 v18, 0
	s_mov_b64 s[16:17], 0
	v_mov_b32_e32 v19, 0
	s_mov_b64 s[18:19], 0
	s_mov_b64 s[20:21], 0
.LBB10_326:                             ;   Parent Loop BB10_283 Depth=1
                                        ; =>  This Inner Loop Header: Depth=2
	v_mov_b32_e32 v7, s21
	v_add_co_u32_e32 v6, vcc, s20, v20
	v_addc_co_u32_e32 v7, vcc, v21, v7, vcc
	global_load_ubyte v6, v[6:7], off
	s_add_u32 s20, s20, 1
	v_mov_b32_e32 v7, s22
	s_addc_u32 s21, s21, 0
	v_cmp_eq_u32_e32 vcc, s20, v22
	s_waitcnt vmcnt(0)
	v_and_b32_e32 v6, 0xffff, v6
	v_lshlrev_b64 v[6:7], s18, v[6:7]
	s_add_u32 s18, s18, 8
	s_addc_u32 s19, s19, 0
	v_or_b32_e32 v19, v7, v19
	s_or_b64 s[16:17], vcc, s[16:17]
	v_or_b32_e32 v18, v6, v18
	s_andn2_b64 exec, exec, s[16:17]
	s_cbranch_execnz .LBB10_326
; %bb.327:                              ;   in Loop: Header=BB10_283 Depth=1
	s_or_b64 exec, exec, s[16:17]
.LBB10_328:                             ;   in Loop: Header=BB10_283 Depth=1
	s_or_b64 exec, exec, s[14:15]
	v_mov_b32_e32 v6, v20
	v_mov_b32_e32 v7, v21
                                        ; implicit-def: $vgpr22
.LBB10_329:                             ;   in Loop: Header=BB10_283 Depth=1
	s_or_saveexec_b64 s[4:5], s[4:5]
	v_mov_b32_e32 v23, 0
	s_xor_b64 exec, exec, s[4:5]
	s_cbranch_execz .LBB10_331
; %bb.330:                              ;   in Loop: Header=BB10_283 Depth=1
	global_load_dwordx2 v[18:19], v[20:21], off
	v_add_u32_e32 v23, -8, v22
.LBB10_331:                             ;   in Loop: Header=BB10_283 Depth=1
	s_or_b64 exec, exec, s[4:5]
	v_cmp_gt_u32_e32 vcc, 8, v23
	s_and_saveexec_b64 s[4:5], vcc
	s_xor_b64 s[4:5], exec, s[4:5]
	s_cbranch_execz .LBB10_337
; %bb.332:                              ;   in Loop: Header=BB10_283 Depth=1
	v_mov_b32_e32 v20, 0
	v_mov_b32_e32 v21, 0
	v_cmp_ne_u32_e32 vcc, 0, v23
	s_and_saveexec_b64 s[14:15], vcc
	s_cbranch_execz .LBB10_336
; %bb.333:                              ;   in Loop: Header=BB10_283 Depth=1
	v_mov_b32_e32 v20, 0
	s_mov_b64 s[16:17], 0
	v_mov_b32_e32 v21, 0
	s_mov_b64 s[18:19], 0
.LBB10_334:                             ;   Parent Loop BB10_283 Depth=1
                                        ; =>  This Inner Loop Header: Depth=2
	global_load_ubyte v22, v[6:7], off
	v_mov_b32_e32 v25, s22
	v_add_co_u32_e32 v6, vcc, 1, v6
	v_add_u32_e32 v23, -1, v23
	v_addc_co_u32_e32 v7, vcc, 0, v7, vcc
	v_cmp_eq_u32_e32 vcc, 0, v23
	s_waitcnt vmcnt(0)
	v_and_b32_e32 v24, 0xffff, v22
	v_lshlrev_b64 v[24:25], s18, v[24:25]
	s_add_u32 s18, s18, 8
	s_addc_u32 s19, s19, 0
	v_or_b32_e32 v21, v25, v21
	s_or_b64 s[16:17], vcc, s[16:17]
	v_or_b32_e32 v20, v24, v20
	s_andn2_b64 exec, exec, s[16:17]
	s_cbranch_execnz .LBB10_334
; %bb.335:                              ;   in Loop: Header=BB10_283 Depth=1
	s_or_b64 exec, exec, s[16:17]
.LBB10_336:                             ;   in Loop: Header=BB10_283 Depth=1
	s_or_b64 exec, exec, s[14:15]
                                        ; implicit-def: $vgpr6_vgpr7
.LBB10_337:                             ;   in Loop: Header=BB10_283 Depth=1
	s_andn2_saveexec_b64 s[4:5], s[4:5]
	s_cbranch_execz .LBB10_339
; %bb.338:                              ;   in Loop: Header=BB10_283 Depth=1
	global_load_dwordx2 v[20:21], v[6:7], off
.LBB10_339:                             ;   in Loop: Header=BB10_283 Depth=1
	s_or_b64 exec, exec, s[4:5]
	v_readfirstlane_b32 s4, v34
	v_mov_b32_e32 v6, 0
	v_mov_b32_e32 v7, 0
	v_cmp_eq_u32_e64 s[4:5], s4, v34
	s_and_saveexec_b64 s[14:15], s[4:5]
	s_cbranch_execz .LBB10_345
; %bb.340:                              ;   in Loop: Header=BB10_283 Depth=1
	global_load_dwordx2 v[24:25], v29, s[10:11] offset:24 glc
	s_waitcnt vmcnt(0)
	buffer_wbinvl1_vol
	global_load_dwordx2 v[6:7], v29, s[10:11] offset:40
	global_load_dwordx2 v[22:23], v29, s[10:11]
	s_waitcnt vmcnt(1)
	v_and_b32_e32 v6, v6, v24
	v_and_b32_e32 v7, v7, v25
	v_mul_lo_u32 v7, v7, 24
	v_mul_hi_u32 v28, v6, 24
	v_mul_lo_u32 v6, v6, 24
	v_add_u32_e32 v7, v28, v7
	s_waitcnt vmcnt(0)
	v_add_co_u32_e32 v6, vcc, v22, v6
	v_addc_co_u32_e32 v7, vcc, v23, v7, vcc
	global_load_dwordx2 v[22:23], v[6:7], off glc
	s_waitcnt vmcnt(0)
	global_atomic_cmpswap_x2 v[6:7], v29, v[22:25], s[10:11] offset:24 glc
	s_waitcnt vmcnt(0)
	buffer_wbinvl1_vol
	v_cmp_ne_u64_e32 vcc, v[6:7], v[24:25]
	s_and_saveexec_b64 s[16:17], vcc
	s_cbranch_execz .LBB10_344
; %bb.341:                              ;   in Loop: Header=BB10_283 Depth=1
	s_mov_b64 s[18:19], 0
.LBB10_342:                             ;   Parent Loop BB10_283 Depth=1
                                        ; =>  This Inner Loop Header: Depth=2
	s_sleep 1
	global_load_dwordx2 v[22:23], v29, s[10:11] offset:40
	global_load_dwordx2 v[32:33], v29, s[10:11]
	v_mov_b32_e32 v25, v7
	v_mov_b32_e32 v24, v6
	s_waitcnt vmcnt(1)
	v_and_b32_e32 v6, v22, v24
	s_waitcnt vmcnt(0)
	v_mad_u64_u32 v[6:7], s[20:21], v6, 24, v[32:33]
	v_and_b32_e32 v22, v23, v25
	v_mad_u64_u32 v[22:23], s[20:21], v22, 24, v[7:8]
	v_mov_b32_e32 v7, v22
	global_load_dwordx2 v[22:23], v[6:7], off glc
	s_waitcnt vmcnt(0)
	global_atomic_cmpswap_x2 v[6:7], v29, v[22:25], s[10:11] offset:24 glc
	s_waitcnt vmcnt(0)
	buffer_wbinvl1_vol
	v_cmp_eq_u64_e32 vcc, v[6:7], v[24:25]
	s_or_b64 s[18:19], vcc, s[18:19]
	s_andn2_b64 exec, exec, s[18:19]
	s_cbranch_execnz .LBB10_342
; %bb.343:                              ;   in Loop: Header=BB10_283 Depth=1
	s_or_b64 exec, exec, s[18:19]
.LBB10_344:                             ;   in Loop: Header=BB10_283 Depth=1
	s_or_b64 exec, exec, s[16:17]
.LBB10_345:                             ;   in Loop: Header=BB10_283 Depth=1
	s_or_b64 exec, exec, s[14:15]
	global_load_dwordx2 v[32:33], v29, s[10:11] offset:40
	global_load_dwordx4 v[22:25], v29, s[10:11]
	v_readfirstlane_b32 s15, v7
	v_readfirstlane_b32 s14, v6
	s_mov_b64 s[16:17], exec
	s_waitcnt vmcnt(1)
	v_readfirstlane_b32 s18, v32
	v_readfirstlane_b32 s19, v33
	s_and_b64 s[18:19], s[18:19], s[14:15]
	s_mul_i32 s20, s19, 24
	s_mul_hi_u32 s21, s18, 24
	s_mul_i32 s24, s18, 24
	s_add_i32 s20, s21, s20
	v_mov_b32_e32 v6, s20
	s_waitcnt vmcnt(0)
	v_add_co_u32_e32 v32, vcc, s24, v22
	v_addc_co_u32_e32 v33, vcc, v23, v6, vcc
	s_and_saveexec_b64 s[20:21], s[4:5]
	s_cbranch_execz .LBB10_347
; %bb.346:                              ;   in Loop: Header=BB10_283 Depth=1
	v_mov_b32_e32 v6, s16
	v_mov_b32_e32 v7, s17
	global_store_dwordx4 v[32:33], v[6:9], off offset:8
.LBB10_347:                             ;   in Loop: Header=BB10_283 Depth=1
	s_or_b64 exec, exec, s[20:21]
	s_lshl_b64 s[16:17], s[18:19], 12
	v_mov_b32_e32 v6, s17
	v_add_co_u32_e32 v24, vcc, s16, v24
	v_addc_co_u32_e32 v25, vcc, v25, v6, vcc
	v_cmp_gt_u64_e32 vcc, 57, v[26:27]
	v_and_b32_e32 v0, 0xffffff1f, v0
	v_cndmask_b32_e32 v6, 0, v36, vcc
	v_lshl_add_u32 v7, v30, 2, 28
	v_or_b32_e32 v0, v0, v6
	v_and_or_b32 v0, v7, s23, v0
	v_readfirstlane_b32 s16, v24
	v_readfirstlane_b32 s17, v25
	s_nop 4
	global_store_dwordx4 v35, v[0:3], s[16:17]
	global_store_dwordx4 v35, v[10:13], s[16:17] offset:16
	global_store_dwordx4 v35, v[14:17], s[16:17] offset:32
	global_store_dwordx4 v35, v[18:21], s[16:17] offset:48
	s_and_saveexec_b64 s[16:17], s[4:5]
	s_cbranch_execz .LBB10_355
; %bb.348:                              ;   in Loop: Header=BB10_283 Depth=1
	global_load_dwordx2 v[12:13], v29, s[10:11] offset:32 glc
	global_load_dwordx2 v[0:1], v29, s[10:11] offset:40
	v_mov_b32_e32 v10, s14
	v_mov_b32_e32 v11, s15
	s_waitcnt vmcnt(0)
	v_readfirstlane_b32 s18, v0
	v_readfirstlane_b32 s19, v1
	s_and_b64 s[18:19], s[18:19], s[14:15]
	s_mul_i32 s19, s19, 24
	s_mul_hi_u32 s20, s18, 24
	s_mul_i32 s18, s18, 24
	s_add_i32 s19, s20, s19
	v_mov_b32_e32 v0, s19
	v_add_co_u32_e32 v6, vcc, s18, v22
	v_addc_co_u32_e32 v7, vcc, v23, v0, vcc
	global_store_dwordx2 v[6:7], v[12:13], off
	s_waitcnt vmcnt(0)
	global_atomic_cmpswap_x2 v[2:3], v29, v[10:13], s[10:11] offset:32 glc
	s_waitcnt vmcnt(0)
	v_cmp_ne_u64_e32 vcc, v[2:3], v[12:13]
	s_and_saveexec_b64 s[18:19], vcc
	s_cbranch_execz .LBB10_351
; %bb.349:                              ;   in Loop: Header=BB10_283 Depth=1
	s_mov_b64 s[20:21], 0
.LBB10_350:                             ;   Parent Loop BB10_283 Depth=1
                                        ; =>  This Inner Loop Header: Depth=2
	s_sleep 1
	global_store_dwordx2 v[6:7], v[2:3], off
	v_mov_b32_e32 v0, s14
	v_mov_b32_e32 v1, s15
	s_waitcnt vmcnt(0)
	global_atomic_cmpswap_x2 v[0:1], v29, v[0:3], s[10:11] offset:32 glc
	s_waitcnt vmcnt(0)
	v_cmp_eq_u64_e32 vcc, v[0:1], v[2:3]
	v_mov_b32_e32 v3, v1
	s_or_b64 s[20:21], vcc, s[20:21]
	v_mov_b32_e32 v2, v0
	s_andn2_b64 exec, exec, s[20:21]
	s_cbranch_execnz .LBB10_350
.LBB10_351:                             ;   in Loop: Header=BB10_283 Depth=1
	s_or_b64 exec, exec, s[18:19]
	global_load_dwordx2 v[0:1], v29, s[10:11] offset:16
	s_mov_b64 s[20:21], exec
	v_mbcnt_lo_u32_b32 v2, s20, 0
	v_mbcnt_hi_u32_b32 v2, s21, v2
	v_cmp_eq_u32_e32 vcc, 0, v2
	s_and_saveexec_b64 s[18:19], vcc
	s_cbranch_execz .LBB10_353
; %bb.352:                              ;   in Loop: Header=BB10_283 Depth=1
	s_bcnt1_i32_b64 s20, s[20:21]
	v_mov_b32_e32 v28, s20
	s_waitcnt vmcnt(0)
	global_atomic_add_x2 v[0:1], v[28:29], off offset:8
.LBB10_353:                             ;   in Loop: Header=BB10_283 Depth=1
	s_or_b64 exec, exec, s[18:19]
	s_waitcnt vmcnt(0)
	global_load_dwordx2 v[2:3], v[0:1], off offset:16
	s_waitcnt vmcnt(0)
	v_cmp_eq_u64_e32 vcc, 0, v[2:3]
	s_cbranch_vccnz .LBB10_355
; %bb.354:                              ;   in Loop: Header=BB10_283 Depth=1
	global_load_dword v28, v[0:1], off offset:24
	s_waitcnt vmcnt(0)
	v_readfirstlane_b32 s18, v28
	s_and_b32 m0, s18, 0xffffff
	global_store_dwordx2 v[2:3], v[28:29], off
	s_sendmsg sendmsg(MSG_INTERRUPT)
.LBB10_355:                             ;   in Loop: Header=BB10_283 Depth=1
	s_or_b64 exec, exec, s[16:17]
	v_add_co_u32_e32 v0, vcc, v24, v35
	v_addc_co_u32_e32 v1, vcc, 0, v25, vcc
	s_branch .LBB10_359
.LBB10_356:                             ;   in Loop: Header=BB10_359 Depth=2
	s_or_b64 exec, exec, s[16:17]
	v_readfirstlane_b32 s16, v2
	s_cmp_eq_u32 s16, 0
	s_cbranch_scc1 .LBB10_358
; %bb.357:                              ;   in Loop: Header=BB10_359 Depth=2
	s_sleep 1
	s_cbranch_execnz .LBB10_359
	s_branch .LBB10_361
.LBB10_358:                             ;   in Loop: Header=BB10_283 Depth=1
	s_branch .LBB10_361
.LBB10_359:                             ;   Parent Loop BB10_283 Depth=1
                                        ; =>  This Inner Loop Header: Depth=2
	v_mov_b32_e32 v2, 1
	s_and_saveexec_b64 s[16:17], s[4:5]
	s_cbranch_execz .LBB10_356
; %bb.360:                              ;   in Loop: Header=BB10_359 Depth=2
	global_load_dword v2, v[32:33], off offset:20 glc
	s_waitcnt vmcnt(0)
	buffer_wbinvl1_vol
	v_and_b32_e32 v2, 1, v2
	s_branch .LBB10_356
.LBB10_361:                             ;   in Loop: Header=BB10_283 Depth=1
	global_load_dwordx2 v[0:1], v[0:1], off
	s_and_saveexec_b64 s[16:17], s[4:5]
	s_cbranch_execz .LBB10_282
; %bb.362:                              ;   in Loop: Header=BB10_283 Depth=1
	global_load_dwordx2 v[2:3], v29, s[10:11] offset:40
	global_load_dwordx2 v[14:15], v29, s[10:11] offset:24 glc
	global_load_dwordx2 v[6:7], v29, s[10:11]
	s_waitcnt vmcnt(2)
	v_readfirstlane_b32 s18, v2
	v_readfirstlane_b32 s19, v3
	s_add_u32 s20, s18, 1
	s_addc_u32 s21, s19, 0
	s_add_u32 s4, s20, s14
	s_addc_u32 s5, s21, s15
	s_cmp_eq_u64 s[4:5], 0
	s_cselect_b32 s5, s21, s5
	s_cselect_b32 s4, s20, s4
	s_and_b64 s[14:15], s[4:5], s[18:19]
	s_mul_i32 s15, s15, 24
	s_mul_hi_u32 s18, s14, 24
	s_mul_i32 s14, s14, 24
	s_add_i32 s15, s18, s15
	v_mov_b32_e32 v3, s15
	s_waitcnt vmcnt(0)
	v_add_co_u32_e32 v2, vcc, s14, v6
	v_addc_co_u32_e32 v3, vcc, v7, v3, vcc
	v_mov_b32_e32 v12, s4
	global_store_dwordx2 v[2:3], v[14:15], off
	v_mov_b32_e32 v13, s5
	s_waitcnt vmcnt(0)
	global_atomic_cmpswap_x2 v[12:13], v29, v[12:15], s[10:11] offset:24 glc
	s_waitcnt vmcnt(0)
	v_cmp_ne_u64_e32 vcc, v[12:13], v[14:15]
	s_and_b64 exec, exec, vcc
	s_cbranch_execz .LBB10_282
; %bb.363:                              ;   in Loop: Header=BB10_283 Depth=1
	s_mov_b64 s[14:15], 0
.LBB10_364:                             ;   Parent Loop BB10_283 Depth=1
                                        ; =>  This Inner Loop Header: Depth=2
	s_sleep 1
	global_store_dwordx2 v[2:3], v[12:13], off
	v_mov_b32_e32 v10, s4
	v_mov_b32_e32 v11, s5
	s_waitcnt vmcnt(0)
	global_atomic_cmpswap_x2 v[6:7], v29, v[10:13], s[10:11] offset:24 glc
	s_waitcnt vmcnt(0)
	v_cmp_eq_u64_e32 vcc, v[6:7], v[12:13]
	v_mov_b32_e32 v13, v7
	s_or_b64 s[14:15], vcc, s[14:15]
	v_mov_b32_e32 v12, v6
	s_andn2_b64 exec, exec, s[14:15]
	s_cbranch_execnz .LBB10_364
	s_branch .LBB10_282
.LBB10_365:
	s_or_b64 exec, exec, s[12:13]
                                        ; implicit-def: $vgpr35
                                        ; implicit-def: $vgpr34
.LBB10_366:
	s_andn2_saveexec_b64 s[6:7], s[6:7]
	s_cbranch_execz .LBB10_393
; %bb.367:
	v_readfirstlane_b32 s4, v34
	v_mov_b32_e32 v8, 0
	v_mov_b32_e32 v9, 0
	v_cmp_eq_u32_e64 s[4:5], s4, v34
	s_and_saveexec_b64 s[12:13], s[4:5]
	s_cbranch_execz .LBB10_373
; %bb.368:
	v_mov_b32_e32 v2, 0
	global_load_dwordx2 v[5:6], v2, s[10:11] offset:24 glc
	s_waitcnt vmcnt(0)
	buffer_wbinvl1_vol
	global_load_dwordx2 v[3:4], v2, s[10:11] offset:40
	global_load_dwordx2 v[7:8], v2, s[10:11]
	s_waitcnt vmcnt(1)
	v_and_b32_e32 v3, v3, v5
	v_and_b32_e32 v4, v4, v6
	v_mul_lo_u32 v4, v4, 24
	v_mul_hi_u32 v9, v3, 24
	v_mul_lo_u32 v3, v3, 24
	v_add_u32_e32 v4, v9, v4
	s_waitcnt vmcnt(0)
	v_add_co_u32_e32 v3, vcc, v7, v3
	v_addc_co_u32_e32 v4, vcc, v8, v4, vcc
	global_load_dwordx2 v[3:4], v[3:4], off glc
	s_waitcnt vmcnt(0)
	global_atomic_cmpswap_x2 v[8:9], v2, v[3:6], s[10:11] offset:24 glc
	s_waitcnt vmcnt(0)
	buffer_wbinvl1_vol
	v_cmp_ne_u64_e32 vcc, v[8:9], v[5:6]
	s_and_saveexec_b64 s[14:15], vcc
	s_cbranch_execz .LBB10_372
; %bb.369:
	s_mov_b64 s[16:17], 0
.LBB10_370:                             ; =>This Inner Loop Header: Depth=1
	s_sleep 1
	global_load_dwordx2 v[3:4], v2, s[10:11] offset:40
	global_load_dwordx2 v[10:11], v2, s[10:11]
	v_mov_b32_e32 v5, v8
	v_mov_b32_e32 v6, v9
	s_waitcnt vmcnt(1)
	v_and_b32_e32 v3, v3, v5
	s_waitcnt vmcnt(0)
	v_mad_u64_u32 v[7:8], s[18:19], v3, 24, v[10:11]
	v_and_b32_e32 v4, v4, v6
	v_mov_b32_e32 v3, v8
	v_mad_u64_u32 v[3:4], s[18:19], v4, 24, v[3:4]
	v_mov_b32_e32 v8, v3
	global_load_dwordx2 v[3:4], v[7:8], off glc
	s_waitcnt vmcnt(0)
	global_atomic_cmpswap_x2 v[8:9], v2, v[3:6], s[10:11] offset:24 glc
	s_waitcnt vmcnt(0)
	buffer_wbinvl1_vol
	v_cmp_eq_u64_e32 vcc, v[8:9], v[5:6]
	s_or_b64 s[16:17], vcc, s[16:17]
	s_andn2_b64 exec, exec, s[16:17]
	s_cbranch_execnz .LBB10_370
; %bb.371:
	s_or_b64 exec, exec, s[16:17]
.LBB10_372:
	s_or_b64 exec, exec, s[14:15]
.LBB10_373:
	s_or_b64 exec, exec, s[12:13]
	v_mov_b32_e32 v2, 0
	global_load_dwordx2 v[10:11], v2, s[10:11] offset:40
	global_load_dwordx4 v[4:7], v2, s[10:11]
	v_readfirstlane_b32 s13, v9
	v_readfirstlane_b32 s12, v8
	s_mov_b64 s[14:15], exec
	s_waitcnt vmcnt(1)
	v_readfirstlane_b32 s16, v10
	v_readfirstlane_b32 s17, v11
	s_and_b64 s[16:17], s[16:17], s[12:13]
	s_mul_i32 s18, s17, 24
	s_mul_hi_u32 s19, s16, 24
	s_mul_i32 s20, s16, 24
	s_add_i32 s18, s19, s18
	v_mov_b32_e32 v3, s18
	s_waitcnt vmcnt(0)
	v_add_co_u32_e32 v8, vcc, s20, v4
	v_addc_co_u32_e32 v9, vcc, v5, v3, vcc
	s_and_saveexec_b64 s[18:19], s[4:5]
	s_cbranch_execz .LBB10_375
; %bb.374:
	v_mov_b32_e32 v10, s14
	v_mov_b32_e32 v11, s15
	;; [unrolled: 1-line block ×4, first 2 shown]
	global_store_dwordx4 v[8:9], v[10:13], off offset:8
.LBB10_375:
	s_or_b64 exec, exec, s[18:19]
	s_lshl_b64 s[14:15], s[16:17], 12
	v_mov_b32_e32 v3, s15
	v_add_co_u32_e32 v10, vcc, s14, v6
	v_addc_co_u32_e32 v11, vcc, v7, v3, vcc
	s_movk_i32 s14, 0xff1f
	v_and_or_b32 v0, v0, s14, 32
	s_mov_b32 s16, 0
	v_mov_b32_e32 v3, v2
	v_readfirstlane_b32 s14, v10
	v_readfirstlane_b32 s15, v11
	v_add_co_u32_e32 v6, vcc, v10, v35
	s_mov_b32 s17, s16
	s_mov_b32 s18, s16
	;; [unrolled: 1-line block ×3, first 2 shown]
	s_nop 0
	global_store_dwordx4 v35, v[0:3], s[14:15]
	v_addc_co_u32_e32 v7, vcc, 0, v11, vcc
	v_mov_b32_e32 v0, s16
	v_mov_b32_e32 v1, s17
	v_mov_b32_e32 v2, s18
	v_mov_b32_e32 v3, s19
	global_store_dwordx4 v35, v[0:3], s[14:15] offset:16
	global_store_dwordx4 v35, v[0:3], s[14:15] offset:32
	global_store_dwordx4 v35, v[0:3], s[14:15] offset:48
	s_and_saveexec_b64 s[14:15], s[4:5]
	s_cbranch_execz .LBB10_383
; %bb.376:
	v_mov_b32_e32 v10, 0
	global_load_dwordx2 v[13:14], v10, s[10:11] offset:32 glc
	global_load_dwordx2 v[0:1], v10, s[10:11] offset:40
	v_mov_b32_e32 v11, s12
	v_mov_b32_e32 v12, s13
	s_waitcnt vmcnt(0)
	v_readfirstlane_b32 s16, v0
	v_readfirstlane_b32 s17, v1
	s_and_b64 s[16:17], s[16:17], s[12:13]
	s_mul_i32 s17, s17, 24
	s_mul_hi_u32 s18, s16, 24
	s_mul_i32 s16, s16, 24
	s_add_i32 s17, s18, s17
	v_mov_b32_e32 v0, s17
	v_add_co_u32_e32 v4, vcc, s16, v4
	v_addc_co_u32_e32 v5, vcc, v5, v0, vcc
	global_store_dwordx2 v[4:5], v[13:14], off
	s_waitcnt vmcnt(0)
	global_atomic_cmpswap_x2 v[2:3], v10, v[11:14], s[10:11] offset:32 glc
	s_waitcnt vmcnt(0)
	v_cmp_ne_u64_e32 vcc, v[2:3], v[13:14]
	s_and_saveexec_b64 s[16:17], vcc
	s_cbranch_execz .LBB10_379
; %bb.377:
	s_mov_b64 s[18:19], 0
.LBB10_378:                             ; =>This Inner Loop Header: Depth=1
	s_sleep 1
	global_store_dwordx2 v[4:5], v[2:3], off
	v_mov_b32_e32 v0, s12
	v_mov_b32_e32 v1, s13
	s_waitcnt vmcnt(0)
	global_atomic_cmpswap_x2 v[0:1], v10, v[0:3], s[10:11] offset:32 glc
	s_waitcnt vmcnt(0)
	v_cmp_eq_u64_e32 vcc, v[0:1], v[2:3]
	v_mov_b32_e32 v3, v1
	s_or_b64 s[18:19], vcc, s[18:19]
	v_mov_b32_e32 v2, v0
	s_andn2_b64 exec, exec, s[18:19]
	s_cbranch_execnz .LBB10_378
.LBB10_379:
	s_or_b64 exec, exec, s[16:17]
	v_mov_b32_e32 v3, 0
	global_load_dwordx2 v[0:1], v3, s[10:11] offset:16
	s_mov_b64 s[16:17], exec
	v_mbcnt_lo_u32_b32 v2, s16, 0
	v_mbcnt_hi_u32_b32 v2, s17, v2
	v_cmp_eq_u32_e32 vcc, 0, v2
	s_and_saveexec_b64 s[18:19], vcc
	s_cbranch_execz .LBB10_381
; %bb.380:
	s_bcnt1_i32_b64 s16, s[16:17]
	v_mov_b32_e32 v2, s16
	s_waitcnt vmcnt(0)
	global_atomic_add_x2 v[0:1], v[2:3], off offset:8
.LBB10_381:
	s_or_b64 exec, exec, s[18:19]
	s_waitcnt vmcnt(0)
	global_load_dwordx2 v[2:3], v[0:1], off offset:16
	s_waitcnt vmcnt(0)
	v_cmp_eq_u64_e32 vcc, 0, v[2:3]
	s_cbranch_vccnz .LBB10_383
; %bb.382:
	global_load_dword v0, v[0:1], off offset:24
	v_mov_b32_e32 v1, 0
	s_waitcnt vmcnt(0)
	v_readfirstlane_b32 s16, v0
	s_and_b32 m0, s16, 0xffffff
	global_store_dwordx2 v[2:3], v[0:1], off
	s_sendmsg sendmsg(MSG_INTERRUPT)
.LBB10_383:
	s_or_b64 exec, exec, s[14:15]
	s_branch .LBB10_387
.LBB10_384:                             ;   in Loop: Header=BB10_387 Depth=1
	s_or_b64 exec, exec, s[14:15]
	v_readfirstlane_b32 s14, v0
	s_cmp_eq_u32 s14, 0
	s_cbranch_scc1 .LBB10_386
; %bb.385:                              ;   in Loop: Header=BB10_387 Depth=1
	s_sleep 1
	s_cbranch_execnz .LBB10_387
	s_branch .LBB10_389
.LBB10_386:
	s_branch .LBB10_389
.LBB10_387:                             ; =>This Inner Loop Header: Depth=1
	v_mov_b32_e32 v0, 1
	s_and_saveexec_b64 s[14:15], s[4:5]
	s_cbranch_execz .LBB10_384
; %bb.388:                              ;   in Loop: Header=BB10_387 Depth=1
	global_load_dword v0, v[8:9], off offset:20 glc
	s_waitcnt vmcnt(0)
	buffer_wbinvl1_vol
	v_and_b32_e32 v0, 1, v0
	s_branch .LBB10_384
.LBB10_389:
	global_load_dwordx2 v[0:1], v[6:7], off
	s_and_saveexec_b64 s[14:15], s[4:5]
	s_cbranch_execz .LBB10_392
; %bb.390:
	v_mov_b32_e32 v8, 0
	global_load_dwordx2 v[2:3], v8, s[10:11] offset:40
	global_load_dwordx2 v[11:12], v8, s[10:11] offset:24 glc
	global_load_dwordx2 v[4:5], v8, s[10:11]
	s_waitcnt vmcnt(2)
	v_readfirstlane_b32 s16, v2
	v_readfirstlane_b32 s17, v3
	s_add_u32 s18, s16, 1
	s_addc_u32 s19, s17, 0
	s_add_u32 s4, s18, s12
	s_addc_u32 s5, s19, s13
	s_cmp_eq_u64 s[4:5], 0
	s_cselect_b32 s5, s19, s5
	s_cselect_b32 s4, s18, s4
	s_and_b64 s[12:13], s[4:5], s[16:17]
	s_mul_i32 s13, s13, 24
	s_mul_hi_u32 s16, s12, 24
	s_mul_i32 s12, s12, 24
	s_add_i32 s13, s16, s13
	v_mov_b32_e32 v2, s13
	s_waitcnt vmcnt(0)
	v_add_co_u32_e32 v6, vcc, s12, v4
	v_addc_co_u32_e32 v7, vcc, v5, v2, vcc
	v_mov_b32_e32 v9, s4
	global_store_dwordx2 v[6:7], v[11:12], off
	v_mov_b32_e32 v10, s5
	s_waitcnt vmcnt(0)
	global_atomic_cmpswap_x2 v[4:5], v8, v[9:12], s[10:11] offset:24 glc
	s_mov_b64 s[12:13], 0
	s_waitcnt vmcnt(0)
	v_cmp_ne_u64_e32 vcc, v[4:5], v[11:12]
	s_and_b64 exec, exec, vcc
	s_cbranch_execz .LBB10_392
.LBB10_391:                             ; =>This Inner Loop Header: Depth=1
	s_sleep 1
	global_store_dwordx2 v[6:7], v[4:5], off
	v_mov_b32_e32 v2, s4
	v_mov_b32_e32 v3, s5
	s_waitcnt vmcnt(0)
	global_atomic_cmpswap_x2 v[2:3], v8, v[2:5], s[10:11] offset:24 glc
	s_waitcnt vmcnt(0)
	v_cmp_eq_u64_e32 vcc, v[2:3], v[4:5]
	v_mov_b32_e32 v5, v3
	s_or_b64 s[12:13], vcc, s[12:13]
	v_mov_b32_e32 v4, v2
	s_andn2_b64 exec, exec, s[12:13]
	s_cbranch_execnz .LBB10_391
.LBB10_392:
	s_or_b64 exec, exec, s[14:15]
.LBB10_393:
	s_or_b64 exec, exec, s[6:7]
	s_getpc_b64 s[4:5]
	s_add_u32 s4, s4, .str.3@rel32@lo+4
	s_addc_u32 s5, s5, .str.3@rel32@hi+12
	s_getpc_b64 s[6:7]
	s_add_u32 s6, s6, .str.3@rel32@lo+27
	s_addc_u32 s7, s7, .str.3@rel32@hi+35
	s_sub_i32 s10, s6, s4
	s_ashr_i32 s11, s10, 31
	s_getpc_b64 s[6:7]
	s_add_u32 s6, s6, __ockl_fprintf_append_string_n@rel32@lo+4
	s_addc_u32 s7, s7, __ockl_fprintf_append_string_n@rel32@hi+12
	v_mov_b32_e32 v2, s4
	v_mov_b32_e32 v3, s5
	;; [unrolled: 1-line block ×5, first 2 shown]
	s_swappc_b64 s[30:31], s[6:7]
	s_trap 2
.Lfunc_end10:
	.size	__assert_fail, .Lfunc_end10-__assert_fail
                                        ; -- End function
	.set .L__assert_fail.num_vgpr, max(41, .L__ockl_fprintf_append_string_n.num_vgpr)
	.set .L__assert_fail.num_agpr, max(0, .L__ockl_fprintf_append_string_n.num_agpr)
	.set .L__assert_fail.numbered_sgpr, max(34, .L__ockl_fprintf_append_string_n.numbered_sgpr)
	.set .L__assert_fail.num_named_barrier, max(0, .L__ockl_fprintf_append_string_n.num_named_barrier)
	.set .L__assert_fail.private_seg_size, 64+max(.L__ockl_fprintf_append_string_n.private_seg_size)
	.set .L__assert_fail.uses_vcc, or(1, .L__ockl_fprintf_append_string_n.uses_vcc)
	.set .L__assert_fail.uses_flat_scratch, or(0, .L__ockl_fprintf_append_string_n.uses_flat_scratch)
	.set .L__assert_fail.has_dyn_sized_stack, or(0, .L__ockl_fprintf_append_string_n.has_dyn_sized_stack)
	.set .L__assert_fail.has_recursion, or(0, .L__ockl_fprintf_append_string_n.has_recursion)
	.set .L__assert_fail.has_indirect_call, or(0, .L__ockl_fprintf_append_string_n.has_indirect_call)
	.section	.AMDGPU.csdata,"",@progbits
; Function info:
; codeLenInByte = 13844
; TotalNumSgprs: 38
; NumVgprs: 41
; ScratchSize: 64
; MemoryBound: 0
	.section	.text._ZN9rocsolver6v33100L17syevj_diag_rotateILb0EffPfEEvbiiT2_iilPT0_Pii,"axG",@progbits,_ZN9rocsolver6v33100L17syevj_diag_rotateILb0EffPfEEvbiiT2_iilPT0_Pii,comdat
	.globl	_ZN9rocsolver6v33100L17syevj_diag_rotateILb0EffPfEEvbiiT2_iilPT0_Pii ; -- Begin function _ZN9rocsolver6v33100L17syevj_diag_rotateILb0EffPfEEvbiiT2_iilPT0_Pii
	.p2align	8
	.type	_ZN9rocsolver6v33100L17syevj_diag_rotateILb0EffPfEEvbiiT2_iilPT0_Pii,@function
_ZN9rocsolver6v33100L17syevj_diag_rotateILb0EffPfEEvbiiT2_iilPT0_Pii: ; @_ZN9rocsolver6v33100L17syevj_diag_rotateILb0EffPfEEvbiiT2_iilPT0_Pii
; %bb.0:
	s_load_dwordx4 s[36:39], s[4:5], 0x0
	s_add_u32 flat_scratch_lo, s6, s11
	s_addc_u32 flat_scratch_hi, s7, 0
	s_add_u32 s0, s0, s11
	s_addc_u32 s1, s1, 0
	s_waitcnt lgkmcnt(0)
	s_abs_i32 s27, s37
	v_mov_b32_e32 v42, v0
	v_cvt_f32_u32_e32 v0, s27
	s_mul_i32 s50, s37, s37
	s_mov_b32 s26, s10
	s_mov_b64 s[28:29], s[4:5]
	v_rcp_iflag_f32_e32 v0, v0
	s_mov_b32 s34, s9
	s_mov_b32 s35, s8
	v_mov_b32_e32 v41, v1
	v_mul_f32_e32 v0, 0x4f7ffffe, v0
	v_cvt_u32_f32_e32 v0, v0
	s_cmpk_lt_u32 s50, 0x4001
	s_mov_b64 s[4:5], -1
	s_mov_b32 s32, 0
	v_readfirstlane_b32 s39, v0
	s_cbranch_scc1 .LBB11_2
; %bb.1:
	s_add_u32 s8, s28, 64
	s_addc_u32 s9, s29, 0
	s_getpc_b64 s[4:5]
	s_add_u32 s4, s4, __PRETTY_FUNCTION__._ZN9rocsolver6v33100L17syevj_diag_rotateILb0EffPfEEvbiiT2_iilPT0_Pii@rel32@lo+4
	s_addc_u32 s5, s5, __PRETTY_FUNCTION__._ZN9rocsolver6v33100L17syevj_diag_rotateILb0EffPfEEvbiiT2_iilPT0_Pii@rel32@hi+12
	s_getpc_b64 s[6:7]
	s_add_u32 s6, s6, __assert_fail@rel32@lo+4
	s_addc_u32 s7, s7, __assert_fail@rel32@hi+12
	v_mov_b32_e32 v0, s4
	v_mov_b32_e32 v1, s5
	s_swappc_b64 s[30:31], s[6:7]
	s_mov_b64 s[4:5], 0
	; divergent unreachable
.LBB11_2:
	s_andn2_b64 vcc, exec, s[4:5]
	s_cbranch_vccnz .LBB11_35
; %bb.3:
	s_load_dword s33, s[28:29], 0x38
	s_waitcnt lgkmcnt(0)
	s_cmp_ge_u32 s26, s33
	s_cbranch_scc1 .LBB11_35
; %bb.4:
	s_mov_b64 s[4:5], src_shared_base
	s_sub_i32 s4, 0, s27
	s_mul_i32 s4, s4, s39
	s_add_i32 s6, s38, -1
	s_mul_hi_u32 s4, s39, s4
	s_abs_i32 s7, s6
	s_add_i32 s39, s39, s4
	s_ashr_i32 s6, s6, 31
	s_ashr_i32 s8, s37, 31
	s_load_dwordx4 s[20:23], s[28:29], 0x40
	s_cmpk_lt_u32 s50, 0x2001
	s_mul_hi_u32 s4, s7, s39
	s_cselect_b64 s[24:25], -1, 0
	s_bitcmp1_b32 s36, 0
	s_cselect_b64 s[30:31], -1, 0
	s_xor_b32 s6, s6, s8
	s_mul_i32 s8, s4, s27
	s_sub_i32 s7, s7, s8
	s_waitcnt lgkmcnt(0)
	s_lshr_b32 s36, s23, 16
	s_and_b32 s23, s23, 0xffff
	s_add_i32 s8, s4, 1
	s_sub_i32 s9, s7, s27
	s_cmp_ge_u32 s7, s27
	s_cselect_b32 s4, s8, s4
	s_cselect_b32 s7, s9, s7
	s_add_i32 s8, s4, 1
	s_load_dwordx8 s[12:19], s[28:29], 0x10
	s_load_dwordx2 s[40:41], s[28:29], 0x30
	s_cmp_ge_u32 s7, s27
	s_cselect_b32 s4, s8, s4
	s_xor_b32 s4, s4, s6
	s_sub_i32 s51, s4, s6
	s_lshl_b32 s4, s50, 2
	s_add_i32 s52, s51, 1
	s_add_i32 s53, s4, 0
	s_waitcnt lgkmcnt(0)
	s_ashr_i32 s7, s14, 31
	v_mul_lo_u32 v0, v41, s37
	s_cmp_lt_u32 s35, s52
	s_mul_i32 s4, s51, s37
	s_cselect_b64 s[8:9], -1, 0
	s_sub_i32 s55, s38, s4
	s_mov_b32 s6, s14
	s_cmp_lt_u32 s34, s52
	s_cselect_b64 s[10:11], -1, 0
	s_ashr_i32 s57, s15, 31
	s_lshl_b64 s[6:7], s[6:7], 2
	v_lshlrev_b32_e32 v0, 2, v0
	v_lshlrev_b32_e32 v1, 2, v42
	s_add_u32 s59, s12, s6
	v_add3_u32 v4, v0, v1, 0
	s_mul_i32 s6, s37, s36
	v_cndmask_b32_e64 v0, 0, 1, s[8:9]
	v_mad_u32_u24 v2, v41, s23, v42
	s_mul_i32 s56, s36, s23
	s_addc_u32 s60, s13, s7
	s_lshl_b32 s62, s6, 2
	v_cmp_ne_u32_e64 s[6:7], 1, v0
	v_cndmask_b32_e64 v0, 0, 1, s[24:25]
	v_cndmask_b32_e64 v6, 0, 1, s[10:11]
	s_mov_b32 s29, 0
	s_mov_b32 s54, s5
	v_cmp_gt_u32_e64 s[4:5], s50, v2
	s_mov_b32 s58, s15
	v_lshl_add_u32 v3, v2, 2, s53
	s_lshl_b32 s61, s56, 2
	s_lshl_b32 s63, s23, 2
	s_mul_i32 s64, s34, s37
	s_mul_i32 s65, s21, s37
	v_add_u32_e32 v5, 0, v1
	s_lshl_b32 s66, s37, 2
	v_mov_b32_e32 v1, 0
	v_cmp_ne_u32_e64 s[8:9], 1, v0
	v_cmp_ne_u32_e64 s[10:11], 1, v6
	s_branch .LBB11_6
.LBB11_5:                               ;   in Loop: Header=BB11_6 Depth=1
	s_add_i32 s26, s26, s22
	s_cmp_lt_u32 s26, s33
	s_cbranch_scc0 .LBB11_35
.LBB11_6:                               ; =>This Loop Header: Depth=1
                                        ;     Child Loop BB11_10 Depth 2
                                        ;       Child Loop BB11_13 Depth 3
                                        ;       Child Loop BB11_19 Depth 3
                                        ;         Child Loop BB11_23 Depth 4
                                        ;           Child Loop BB11_25 Depth 5
                                        ;         Child Loop BB11_29 Depth 4
                                        ;           Child Loop BB11_32 Depth 5
                                        ;             Child Loop BB11_34 Depth 6
	s_mov_b32 s27, s29
	s_lshl_b64 s[12:13], s[26:27], 2
	s_add_u32 s12, s40, s12
	s_addc_u32 s13, s41, s13
	global_load_dword v0, v1, s[12:13] offset:4
	s_waitcnt vmcnt(0)
	v_cmp_ne_u32_e32 vcc, 0, v0
	s_cbranch_vccnz .LBB11_5
; %bb.7:                                ;   in Loop: Header=BB11_6 Depth=1
	s_and_b64 vcc, exec, s[6:7]
	s_cbranch_vccnz .LBB11_5
; %bb.8:                                ;   in Loop: Header=BB11_6 Depth=1
	s_mul_i32 s12, s17, s26
	s_mul_hi_u32 s13, s16, s26
	s_add_i32 s13, s13, s12
	s_mul_i32 s12, s16, s26
	s_lshl_b64 s[12:13], s[12:13], 2
	s_add_u32 s27, s59, s12
	s_addc_u32 s67, s60, s13
	s_mul_i32 s68, s26, s52
	s_mov_b32 s69, s35
	s_branch .LBB11_10
.LBB11_9:                               ;   in Loop: Header=BB11_10 Depth=2
	s_add_i32 s69, s69, s20
	s_cmp_ge_u32 s69, s52
	s_cbranch_scc1 .LBB11_5
.LBB11_10:                              ;   Parent Loop BB11_6 Depth=1
                                        ; =>  This Loop Header: Depth=2
                                        ;       Child Loop BB11_13 Depth 3
                                        ;       Child Loop BB11_19 Depth 3
                                        ;         Child Loop BB11_23 Depth 4
                                        ;           Child Loop BB11_25 Depth 5
                                        ;         Child Loop BB11_29 Depth 4
                                        ;           Child Loop BB11_32 Depth 5
                                        ;             Child Loop BB11_34 Depth 6
	s_add_i32 s12, s69, s68
	s_mul_i32 s28, s12, s50
	s_lshl_b64 s[12:13], s[28:29], 2
	s_add_u32 s38, s18, s12
	s_addc_u32 s28, s19, s13
	s_and_b64 vcc, exec, s[8:9]
	s_cbranch_vccnz .LBB11_15
; %bb.11:                               ;   in Loop: Header=BB11_10 Depth=2
	s_barrier
	s_and_saveexec_b64 s[12:13], s[4:5]
	s_cbranch_execz .LBB11_14
; %bb.12:                               ;   in Loop: Header=BB11_10 Depth=2
	s_mov_b64 s[14:15], 0
	v_mov_b32_e32 v6, s28
	v_mov_b32_e32 v7, v3
	;; [unrolled: 1-line block ×3, first 2 shown]
.LBB11_13:                              ;   Parent Loop BB11_6 Depth=1
                                        ;     Parent Loop BB11_10 Depth=2
                                        ; =>    This Inner Loop Header: Depth=3
	v_lshlrev_b64 v[8:9], 2, v[0:1]
	v_add_u32_e32 v0, s56, v0
	v_add_co_u32_e32 v8, vcc, s38, v8
	v_addc_co_u32_e32 v9, vcc, v6, v9, vcc
	global_load_dword v8, v[8:9], off
	v_cmp_le_u32_e32 vcc, s50, v0
	s_or_b64 s[14:15], vcc, s[14:15]
	s_waitcnt vmcnt(0)
	ds_write_b32 v7, v8
	v_add_u32_e32 v7, s61, v7
	s_andn2_b64 exec, exec, s[14:15]
	s_cbranch_execnz .LBB11_13
.LBB11_14:                              ;   in Loop: Header=BB11_10 Depth=2
	s_or_b64 exec, exec, s[12:13]
	s_waitcnt lgkmcnt(0)
	s_barrier
.LBB11_15:                              ;   in Loop: Header=BB11_10 Depth=2
	s_and_b64 vcc, exec, s[10:11]
	s_cbranch_vccnz .LBB11_9
; %bb.16:                               ;   in Loop: Header=BB11_10 Depth=2
	s_and_b64 s[12:13], s[24:25], exec
	s_cselect_b32 s28, s54, s28
	s_cselect_b32 s70, s53, s38
	s_cmp_eq_u32 s69, s51
	s_cselect_b32 s71, s55, s37
	s_cmp_gt_i32 s71, 0
	s_mul_i32 s72, s69, s37
	v_cmp_gt_u32_e64 s[12:13], s71, v41
	s_cselect_b64 s[38:39], -1, 0
	s_mov_b32 s73, s64
	s_mov_b32 s74, s34
	s_branch .LBB11_19
.LBB11_17:                              ;   in Loop: Header=BB11_19 Depth=3
	s_or_b64 exec, exec, s[42:43]
	s_waitcnt vmcnt(0)
	s_barrier
.LBB11_18:                              ;   in Loop: Header=BB11_19 Depth=3
	s_add_i32 s74, s74, s21
	s_add_i32 s73, s73, s65
	s_cmp_ge_u32 s74, s52
	s_cbranch_scc1 .LBB11_9
.LBB11_19:                              ;   Parent Loop BB11_6 Depth=1
                                        ;     Parent Loop BB11_10 Depth=2
                                        ; =>    This Loop Header: Depth=3
                                        ;         Child Loop BB11_23 Depth 4
                                        ;           Child Loop BB11_25 Depth 5
                                        ;         Child Loop BB11_29 Depth 4
                                        ;           Child Loop BB11_32 Depth 5
                                        ;             Child Loop BB11_34 Depth 6
	s_cmp_eq_u32 s69, s74
	s_cselect_b64 s[14:15], -1, 0
	s_and_b64 s[14:15], s[30:31], s[14:15]
	s_and_b64 vcc, exec, s[14:15]
	s_cbranch_vccnz .LBB11_18
; %bb.20:                               ;   in Loop: Header=BB11_19 Depth=3
	s_cmp_eq_u32 s74, s51
	s_cselect_b32 s75, s55, s37
	s_barrier
	s_and_saveexec_b64 s[42:43], s[12:13]
	s_cbranch_execz .LBB11_26
; %bb.21:                               ;   in Loop: Header=BB11_19 Depth=3
	v_cmp_gt_u32_e32 vcc, s75, v42
	s_mov_b64 s[44:45], 0
	v_mov_b32_e32 v6, v4
	v_mov_b32_e32 v7, v41
	s_branch .LBB11_23
.LBB11_22:                              ;   in Loop: Header=BB11_23 Depth=4
	s_or_b64 exec, exec, s[46:47]
	v_add_u32_e32 v7, s36, v7
	v_cmp_le_u32_e64 s[14:15], s71, v7
	s_or_b64 s[44:45], s[14:15], s[44:45]
	v_add_u32_e32 v6, s62, v6
	s_andn2_b64 exec, exec, s[44:45]
	s_cbranch_execz .LBB11_26
.LBB11_23:                              ;   Parent Loop BB11_6 Depth=1
                                        ;     Parent Loop BB11_10 Depth=2
                                        ;       Parent Loop BB11_19 Depth=3
                                        ; =>      This Loop Header: Depth=4
                                        ;           Child Loop BB11_25 Depth 5
	s_and_saveexec_b64 s[46:47], vcc
	s_cbranch_execz .LBB11_22
; %bb.24:                               ;   in Loop: Header=BB11_23 Depth=4
	v_add_u32_e32 v10, s72, v7
	v_mad_u64_u32 v[8:9], s[14:15], v10, s58, 0
	s_mov_b64 s[48:49], 0
	v_mov_b32_e32 v11, v42
	v_mov_b32_e32 v0, v9
	v_mad_u64_u32 v[9:10], s[14:15], v10, s57, v[0:1]
	v_mov_b32_e32 v0, s67
	v_mov_b32_e32 v10, v6
	v_lshlrev_b64 v[8:9], 2, v[8:9]
	v_add_co_u32_e64 v8, s[14:15], s27, v8
	v_addc_co_u32_e64 v9, s[14:15], v0, v9, s[14:15]
.LBB11_25:                              ;   Parent Loop BB11_6 Depth=1
                                        ;     Parent Loop BB11_10 Depth=2
                                        ;       Parent Loop BB11_19 Depth=3
                                        ;         Parent Loop BB11_23 Depth=4
                                        ; =>        This Inner Loop Header: Depth=5
	v_add_u32_e32 v0, s73, v11
	v_lshlrev_b64 v[12:13], 2, v[0:1]
	v_add_u32_e32 v11, s23, v11
	v_add_co_u32_e64 v12, s[14:15], v8, v12
	v_addc_co_u32_e64 v13, s[14:15], v9, v13, s[14:15]
	global_load_dword v0, v[12:13], off
	v_cmp_le_u32_e64 s[14:15], s75, v11
	s_or_b64 s[48:49], s[14:15], s[48:49]
	s_waitcnt vmcnt(0)
	ds_write_b32 v10, v0
	v_add_u32_e32 v10, s63, v10
	s_andn2_b64 exec, exec, s[48:49]
	s_cbranch_execnz .LBB11_25
	s_branch .LBB11_22
.LBB11_26:                              ;   in Loop: Header=BB11_19 Depth=3
	s_or_b64 exec, exec, s[42:43]
	s_waitcnt lgkmcnt(0)
	s_barrier
	s_and_saveexec_b64 s[42:43], s[12:13]
	s_cbranch_execz .LBB11_17
; %bb.27:                               ;   in Loop: Header=BB11_19 Depth=3
	s_mul_i32 s76, s74, s37
	v_cmp_gt_u32_e64 s[14:15], s75, v42
	s_mov_b64 s[44:45], 0
	v_mov_b32_e32 v6, v41
	s_branch .LBB11_29
.LBB11_28:                              ;   in Loop: Header=BB11_29 Depth=4
	s_or_b64 exec, exec, s[46:47]
	v_add_u32_e32 v6, s36, v6
	v_cmp_le_u32_e32 vcc, s71, v6
	s_or_b64 s[44:45], vcc, s[44:45]
	s_andn2_b64 exec, exec, s[44:45]
	s_cbranch_execz .LBB11_17
.LBB11_29:                              ;   Parent Loop BB11_6 Depth=1
                                        ;     Parent Loop BB11_10 Depth=2
                                        ;       Parent Loop BB11_19 Depth=3
                                        ; =>      This Loop Header: Depth=4
                                        ;           Child Loop BB11_32 Depth 5
                                        ;             Child Loop BB11_34 Depth 6
	s_and_saveexec_b64 s[46:47], s[14:15]
	s_cbranch_execz .LBB11_28
; %bb.30:                               ;   in Loop: Header=BB11_29 Depth=4
	v_add_u32_e32 v9, s72, v6
	v_mad_u64_u32 v[7:8], s[48:49], v9, s58, 0
	v_mov_b32_e32 v10, v42
	v_mov_b32_e32 v0, v8
	v_mad_u64_u32 v[8:9], s[48:49], v9, s57, v[0:1]
	v_mov_b32_e32 v0, s67
	s_mov_b64 s[48:49], 0
	v_lshlrev_b64 v[7:8], 2, v[7:8]
	v_mov_b32_e32 v9, v5
	v_add_co_u32_e32 v7, vcc, s27, v7
	v_addc_co_u32_e32 v8, vcc, v0, v8, vcc
	s_branch .LBB11_32
.LBB11_31:                              ;   in Loop: Header=BB11_32 Depth=5
	v_add_u32_e32 v0, s76, v10
	v_lshlrev_b64 v[12:13], 2, v[0:1]
	v_add_u32_e32 v10, s23, v10
	v_add_co_u32_e32 v12, vcc, v7, v12
	v_addc_co_u32_e32 v13, vcc, v8, v13, vcc
	v_cmp_le_u32_e32 vcc, s75, v10
	s_or_b64 s[48:49], vcc, s[48:49]
	v_add_u32_e32 v9, s63, v9
	global_store_dword v[12:13], v11, off
	s_andn2_b64 exec, exec, s[48:49]
	s_cbranch_execz .LBB11_28
.LBB11_32:                              ;   Parent Loop BB11_6 Depth=1
                                        ;     Parent Loop BB11_10 Depth=2
                                        ;       Parent Loop BB11_19 Depth=3
                                        ;         Parent Loop BB11_29 Depth=4
                                        ; =>        This Loop Header: Depth=5
                                        ;             Child Loop BB11_34 Depth 6
	v_mov_b32_e32 v11, 0
	s_andn2_b64 vcc, exec, s[38:39]
	s_cbranch_vccnz .LBB11_31
; %bb.33:                               ;   in Loop: Header=BB11_32 Depth=5
	v_mov_b32_e32 v0, v6
	v_mov_b32_e32 v12, v9
	s_mov_b32 s77, s71
.LBB11_34:                              ;   Parent Loop BB11_6 Depth=1
                                        ;     Parent Loop BB11_10 Depth=2
                                        ;       Parent Loop BB11_19 Depth=3
                                        ;         Parent Loop BB11_29 Depth=4
                                        ;           Parent Loop BB11_32 Depth=5
                                        ; =>          This Inner Loop Header: Depth=6
	v_lshlrev_b64 v[13:14], 2, v[0:1]
	v_mov_b32_e32 v15, s28
	v_add_co_u32_e32 v13, vcc, s70, v13
	v_addc_co_u32_e32 v14, vcc, v15, v14, vcc
	flat_load_dword v13, v[13:14]
	ds_read_b32 v14, v12
	s_add_i32 s77, s77, -1
	v_add_u32_e32 v12, s66, v12
	v_add_u32_e32 v0, s37, v0
	s_cmp_eq_u32 s77, 0
	s_waitcnt vmcnt(0) lgkmcnt(0)
	v_fmac_f32_e32 v11, v14, v13
	s_cbranch_scc0 .LBB11_34
	s_branch .LBB11_31
.LBB11_35:
	s_endpgm
	.section	.rodata,"a",@progbits
	.p2align	6, 0x0
	.amdhsa_kernel _ZN9rocsolver6v33100L17syevj_diag_rotateILb0EffPfEEvbiiT2_iilPT0_Pii
		.amdhsa_group_segment_fixed_size 0
		.amdhsa_private_segment_fixed_size 64
		.amdhsa_kernarg_size 320
		.amdhsa_user_sgpr_count 8
		.amdhsa_user_sgpr_private_segment_buffer 1
		.amdhsa_user_sgpr_dispatch_ptr 0
		.amdhsa_user_sgpr_queue_ptr 0
		.amdhsa_user_sgpr_kernarg_segment_ptr 1
		.amdhsa_user_sgpr_dispatch_id 0
		.amdhsa_user_sgpr_flat_scratch_init 1
		.amdhsa_user_sgpr_private_segment_size 0
		.amdhsa_uses_dynamic_stack 0
		.amdhsa_system_sgpr_private_segment_wavefront_offset 1
		.amdhsa_system_sgpr_workgroup_id_x 1
		.amdhsa_system_sgpr_workgroup_id_y 1
		.amdhsa_system_sgpr_workgroup_id_z 1
		.amdhsa_system_sgpr_workgroup_info 0
		.amdhsa_system_vgpr_workitem_id 1
		.amdhsa_next_free_vgpr 43
		.amdhsa_next_free_sgpr 78
		.amdhsa_reserve_vcc 1
		.amdhsa_reserve_flat_scratch 1
		.amdhsa_float_round_mode_32 0
		.amdhsa_float_round_mode_16_64 0
		.amdhsa_float_denorm_mode_32 3
		.amdhsa_float_denorm_mode_16_64 3
		.amdhsa_dx10_clamp 1
		.amdhsa_ieee_mode 1
		.amdhsa_fp16_overflow 0
		.amdhsa_exception_fp_ieee_invalid_op 0
		.amdhsa_exception_fp_denorm_src 0
		.amdhsa_exception_fp_ieee_div_zero 0
		.amdhsa_exception_fp_ieee_overflow 0
		.amdhsa_exception_fp_ieee_underflow 0
		.amdhsa_exception_fp_ieee_inexact 0
		.amdhsa_exception_int_div_zero 0
	.end_amdhsa_kernel
	.section	.text._ZN9rocsolver6v33100L17syevj_diag_rotateILb0EffPfEEvbiiT2_iilPT0_Pii,"axG",@progbits,_ZN9rocsolver6v33100L17syevj_diag_rotateILb0EffPfEEvbiiT2_iilPT0_Pii,comdat
.Lfunc_end11:
	.size	_ZN9rocsolver6v33100L17syevj_diag_rotateILb0EffPfEEvbiiT2_iilPT0_Pii, .Lfunc_end11-_ZN9rocsolver6v33100L17syevj_diag_rotateILb0EffPfEEvbiiT2_iilPT0_Pii
                                        ; -- End function
	.set _ZN9rocsolver6v33100L17syevj_diag_rotateILb0EffPfEEvbiiT2_iilPT0_Pii.num_vgpr, max(43, .L__assert_fail.num_vgpr)
	.set _ZN9rocsolver6v33100L17syevj_diag_rotateILb0EffPfEEvbiiT2_iilPT0_Pii.num_agpr, max(0, .L__assert_fail.num_agpr)
	.set _ZN9rocsolver6v33100L17syevj_diag_rotateILb0EffPfEEvbiiT2_iilPT0_Pii.numbered_sgpr, max(78, .L__assert_fail.numbered_sgpr)
	.set _ZN9rocsolver6v33100L17syevj_diag_rotateILb0EffPfEEvbiiT2_iilPT0_Pii.num_named_barrier, max(0, .L__assert_fail.num_named_barrier)
	.set _ZN9rocsolver6v33100L17syevj_diag_rotateILb0EffPfEEvbiiT2_iilPT0_Pii.private_seg_size, 0+max(.L__assert_fail.private_seg_size)
	.set _ZN9rocsolver6v33100L17syevj_diag_rotateILb0EffPfEEvbiiT2_iilPT0_Pii.uses_vcc, or(1, .L__assert_fail.uses_vcc)
	.set _ZN9rocsolver6v33100L17syevj_diag_rotateILb0EffPfEEvbiiT2_iilPT0_Pii.uses_flat_scratch, or(1, .L__assert_fail.uses_flat_scratch)
	.set _ZN9rocsolver6v33100L17syevj_diag_rotateILb0EffPfEEvbiiT2_iilPT0_Pii.has_dyn_sized_stack, or(0, .L__assert_fail.has_dyn_sized_stack)
	.set _ZN9rocsolver6v33100L17syevj_diag_rotateILb0EffPfEEvbiiT2_iilPT0_Pii.has_recursion, or(0, .L__assert_fail.has_recursion)
	.set _ZN9rocsolver6v33100L17syevj_diag_rotateILb0EffPfEEvbiiT2_iilPT0_Pii.has_indirect_call, or(0, .L__assert_fail.has_indirect_call)
	.section	.AMDGPU.csdata,"",@progbits
; Kernel info:
; codeLenInByte = 1408
; TotalNumSgprs: 84
; NumVgprs: 43
; ScratchSize: 64
; MemoryBound: 0
; FloatMode: 240
; IeeeMode: 1
; LDSByteSize: 0 bytes/workgroup (compile time only)
; SGPRBlocks: 10
; VGPRBlocks: 10
; NumSGPRsForWavesPerEU: 84
; NumVGPRsForWavesPerEU: 43
; Occupancy: 5
; WaveLimiterHint : 1
; COMPUTE_PGM_RSRC2:SCRATCH_EN: 1
; COMPUTE_PGM_RSRC2:USER_SGPR: 8
; COMPUTE_PGM_RSRC2:TRAP_HANDLER: 0
; COMPUTE_PGM_RSRC2:TGID_X_EN: 1
; COMPUTE_PGM_RSRC2:TGID_Y_EN: 1
; COMPUTE_PGM_RSRC2:TGID_Z_EN: 1
; COMPUTE_PGM_RSRC2:TIDIG_COMP_CNT: 1
	.section	.text._ZN9rocsolver6v33100L17syevj_diag_rotateILb1EffPfEEvbiiT2_iilPT0_Pii,"axG",@progbits,_ZN9rocsolver6v33100L17syevj_diag_rotateILb1EffPfEEvbiiT2_iilPT0_Pii,comdat
	.globl	_ZN9rocsolver6v33100L17syevj_diag_rotateILb1EffPfEEvbiiT2_iilPT0_Pii ; -- Begin function _ZN9rocsolver6v33100L17syevj_diag_rotateILb1EffPfEEvbiiT2_iilPT0_Pii
	.p2align	8
	.type	_ZN9rocsolver6v33100L17syevj_diag_rotateILb1EffPfEEvbiiT2_iilPT0_Pii,@function
_ZN9rocsolver6v33100L17syevj_diag_rotateILb1EffPfEEvbiiT2_iilPT0_Pii: ; @_ZN9rocsolver6v33100L17syevj_diag_rotateILb1EffPfEEvbiiT2_iilPT0_Pii
; %bb.0:
	s_load_dwordx4 s[36:39], s[4:5], 0x0
	s_add_u32 flat_scratch_lo, s6, s11
	s_addc_u32 flat_scratch_hi, s7, 0
	s_add_u32 s0, s0, s11
	s_addc_u32 s1, s1, 0
	s_waitcnt lgkmcnt(0)
	s_abs_i32 s27, s37
	v_mov_b32_e32 v42, v0
	v_cvt_f32_u32_e32 v0, s27
	s_mul_i32 s50, s37, s37
	s_mov_b32 s26, s10
	s_mov_b64 s[28:29], s[4:5]
	v_rcp_iflag_f32_e32 v0, v0
	s_mov_b32 s34, s9
	s_mov_b32 s35, s8
	v_mov_b32_e32 v41, v1
	v_mul_f32_e32 v0, 0x4f7ffffe, v0
	v_cvt_u32_f32_e32 v0, v0
	s_cmpk_lt_u32 s50, 0x4001
	s_mov_b64 s[4:5], -1
	s_mov_b32 s32, 0
	v_readfirstlane_b32 s39, v0
	s_cbranch_scc1 .LBB12_2
; %bb.1:
	s_add_u32 s8, s28, 64
	s_addc_u32 s9, s29, 0
	s_getpc_b64 s[4:5]
	s_add_u32 s4, s4, __PRETTY_FUNCTION__._ZN9rocsolver6v33100L17syevj_diag_rotateILb1EffPfEEvbiiT2_iilPT0_Pii@rel32@lo+4
	s_addc_u32 s5, s5, __PRETTY_FUNCTION__._ZN9rocsolver6v33100L17syevj_diag_rotateILb1EffPfEEvbiiT2_iilPT0_Pii@rel32@hi+12
	s_getpc_b64 s[6:7]
	s_add_u32 s6, s6, __assert_fail@rel32@lo+4
	s_addc_u32 s7, s7, __assert_fail@rel32@hi+12
	v_mov_b32_e32 v0, s4
	v_mov_b32_e32 v1, s5
	s_swappc_b64 s[30:31], s[6:7]
	s_mov_b64 s[4:5], 0
	; divergent unreachable
.LBB12_2:
	s_andn2_b64 vcc, exec, s[4:5]
	s_cbranch_vccnz .LBB12_35
; %bb.3:
	s_load_dword s33, s[28:29], 0x38
	s_waitcnt lgkmcnt(0)
	s_cmp_ge_u32 s26, s33
	s_cbranch_scc1 .LBB12_35
; %bb.4:
	s_mov_b64 s[4:5], src_shared_base
	s_sub_i32 s4, 0, s27
	s_mul_i32 s4, s4, s39
	s_add_i32 s6, s38, -1
	s_mul_hi_u32 s4, s39, s4
	s_abs_i32 s7, s6
	s_add_i32 s39, s39, s4
	s_ashr_i32 s6, s6, 31
	s_ashr_i32 s8, s37, 31
	s_load_dwordx4 s[20:23], s[28:29], 0x40
	s_cmpk_lt_u32 s50, 0x2001
	s_mul_hi_u32 s4, s7, s39
	s_cselect_b64 s[24:25], -1, 0
	s_bitcmp1_b32 s36, 0
	s_cselect_b64 s[30:31], -1, 0
	s_xor_b32 s6, s6, s8
	s_mul_i32 s8, s4, s27
	s_sub_i32 s7, s7, s8
	s_waitcnt lgkmcnt(0)
	s_lshr_b32 s36, s23, 16
	s_and_b32 s23, s23, 0xffff
	s_add_i32 s8, s4, 1
	s_sub_i32 s9, s7, s27
	s_cmp_ge_u32 s7, s27
	s_cselect_b32 s4, s8, s4
	s_cselect_b32 s7, s9, s7
	s_add_i32 s8, s4, 1
	s_load_dwordx8 s[12:19], s[28:29], 0x10
	s_load_dwordx2 s[40:41], s[28:29], 0x30
	s_cmp_ge_u32 s7, s27
	s_cselect_b32 s4, s8, s4
	s_xor_b32 s4, s4, s6
	s_sub_i32 s51, s4, s6
	s_lshl_b32 s4, s50, 2
	s_add_i32 s52, s51, 1
	s_add_i32 s53, s4, 0
	s_waitcnt lgkmcnt(0)
	s_ashr_i32 s7, s14, 31
	v_mul_lo_u32 v0, v41, s37
	s_cmp_lt_u32 s35, s52
	s_mul_i32 s4, s51, s37
	s_cselect_b64 s[8:9], -1, 0
	s_sub_i32 s55, s38, s4
	s_mov_b32 s6, s14
	s_cmp_lt_u32 s34, s52
	s_cselect_b64 s[10:11], -1, 0
	s_ashr_i32 s57, s15, 31
	s_lshl_b64 s[6:7], s[6:7], 2
	v_lshlrev_b32_e32 v0, 2, v0
	v_lshlrev_b32_e32 v1, 2, v42
	s_add_u32 s59, s12, s6
	v_add3_u32 v4, v0, v1, 0
	s_mul_i32 s6, s37, s36
	v_add_u32_e32 v5, 0, v0
	v_cndmask_b32_e64 v0, 0, 1, s[8:9]
	v_mad_u32_u24 v2, v41, s23, v42
	s_mul_i32 s56, s36, s23
	s_addc_u32 s60, s13, s7
	s_lshl_b32 s62, s6, 2
	v_cmp_ne_u32_e64 s[6:7], 1, v0
	v_cndmask_b32_e64 v0, 0, 1, s[24:25]
	v_cndmask_b32_e64 v6, 0, 1, s[10:11]
	s_mov_b32 s29, 0
	s_mov_b32 s54, s5
	v_cmp_gt_u32_e64 s[4:5], s50, v2
	s_mov_b32 s58, s15
	v_lshl_add_u32 v3, v2, 2, s53
	s_lshl_b32 s61, s56, 2
	s_lshl_b32 s63, s23, 2
	s_mul_i32 s64, s35, s37
	s_mul_i32 s65, s20, s37
	v_mov_b32_e32 v1, 0
	v_cmp_ne_u32_e64 s[8:9], 1, v0
	v_cmp_ne_u32_e64 s[10:11], 1, v6
	s_branch .LBB12_6
.LBB12_5:                               ;   in Loop: Header=BB12_6 Depth=1
	s_add_i32 s26, s26, s22
	s_cmp_lt_u32 s26, s33
	s_cbranch_scc0 .LBB12_35
.LBB12_6:                               ; =>This Loop Header: Depth=1
                                        ;     Child Loop BB12_10 Depth 2
                                        ;       Child Loop BB12_13 Depth 3
                                        ;       Child Loop BB12_19 Depth 3
                                        ;         Child Loop BB12_23 Depth 4
                                        ;           Child Loop BB12_25 Depth 5
                                        ;         Child Loop BB12_29 Depth 4
                                        ;           Child Loop BB12_32 Depth 5
                                        ;             Child Loop BB12_34 Depth 6
	s_mov_b32 s27, s29
	s_lshl_b64 s[12:13], s[26:27], 2
	s_add_u32 s12, s40, s12
	s_addc_u32 s13, s41, s13
	global_load_dword v0, v1, s[12:13] offset:4
	s_waitcnt vmcnt(0)
	v_cmp_ne_u32_e32 vcc, 0, v0
	s_cbranch_vccnz .LBB12_5
; %bb.7:                                ;   in Loop: Header=BB12_6 Depth=1
	s_and_b64 vcc, exec, s[6:7]
	s_cbranch_vccnz .LBB12_5
; %bb.8:                                ;   in Loop: Header=BB12_6 Depth=1
	s_mul_i32 s12, s17, s26
	s_mul_hi_u32 s13, s16, s26
	s_add_i32 s13, s13, s12
	s_mul_i32 s12, s16, s26
	s_lshl_b64 s[12:13], s[12:13], 2
	s_add_u32 s27, s59, s12
	s_addc_u32 s66, s60, s13
	s_mul_i32 s67, s26, s52
	s_mov_b32 s68, s64
	s_mov_b32 s69, s35
	s_branch .LBB12_10
.LBB12_9:                               ;   in Loop: Header=BB12_10 Depth=2
	s_add_i32 s69, s69, s20
	s_add_i32 s68, s68, s65
	s_cmp_ge_u32 s69, s52
	s_cbranch_scc1 .LBB12_5
.LBB12_10:                              ;   Parent Loop BB12_6 Depth=1
                                        ; =>  This Loop Header: Depth=2
                                        ;       Child Loop BB12_13 Depth 3
                                        ;       Child Loop BB12_19 Depth 3
                                        ;         Child Loop BB12_23 Depth 4
                                        ;           Child Loop BB12_25 Depth 5
                                        ;         Child Loop BB12_29 Depth 4
                                        ;           Child Loop BB12_32 Depth 5
                                        ;             Child Loop BB12_34 Depth 6
	s_add_i32 s12, s69, s67
	s_mul_i32 s28, s12, s50
	s_lshl_b64 s[12:13], s[28:29], 2
	s_add_u32 s38, s18, s12
	s_addc_u32 s28, s19, s13
	s_and_b64 vcc, exec, s[8:9]
	s_cbranch_vccnz .LBB12_15
; %bb.11:                               ;   in Loop: Header=BB12_10 Depth=2
	s_barrier
	s_and_saveexec_b64 s[12:13], s[4:5]
	s_cbranch_execz .LBB12_14
; %bb.12:                               ;   in Loop: Header=BB12_10 Depth=2
	s_mov_b64 s[14:15], 0
	v_mov_b32_e32 v6, s28
	v_mov_b32_e32 v7, v3
	;; [unrolled: 1-line block ×3, first 2 shown]
.LBB12_13:                              ;   Parent Loop BB12_6 Depth=1
                                        ;     Parent Loop BB12_10 Depth=2
                                        ; =>    This Inner Loop Header: Depth=3
	v_lshlrev_b64 v[8:9], 2, v[0:1]
	v_add_u32_e32 v0, s56, v0
	v_add_co_u32_e32 v8, vcc, s38, v8
	v_addc_co_u32_e32 v9, vcc, v6, v9, vcc
	global_load_dword v8, v[8:9], off
	v_cmp_le_u32_e32 vcc, s50, v0
	s_or_b64 s[14:15], vcc, s[14:15]
	s_waitcnt vmcnt(0)
	ds_write_b32 v7, v8
	v_add_u32_e32 v7, s61, v7
	s_andn2_b64 exec, exec, s[14:15]
	s_cbranch_execnz .LBB12_13
.LBB12_14:                              ;   in Loop: Header=BB12_10 Depth=2
	s_or_b64 exec, exec, s[12:13]
	s_waitcnt lgkmcnt(0)
	s_barrier
.LBB12_15:                              ;   in Loop: Header=BB12_10 Depth=2
	s_and_b64 vcc, exec, s[10:11]
	s_cbranch_vccnz .LBB12_9
; %bb.16:                               ;   in Loop: Header=BB12_10 Depth=2
	s_and_b64 s[12:13], s[24:25], exec
	s_cselect_b32 s28, s54, s28
	s_cselect_b32 s70, s53, s38
	s_cmp_eq_u32 s69, s51
	s_cselect_b32 s71, s55, s37
	s_cmp_gt_i32 s71, 0
	s_mul_i32 s72, s69, s37
	v_cmp_gt_u32_e64 s[12:13], s71, v42
	s_cselect_b64 s[38:39], -1, 0
	s_mov_b32 s73, s34
	s_branch .LBB12_19
.LBB12_17:                              ;   in Loop: Header=BB12_19 Depth=3
	s_or_b64 exec, exec, s[14:15]
	s_waitcnt vmcnt(0)
	s_barrier
.LBB12_18:                              ;   in Loop: Header=BB12_19 Depth=3
	s_add_i32 s73, s73, s21
	s_cmp_ge_u32 s73, s52
	s_cbranch_scc1 .LBB12_9
.LBB12_19:                              ;   Parent Loop BB12_6 Depth=1
                                        ;     Parent Loop BB12_10 Depth=2
                                        ; =>    This Loop Header: Depth=3
                                        ;         Child Loop BB12_23 Depth 4
                                        ;           Child Loop BB12_25 Depth 5
                                        ;         Child Loop BB12_29 Depth 4
                                        ;           Child Loop BB12_32 Depth 5
                                        ;             Child Loop BB12_34 Depth 6
	s_cmp_eq_u32 s69, s73
	s_cselect_b64 s[14:15], -1, 0
	s_and_b64 s[14:15], s[30:31], s[14:15]
	s_and_b64 vcc, exec, s[14:15]
	s_cbranch_vccnz .LBB12_18
; %bb.20:                               ;   in Loop: Header=BB12_19 Depth=3
	s_cmp_eq_u32 s73, s51
	s_cselect_b32 s75, s55, s37
	s_mul_i32 s74, s73, s37
	v_cmp_gt_u32_e32 vcc, s75, v41
	s_barrier
	s_and_saveexec_b64 s[42:43], vcc
	s_cbranch_execz .LBB12_26
; %bb.21:                               ;   in Loop: Header=BB12_19 Depth=3
	s_mov_b64 s[44:45], 0
	v_mov_b32_e32 v6, v4
	v_mov_b32_e32 v7, v41
	s_branch .LBB12_23
.LBB12_22:                              ;   in Loop: Header=BB12_23 Depth=4
	s_or_b64 exec, exec, s[46:47]
	v_add_u32_e32 v7, s36, v7
	v_cmp_le_u32_e64 s[14:15], s75, v7
	s_or_b64 s[44:45], s[14:15], s[44:45]
	v_add_u32_e32 v6, s62, v6
	s_andn2_b64 exec, exec, s[44:45]
	s_cbranch_execz .LBB12_26
.LBB12_23:                              ;   Parent Loop BB12_6 Depth=1
                                        ;     Parent Loop BB12_10 Depth=2
                                        ;       Parent Loop BB12_19 Depth=3
                                        ; =>      This Loop Header: Depth=4
                                        ;           Child Loop BB12_25 Depth 5
	s_and_saveexec_b64 s[46:47], s[12:13]
	s_cbranch_execz .LBB12_22
; %bb.24:                               ;   in Loop: Header=BB12_23 Depth=4
	v_add_u32_e32 v10, s74, v7
	v_mad_u64_u32 v[8:9], s[14:15], v10, s58, 0
	s_mov_b64 s[48:49], 0
	v_mov_b32_e32 v11, v42
	v_mov_b32_e32 v0, v9
	v_mad_u64_u32 v[9:10], s[14:15], v10, s57, v[0:1]
	v_mov_b32_e32 v0, s66
	v_mov_b32_e32 v10, v6
	v_lshlrev_b64 v[8:9], 2, v[8:9]
	v_add_co_u32_e64 v8, s[14:15], s27, v8
	v_addc_co_u32_e64 v9, s[14:15], v0, v9, s[14:15]
.LBB12_25:                              ;   Parent Loop BB12_6 Depth=1
                                        ;     Parent Loop BB12_10 Depth=2
                                        ;       Parent Loop BB12_19 Depth=3
                                        ;         Parent Loop BB12_23 Depth=4
                                        ; =>        This Inner Loop Header: Depth=5
	v_add_u32_e32 v0, s68, v11
	v_lshlrev_b64 v[12:13], 2, v[0:1]
	v_add_u32_e32 v11, s23, v11
	v_add_co_u32_e64 v12, s[14:15], v8, v12
	v_addc_co_u32_e64 v13, s[14:15], v9, v13, s[14:15]
	global_load_dword v0, v[12:13], off
	v_cmp_le_u32_e64 s[14:15], s71, v11
	s_or_b64 s[48:49], s[14:15], s[48:49]
	s_waitcnt vmcnt(0)
	ds_write_b32 v10, v0
	v_add_u32_e32 v10, s63, v10
	s_andn2_b64 exec, exec, s[48:49]
	s_cbranch_execnz .LBB12_25
	s_branch .LBB12_22
.LBB12_26:                              ;   in Loop: Header=BB12_19 Depth=3
	s_or_b64 exec, exec, s[42:43]
	s_waitcnt lgkmcnt(0)
	s_barrier
	s_and_saveexec_b64 s[14:15], vcc
	s_cbranch_execz .LBB12_17
; %bb.27:                               ;   in Loop: Header=BB12_19 Depth=3
	s_mov_b64 s[42:43], 0
	v_mov_b32_e32 v6, v5
	v_mov_b32_e32 v7, v41
	s_branch .LBB12_29
.LBB12_28:                              ;   in Loop: Header=BB12_29 Depth=4
	s_or_b64 exec, exec, s[44:45]
	v_add_u32_e32 v7, s36, v7
	v_cmp_le_u32_e32 vcc, s75, v7
	s_or_b64 s[42:43], vcc, s[42:43]
	v_add_u32_e32 v6, s62, v6
	s_andn2_b64 exec, exec, s[42:43]
	s_cbranch_execz .LBB12_17
.LBB12_29:                              ;   Parent Loop BB12_6 Depth=1
                                        ;     Parent Loop BB12_10 Depth=2
                                        ;       Parent Loop BB12_19 Depth=3
                                        ; =>      This Loop Header: Depth=4
                                        ;           Child Loop BB12_32 Depth 5
                                        ;             Child Loop BB12_34 Depth 6
	s_and_saveexec_b64 s[44:45], s[12:13]
	s_cbranch_execz .LBB12_28
; %bb.30:                               ;   in Loop: Header=BB12_29 Depth=4
	v_add_u32_e32 v10, s74, v7
	v_mad_u64_u32 v[8:9], s[46:47], v10, s58, 0
	v_mov_b32_e32 v0, v9
	v_mad_u64_u32 v[9:10], s[46:47], v10, s57, v[0:1]
	v_mov_b32_e32 v0, s66
	s_mov_b64 s[46:47], 0
	v_lshlrev_b64 v[8:9], 2, v[8:9]
	v_mov_b32_e32 v10, v42
	v_add_co_u32_e32 v8, vcc, s27, v8
	v_addc_co_u32_e32 v9, vcc, v0, v9, vcc
	s_branch .LBB12_32
.LBB12_31:                              ;   in Loop: Header=BB12_32 Depth=5
	v_add_u32_e32 v0, s72, v10
	v_lshlrev_b64 v[12:13], 2, v[0:1]
	v_add_u32_e32 v10, s23, v10
	v_add_co_u32_e32 v12, vcc, v8, v12
	v_addc_co_u32_e32 v13, vcc, v9, v13, vcc
	v_cmp_le_u32_e32 vcc, s71, v10
	s_or_b64 s[46:47], vcc, s[46:47]
	global_store_dword v[12:13], v11, off
	s_andn2_b64 exec, exec, s[46:47]
	s_cbranch_execz .LBB12_28
.LBB12_32:                              ;   Parent Loop BB12_6 Depth=1
                                        ;     Parent Loop BB12_10 Depth=2
                                        ;       Parent Loop BB12_19 Depth=3
                                        ;         Parent Loop BB12_29 Depth=4
                                        ; =>        This Loop Header: Depth=5
                                        ;             Child Loop BB12_34 Depth 6
	v_mov_b32_e32 v11, 0
	s_andn2_b64 vcc, exec, s[38:39]
	s_cbranch_vccnz .LBB12_31
; %bb.33:                               ;   in Loop: Header=BB12_32 Depth=5
	v_mov_b32_e32 v0, v10
	s_mov_b32 s48, s71
	v_mov_b32_e32 v12, v6
.LBB12_34:                              ;   Parent Loop BB12_6 Depth=1
                                        ;     Parent Loop BB12_10 Depth=2
                                        ;       Parent Loop BB12_19 Depth=3
                                        ;         Parent Loop BB12_29 Depth=4
                                        ;           Parent Loop BB12_32 Depth=5
                                        ; =>          This Inner Loop Header: Depth=6
	v_lshlrev_b64 v[13:14], 2, v[0:1]
	v_mov_b32_e32 v15, s28
	v_add_co_u32_e32 v13, vcc, s70, v13
	v_addc_co_u32_e32 v14, vcc, v15, v14, vcc
	flat_load_dword v13, v[13:14]
	ds_read_b32 v14, v12
	s_add_i32 s48, s48, -1
	v_add_u32_e32 v12, 4, v12
	v_add_u32_e32 v0, s37, v0
	s_cmp_eq_u32 s48, 0
	s_waitcnt vmcnt(0) lgkmcnt(0)
	v_fmac_f32_e32 v11, v13, v14
	s_cbranch_scc0 .LBB12_34
	s_branch .LBB12_31
.LBB12_35:
	s_endpgm
	.section	.rodata,"a",@progbits
	.p2align	6, 0x0
	.amdhsa_kernel _ZN9rocsolver6v33100L17syevj_diag_rotateILb1EffPfEEvbiiT2_iilPT0_Pii
		.amdhsa_group_segment_fixed_size 0
		.amdhsa_private_segment_fixed_size 64
		.amdhsa_kernarg_size 320
		.amdhsa_user_sgpr_count 8
		.amdhsa_user_sgpr_private_segment_buffer 1
		.amdhsa_user_sgpr_dispatch_ptr 0
		.amdhsa_user_sgpr_queue_ptr 0
		.amdhsa_user_sgpr_kernarg_segment_ptr 1
		.amdhsa_user_sgpr_dispatch_id 0
		.amdhsa_user_sgpr_flat_scratch_init 1
		.amdhsa_user_sgpr_private_segment_size 0
		.amdhsa_uses_dynamic_stack 0
		.amdhsa_system_sgpr_private_segment_wavefront_offset 1
		.amdhsa_system_sgpr_workgroup_id_x 1
		.amdhsa_system_sgpr_workgroup_id_y 1
		.amdhsa_system_sgpr_workgroup_id_z 1
		.amdhsa_system_sgpr_workgroup_info 0
		.amdhsa_system_vgpr_workitem_id 1
		.amdhsa_next_free_vgpr 43
		.amdhsa_next_free_sgpr 76
		.amdhsa_reserve_vcc 1
		.amdhsa_reserve_flat_scratch 1
		.amdhsa_float_round_mode_32 0
		.amdhsa_float_round_mode_16_64 0
		.amdhsa_float_denorm_mode_32 3
		.amdhsa_float_denorm_mode_16_64 3
		.amdhsa_dx10_clamp 1
		.amdhsa_ieee_mode 1
		.amdhsa_fp16_overflow 0
		.amdhsa_exception_fp_ieee_invalid_op 0
		.amdhsa_exception_fp_denorm_src 0
		.amdhsa_exception_fp_ieee_div_zero 0
		.amdhsa_exception_fp_ieee_overflow 0
		.amdhsa_exception_fp_ieee_underflow 0
		.amdhsa_exception_fp_ieee_inexact 0
		.amdhsa_exception_int_div_zero 0
	.end_amdhsa_kernel
	.section	.text._ZN9rocsolver6v33100L17syevj_diag_rotateILb1EffPfEEvbiiT2_iilPT0_Pii,"axG",@progbits,_ZN9rocsolver6v33100L17syevj_diag_rotateILb1EffPfEEvbiiT2_iilPT0_Pii,comdat
.Lfunc_end12:
	.size	_ZN9rocsolver6v33100L17syevj_diag_rotateILb1EffPfEEvbiiT2_iilPT0_Pii, .Lfunc_end12-_ZN9rocsolver6v33100L17syevj_diag_rotateILb1EffPfEEvbiiT2_iilPT0_Pii
                                        ; -- End function
	.set _ZN9rocsolver6v33100L17syevj_diag_rotateILb1EffPfEEvbiiT2_iilPT0_Pii.num_vgpr, max(43, .L__assert_fail.num_vgpr)
	.set _ZN9rocsolver6v33100L17syevj_diag_rotateILb1EffPfEEvbiiT2_iilPT0_Pii.num_agpr, max(0, .L__assert_fail.num_agpr)
	.set _ZN9rocsolver6v33100L17syevj_diag_rotateILb1EffPfEEvbiiT2_iilPT0_Pii.numbered_sgpr, max(76, .L__assert_fail.numbered_sgpr)
	.set _ZN9rocsolver6v33100L17syevj_diag_rotateILb1EffPfEEvbiiT2_iilPT0_Pii.num_named_barrier, max(0, .L__assert_fail.num_named_barrier)
	.set _ZN9rocsolver6v33100L17syevj_diag_rotateILb1EffPfEEvbiiT2_iilPT0_Pii.private_seg_size, 0+max(.L__assert_fail.private_seg_size)
	.set _ZN9rocsolver6v33100L17syevj_diag_rotateILb1EffPfEEvbiiT2_iilPT0_Pii.uses_vcc, or(1, .L__assert_fail.uses_vcc)
	.set _ZN9rocsolver6v33100L17syevj_diag_rotateILb1EffPfEEvbiiT2_iilPT0_Pii.uses_flat_scratch, or(1, .L__assert_fail.uses_flat_scratch)
	.set _ZN9rocsolver6v33100L17syevj_diag_rotateILb1EffPfEEvbiiT2_iilPT0_Pii.has_dyn_sized_stack, or(0, .L__assert_fail.has_dyn_sized_stack)
	.set _ZN9rocsolver6v33100L17syevj_diag_rotateILb1EffPfEEvbiiT2_iilPT0_Pii.has_recursion, or(0, .L__assert_fail.has_recursion)
	.set _ZN9rocsolver6v33100L17syevj_diag_rotateILb1EffPfEEvbiiT2_iilPT0_Pii.has_indirect_call, or(0, .L__assert_fail.has_indirect_call)
	.section	.AMDGPU.csdata,"",@progbits
; Kernel info:
; codeLenInByte = 1396
; TotalNumSgprs: 82
; NumVgprs: 43
; ScratchSize: 64
; MemoryBound: 0
; FloatMode: 240
; IeeeMode: 1
; LDSByteSize: 0 bytes/workgroup (compile time only)
; SGPRBlocks: 10
; VGPRBlocks: 10
; NumSGPRsForWavesPerEU: 82
; NumVGPRsForWavesPerEU: 43
; Occupancy: 5
; WaveLimiterHint : 1
; COMPUTE_PGM_RSRC2:SCRATCH_EN: 1
; COMPUTE_PGM_RSRC2:USER_SGPR: 8
; COMPUTE_PGM_RSRC2:TRAP_HANDLER: 0
; COMPUTE_PGM_RSRC2:TGID_X_EN: 1
; COMPUTE_PGM_RSRC2:TGID_Y_EN: 1
; COMPUTE_PGM_RSRC2:TGID_Z_EN: 1
; COMPUTE_PGM_RSRC2:TIDIG_COMP_CNT: 1
	.section	.text._ZN9rocsolver6v33100L21syevj_offd_kernel_orgIffPfEEviiT1_iilT0_PT_PiS7_S7_,"axG",@progbits,_ZN9rocsolver6v33100L21syevj_offd_kernel_orgIffPfEEviiT1_iilT0_PT_PiS7_S7_,comdat
	.globl	_ZN9rocsolver6v33100L21syevj_offd_kernel_orgIffPfEEviiT1_iilT0_PT_PiS7_S7_ ; -- Begin function _ZN9rocsolver6v33100L21syevj_offd_kernel_orgIffPfEEviiT1_iilT0_PT_PiS7_S7_
	.p2align	8
	.type	_ZN9rocsolver6v33100L21syevj_offd_kernel_orgIffPfEEviiT1_iilT0_PT_PiS7_S7_,@function
_ZN9rocsolver6v33100L21syevj_offd_kernel_orgIffPfEEviiT1_iilT0_PT_PiS7_S7_: ; @_ZN9rocsolver6v33100L21syevj_offd_kernel_orgIffPfEEviiT1_iilT0_PT_PiS7_S7_
; %bb.0:
	s_load_dwordx8 s[8:15], s[4:5], 0x28
	s_mov_b32 s0, s7
	s_ashr_i32 s1, s7, 31
	s_lshl_b64 s[2:3], s[0:1], 2
	s_mov_b32 s7, 0
	s_waitcnt lgkmcnt(0)
	s_add_u32 s2, s14, s2
	s_addc_u32 s3, s15, s3
	s_load_dword s2, s[2:3], 0x4
	s_waitcnt lgkmcnt(0)
	s_cmp_lg_u32 s2, 0
	s_cbranch_scc1 .LBB13_39
; %bb.1:
	s_lshl_b64 s[2:3], s[6:7], 2
	s_add_u32 s10, s10, s2
	s_addc_u32 s11, s11, s3
	s_add_u32 s2, s12, s2
	s_load_dword s7, s[10:11], 0x0
	s_addc_u32 s3, s13, s3
	s_load_dword s10, s[2:3], 0x0
	s_load_dwordx2 s[12:13], s[4:5], 0x0
	s_waitcnt lgkmcnt(0)
	s_max_i32 s31, s7, s10
	s_cmp_ge_i32 s31, s12
	s_cbranch_scc1 .LBB13_39
; %bb.2:
	s_load_dword s11, s[4:5], 0x54
	s_add_u32 s2, s4, 0x48
	s_addc_u32 s3, s5, 0
	s_min_i32 s7, s7, s10
	s_waitcnt lgkmcnt(0)
	s_and_b32 s12, s11, 0xffff
	s_mul_i32 s7, s7, s12
	v_add_u32_e32 v21, s7, v1
	v_cmp_gt_i32_e32 vcc, s13, v21
	s_and_saveexec_b64 s[10:11], vcc
	s_cbranch_execz .LBB13_39
; %bb.3:
	s_cmp_eq_u64 s[8:9], 0
	s_mov_b64 s[14:15], 0
	s_cbranch_scc1 .LBB13_5
; %bb.4:
	s_load_dword s2, s[2:3], 0x0
	s_waitcnt lgkmcnt(0)
	s_mul_i32 s2, s2, s0
	s_add_i32 s2, s2, s6
	s_mul_i32 s2, s2, s12
	s_mul_i32 s2, s2, s12
	s_lshl_b32 s2, s2, 2
	s_ashr_i32 s3, s2, 31
	s_lshl_b64 s[2:3], s[2:3], 2
	s_add_u32 s14, s8, s2
	s_addc_u32 s15, s9, s3
.LBB13_5:
	s_lshl_b32 s6, s12, 1
	v_add_u32_e32 v19, s12, v1
	s_cmp_lg_u64 s[14:15], 0
	v_mul_u32_u24_e32 v22, s6, v1
	s_cselect_b64 s[16:17], -1, 0
	s_cmp_eq_u64 s[14:15], 0
	v_add_lshl_u32 v17, v22, v0, 2
	v_mad_u32_u24 v2, v19, s6, v0
	s_cbranch_scc1 .LBB13_7
; %bb.6:
	v_mov_b32_e32 v3, 0
	v_lshlrev_b64 v[4:5], 2, v[2:3]
	v_cmp_eq_u32_e32 vcc, v0, v1
	v_cndmask_b32_e64 v7, 0, 1.0, vcc
	v_mov_b32_e32 v8, s15
	v_add_co_u32_e32 v4, vcc, s14, v4
	v_add_u32_e32 v6, s12, v0
	v_addc_co_u32_e32 v5, vcc, v8, v5, vcc
	global_store_dword v17, v7, s[14:15]
	global_store_dword v[4:5], v3, off
	v_add_lshl_u32 v4, v22, v6, 2
	global_store_dword v4, v3, s[14:15]
	v_mad_u32_u24 v4, v19, s6, v6
	v_mov_b32_e32 v5, v3
	v_lshlrev_b64 v[3:4], 2, v[4:5]
	v_add_co_u32_e32 v3, vcc, s14, v3
	v_addc_co_u32_e32 v4, vcc, v8, v4, vcc
	global_store_dword v[3:4], v7, off
.LBB13_7:
	s_cmp_eq_u32 s12, 0
	s_cbranch_scc1 .LBB13_39
; %bb.8:
	s_load_dwordx4 s[8:11], s[4:5], 0x8
	s_load_dwordx2 s[2:3], s[4:5], 0x18
	s_lshl_b32 s18, s12, 2
	s_add_i32 s20, s18, 0
	v_add_u32_e32 v4, s7, v0
	s_waitcnt lgkmcnt(0)
	s_ashr_i32 s19, s10, 31
	s_mov_b32 s18, s10
	s_mul_i32 s1, s2, s1
	s_mul_hi_u32 s10, s2, s0
	s_add_i32 s1, s10, s1
	s_mul_i32 s3, s3, s0
	s_add_i32 s1, s1, s3
	s_mul_i32 s0, s2, s0
	s_lshl_b64 s[0:1], s[0:1], 2
	v_mul_lo_u32 v23, v4, s11
	s_add_u32 s2, s8, s0
	s_addc_u32 s3, s9, s1
	s_lshl_b64 s[0:1], s[18:19], 2
	s_add_u32 s10, s2, s0
	s_load_dword s2, s[4:5], 0x20
	v_add_u32_e32 v5, v23, v4
	v_ashrrev_i32_e32 v6, 31, v5
	s_mul_i32 s31, s31, s12
	v_lshlrev_b64 v[5:6], 2, v[5:6]
	v_add_u32_e32 v7, v23, v21
	s_addc_u32 s30, s3, s1
	v_add_u32_e32 v24, s31, v1
	v_ashrrev_i32_e32 v8, 31, v7
	v_mov_b32_e32 v18, 0x800000
	v_mov_b32_e32 v3, s30
	v_add_co_u32_e32 v5, vcc, s10, v5
	v_lshlrev_b64 v[7:8], 2, v[7:8]
	v_add_u32_e32 v9, v23, v24
	s_waitcnt lgkmcnt(0)
	v_div_scale_f32 v15, s[0:1], s2, s2, v18
	v_addc_co_u32_e32 v6, vcc, v3, v6, vcc
	v_ashrrev_i32_e32 v10, 31, v9
	v_add_co_u32_e32 v7, vcc, s10, v7
	v_lshlrev_b64 v[9:10], 2, v[9:10]
	v_addc_co_u32_e32 v8, vcc, v3, v8, vcc
	v_add_co_u32_e32 v9, vcc, s10, v9
	v_addc_co_u32_e32 v10, vcc, v3, v10, vcc
	s_mov_b32 s0, 0x800000
	v_mov_b32_e32 v3, s2
	v_div_scale_f32 v3, vcc, s0, v3, s0
	v_rcp_f32_e32 v16, v15
	v_mul_lo_u32 v25, v21, s11
	v_mul_lo_u32 v26, v24, s11
	v_mov_b32_e32 v13, s30
	v_fma_f32 v27, -v15, v16, 1.0
	v_fmac_f32_e32 v16, v27, v16
	v_add_u32_e32 v11, v25, v4
	v_ashrrev_i32_e32 v12, 31, v11
	v_lshlrev_b64 v[11:12], 2, v[11:12]
	v_mov_b32_e32 v20, s30
	v_add_co_u32_e64 v11, s[0:1], s10, v11
	v_addc_co_u32_e64 v12, s[0:1], v13, v12, s[0:1]
	v_mul_f32_e32 v27, v3, v16
	v_fma_f32 v28, -v15, v27, v3
	v_fmac_f32_e32 v27, v28, v16
	v_cvt_f32_u32_e32 v28, s12
	v_add_u32_e32 v13, v26, v4
	v_fma_f32 v3, -v15, v27, v3
	v_ashrrev_i32_e32 v14, 31, v13
	v_rcp_iflag_f32_e32 v15, v28
	v_lshlrev_b64 v[13:14], 2, v[13:14]
	v_div_fmas_f32 v27, v3, v16, v27
	v_add_co_u32_e32 v13, vcc, s10, v13
	v_mul_f32_e32 v15, 0x4f7ffffe, v15
	v_addc_co_u32_e32 v14, vcc, v20, v14, vcc
	v_cvt_u32_f32_e32 v20, v15
	v_mov_b32_e32 v3, 0
	s_sub_i32 s0, 0, s12
	v_lshlrev_b64 v[15:16], 2, v[2:3]
	v_mul_lo_u32 v2, s0, v20
	v_cmp_eq_u32_e64 s[0:1], 0, v1
	v_mov_b32_e32 v28, s15
	v_add_co_u32_e32 v15, vcc, s14, v15
	v_mul_hi_u32 v1, v20, v2
	v_mul_u32_u24_e32 v30, s6, v19
	v_addc_co_u32_e32 v16, vcc, v28, v16, vcc
	v_add_u32_e32 v1, v20, v1
	v_mad_u64_u32 v[19:20], s[6:7], v0, v1, 0
	v_div_fixup_f32 v27, v27, s2, v18
	v_add_co_u32_e32 v17, vcc, s14, v17
	v_cmp_gt_i32_e64 s[2:3], s13, v4
	v_lshlrev_b32_e32 v2, 2, v0
	v_addc_co_u32_e32 v18, vcc, 0, v28, vcc
	v_add_u32_e32 v28, 0, v2
	v_add_u32_e32 v29, s20, v2
	v_cmp_gt_i32_e64 s[4:5], s13, v24
	s_and_b64 s[18:19], s[0:1], s[2:3]
	s_mov_b32 s33, 0x7f800000
	s_mov_b32 s34, 0xf800000
	;; [unrolled: 1-line block ×3, first 2 shown]
	v_mov_b32_e32 v31, 0x260
	v_mov_b32_e32 v32, 0x7f800000
	;; [unrolled: 1-line block ×3, first 2 shown]
                                        ; implicit-def: $vgpr34
                                        ; implicit-def: $vgpr39
                                        ; implicit-def: $vgpr37
	s_branch .LBB13_10
.LBB13_9:                               ;   in Loop: Header=BB13_10 Depth=1
	s_or_b64 exec, exec, s[6:7]
	s_add_i32 s35, s35, -1
	v_add_co_u32_e32 v19, vcc, v19, v1
	v_add_u32_e32 v0, 1, v0
	s_cmp_lg_u32 s35, 0
	v_addc_co_u32_e32 v20, vcc, 0, v20, vcc
	s_cbranch_scc0 .LBB13_39
.LBB13_10:                              ; =>This Inner Loop Header: Depth=1
	v_mul_lo_u32 v2, s12, v20
	v_not_b32_e32 v35, v20
	v_mad_u64_u32 v[35:36], s[6:7], s12, v35, v[0:1]
	v_sub_u32_e32 v2, v0, v2
	v_cmp_le_u32_e32 vcc, s12, v2
	v_cndmask_b32_e32 v2, v2, v35, vcc
	v_subrev_u32_e32 v35, s12, v2
	v_cmp_le_u32_e32 vcc, s12, v2
	v_cndmask_b32_e32 v2, v2, v35, vcc
	v_add_u32_e32 v35, s31, v2
	v_mul_lo_u32 v36, v35, s11
	v_cmp_gt_i32_e64 s[6:7], s13, v35
	s_and_b64 s[8:9], s[18:19], s[6:7]
	s_and_saveexec_b64 s[20:21], s[8:9]
	s_cbranch_execz .LBB13_26
; %bb.11:                               ;   in Loop: Header=BB13_10 Depth=1
	v_add_u32_e32 v37, v36, v4
	v_ashrrev_i32_e32 v38, 31, v37
	v_lshlrev_b64 v[37:38], 2, v[37:38]
	v_mov_b32_e32 v39, s30
	v_add_co_u32_e32 v37, vcc, s10, v37
	v_addc_co_u32_e32 v38, vcc, v39, v38, vcc
	global_load_dword v38, v[37:38], off
	v_mov_b32_e32 v37, 1.0
	s_waitcnt vmcnt(0)
	v_mul_f32_e32 v39, v38, v38
	v_cmp_nlt_f32_e32 vcc, v39, v27
	v_mov_b32_e32 v39, 0
	s_and_saveexec_b64 s[22:23], vcc
	s_cbranch_execz .LBB13_25
; %bb.12:                               ;   in Loop: Header=BB13_10 Depth=1
	v_add_u32_e32 v39, v36, v35
	v_ashrrev_i32_e32 v40, 31, v39
	v_lshlrev_b64 v[39:40], 2, v[39:40]
	v_mov_b32_e32 v37, s30
	v_add_co_u32_e32 v39, vcc, s10, v39
	v_addc_co_u32_e32 v40, vcc, v37, v40, vcc
	global_load_dword v37, v[39:40], off
	s_nop 0
	global_load_dword v40, v[5:6], off
	v_add_f32_e64 v39, |v38|, |v38|
	s_waitcnt vmcnt(0)
	v_sub_f32_e32 v40, v37, v40
	v_max_f32_e64 v37, |v40|, |v39|
	v_cvt_f64_f32_e32 v[41:42], v37
	v_cmp_ngt_f32_e32 vcc, 0, v40
	v_frexp_exp_i32_f64_e32 v41, v[41:42]
	v_sub_u32_e32 v42, 0, v41
	v_ldexp_f32 v43, |v40|, v42
	v_ldexp_f32 v42, |v39|, v42
	v_mul_f32_e32 v42, v42, v42
	v_fmac_f32_e32 v42, v43, v43
	v_sqrt_f32_e32 v43, v42
                                        ; implicit-def: $vgpr42
	s_and_saveexec_b64 s[8:9], vcc
	s_xor_b64 s[8:9], exec, s[8:9]
; %bb.13:                               ;   in Loop: Header=BB13_10 Depth=1
	v_ldexp_f32 v41, v43, v41
	v_cmp_neq_f32_e32 vcc, s33, v37
	v_cndmask_b32_e32 v42, v32, v41, vcc
                                        ; implicit-def: $vgpr43
                                        ; implicit-def: $vgpr41
                                        ; implicit-def: $vgpr37
; %bb.14:                               ;   in Loop: Header=BB13_10 Depth=1
	s_andn2_saveexec_b64 s[8:9], s[8:9]
; %bb.15:                               ;   in Loop: Header=BB13_10 Depth=1
	v_ldexp_f32 v41, -v43, v41
	v_cmp_neq_f32_e32 vcc, s33, v37
	v_cndmask_b32_e32 v42, v33, v41, vcc
; %bb.16:                               ;   in Loop: Header=BB13_10 Depth=1
	s_or_b64 exec, exec, s[8:9]
	v_mov_b32_e32 v41, 0
	v_cmp_neq_f32_e32 vcc, 0, v39
	v_mov_b32_e32 v37, 1.0
	s_and_saveexec_b64 s[24:25], vcc
	s_cbranch_execz .LBB13_24
; %bb.17:                               ;   in Loop: Header=BB13_10 Depth=1
	v_add_f32_e32 v40, v40, v42
	v_mov_b32_e32 v37, 0
	v_cmp_neq_f32_e32 vcc, 0, v40
	v_mov_b32_e32 v41, 1.0
	s_and_saveexec_b64 s[26:27], vcc
	s_cbranch_execz .LBB13_23
; %bb.18:                               ;   in Loop: Header=BB13_10 Depth=1
	v_cmp_ngt_f32_e64 s[8:9], |v39|, |v40|
                                        ; implicit-def: $vgpr41
                                        ; implicit-def: $vgpr37
	s_and_saveexec_b64 s[28:29], s[8:9]
	s_xor_b64 s[28:29], exec, s[28:29]
	s_cbranch_execz .LBB13_20
; %bb.19:                               ;   in Loop: Header=BB13_10 Depth=1
	v_div_scale_f32 v37, s[8:9], v40, v40, -v39
	v_div_scale_f32 v41, vcc, -v39, v40, -v39
	v_rcp_f32_e32 v42, v37
	v_fma_f32 v43, -v37, v42, 1.0
	v_fmac_f32_e32 v42, v43, v42
	v_mul_f32_e32 v43, v41, v42
	v_fma_f32 v44, -v37, v43, v41
	v_fmac_f32_e32 v43, v44, v42
	v_fma_f32 v37, -v37, v43, v41
	v_div_fmas_f32 v37, v37, v42, v43
	v_div_fixup_f32 v39, v37, v40, -v39
	v_fma_f32 v37, v39, v39, 1.0
	v_mul_f32_e32 v40, 0x4f800000, v37
	v_cmp_gt_f32_e32 vcc, s34, v37
	v_cndmask_b32_e32 v37, v37, v40, vcc
	v_sqrt_f32_e32 v40, v37
	v_add_u32_e32 v41, -1, v40
	v_add_u32_e32 v42, 1, v40
	v_fma_f32 v43, -v41, v40, v37
	v_fma_f32 v44, -v42, v40, v37
	v_cmp_ge_f32_e64 s[8:9], 0, v43
	v_cndmask_b32_e64 v40, v40, v41, s[8:9]
	v_cmp_lt_f32_e64 s[8:9], 0, v44
	v_cndmask_b32_e64 v40, v40, v42, s[8:9]
	v_mul_f32_e32 v41, 0x37800000, v40
	v_cndmask_b32_e32 v40, v40, v41, vcc
	v_cmp_class_f32_e32 vcc, v37, v31
	v_cndmask_b32_e32 v37, v40, v37, vcc
	v_div_scale_f32 v40, s[8:9], v37, v37, 1.0
	v_div_scale_f32 v41, vcc, 1.0, v37, 1.0
	v_rcp_f32_e32 v42, v40
	v_fma_f32 v43, -v40, v42, 1.0
	v_fmac_f32_e32 v42, v43, v42
	v_mul_f32_e32 v43, v41, v42
	v_fma_f32 v44, -v40, v43, v41
	v_fmac_f32_e32 v43, v44, v42
	v_fma_f32 v40, -v40, v43, v41
	v_div_fmas_f32 v40, v40, v42, v43
	v_div_fixup_f32 v37, v40, v37, 1.0
	v_mul_f32_e32 v41, v39, v37
                                        ; implicit-def: $vgpr39
                                        ; implicit-def: $vgpr40
.LBB13_20:                              ;   in Loop: Header=BB13_10 Depth=1
	s_andn2_saveexec_b64 s[28:29], s[28:29]
	s_cbranch_execz .LBB13_22
; %bb.21:                               ;   in Loop: Header=BB13_10 Depth=1
	v_div_scale_f32 v37, s[8:9], v39, v39, -v40
	v_div_scale_f32 v41, vcc, -v40, v39, -v40
	v_rcp_f32_e32 v42, v37
	v_fma_f32 v43, -v37, v42, 1.0
	v_fmac_f32_e32 v42, v43, v42
	v_mul_f32_e32 v43, v41, v42
	v_fma_f32 v44, -v37, v43, v41
	v_fmac_f32_e32 v43, v44, v42
	v_fma_f32 v37, -v37, v43, v41
	v_div_fmas_f32 v37, v37, v42, v43
	v_div_fixup_f32 v37, v37, v39, -v40
	v_fma_f32 v39, v37, v37, 1.0
	v_mul_f32_e32 v40, 0x4f800000, v39
	v_cmp_gt_f32_e32 vcc, s34, v39
	v_cndmask_b32_e32 v39, v39, v40, vcc
	v_sqrt_f32_e32 v40, v39
	v_add_u32_e32 v41, -1, v40
	v_add_u32_e32 v42, 1, v40
	v_fma_f32 v43, -v41, v40, v39
	v_fma_f32 v44, -v42, v40, v39
	v_cmp_ge_f32_e64 s[8:9], 0, v43
	v_cndmask_b32_e64 v40, v40, v41, s[8:9]
	v_cmp_lt_f32_e64 s[8:9], 0, v44
	v_cndmask_b32_e64 v40, v40, v42, s[8:9]
	v_mul_f32_e32 v41, 0x37800000, v40
	v_cndmask_b32_e32 v40, v40, v41, vcc
	v_cmp_class_f32_e32 vcc, v39, v31
	v_cndmask_b32_e32 v39, v40, v39, vcc
	v_div_scale_f32 v40, s[8:9], v39, v39, 1.0
	v_div_scale_f32 v41, vcc, 1.0, v39, 1.0
	v_rcp_f32_e32 v42, v40
	v_fma_f32 v43, -v40, v42, 1.0
	v_fmac_f32_e32 v42, v43, v42
	v_mul_f32_e32 v43, v41, v42
	v_fma_f32 v44, -v40, v43, v41
	v_fmac_f32_e32 v43, v44, v42
	v_fma_f32 v40, -v40, v43, v41
	v_div_fmas_f32 v40, v40, v42, v43
	v_div_fixup_f32 v41, v40, v39, 1.0
	v_mul_f32_e32 v37, v37, v41
.LBB13_22:                              ;   in Loop: Header=BB13_10 Depth=1
	s_or_b64 exec, exec, s[28:29]
.LBB13_23:                              ;   in Loop: Header=BB13_10 Depth=1
	s_or_b64 exec, exec, s[26:27]
.LBB13_24:                              ;   in Loop: Header=BB13_10 Depth=1
	s_or_b64 exec, exec, s[24:25]
	v_mul_f32_e32 v39, v38, v41
	v_and_b32_e32 v40, 0x7fffffff, v38
	v_div_scale_f32 v41, s[8:9], v40, v40, v39
	v_div_scale_f32 v40, vcc, v39, v40, v39
	v_rcp_f32_e32 v42, v41
	v_fma_f32 v43, -v41, v42, 1.0
	v_fmac_f32_e32 v42, v43, v42
	v_mul_f32_e32 v43, v40, v42
	v_fma_f32 v44, -v41, v43, v40
	v_fmac_f32_e32 v43, v44, v42
	v_fma_f32 v40, -v41, v43, v40
	v_div_fmas_f32 v40, v40, v42, v43
	v_div_fixup_f32 v39, v40, |v38|, v39
.LBB13_25:                              ;   in Loop: Header=BB13_10 Depth=1
	s_or_b64 exec, exec, s[22:23]
	ds_write_b32 v28, v37
	ds_write_b32 v29, v39
.LBB13_26:                              ;   in Loop: Header=BB13_10 Depth=1
	s_or_b64 exec, exec, s[20:21]
	s_and_b64 s[8:9], s[2:3], s[6:7]
	s_waitcnt vmcnt(0) lgkmcnt(0)
	s_barrier
	s_and_saveexec_b64 s[20:21], s[8:9]
	s_cbranch_execz .LBB13_34
; %bb.27:                               ;   in Loop: Header=BB13_10 Depth=1
	ds_read_b32 v37, v28
	ds_read_b32 v34, v29
	s_andn2_b64 vcc, exec, s[16:17]
	s_cbranch_vccnz .LBB13_31
; %bb.28:                               ;   in Loop: Header=BB13_10 Depth=1
	v_add_u32_e32 v38, s12, v2
	v_add_u32_e32 v2, v38, v22
	v_lshlrev_b64 v[39:40], 2, v[2:3]
	v_mov_b32_e32 v2, s15
	v_add_co_u32_e32 v39, vcc, s14, v39
	v_addc_co_u32_e32 v40, vcc, v2, v40, vcc
	global_load_dword v2, v[17:18], off
	global_load_dword v41, v[39:40], off
	s_waitcnt vmcnt(1) lgkmcnt(0)
	v_mul_f32_e32 v42, v34, v2
	s_waitcnt vmcnt(0)
	v_mul_f32_e32 v43, v34, v41
	v_fmac_f32_e32 v43, v37, v2
	v_fma_f32 v41, v37, v41, -v42
	global_store_dword v[17:18], v43, off
	global_store_dword v[39:40], v41, off
	s_and_saveexec_b64 s[22:23], s[4:5]
	s_cbranch_execz .LBB13_30
; %bb.29:                               ;   in Loop: Header=BB13_10 Depth=1
	v_add_u32_e32 v2, v38, v30
	v_lshlrev_b64 v[38:39], 2, v[2:3]
	v_mov_b32_e32 v2, s15
	v_add_co_u32_e32 v38, vcc, s14, v38
	v_addc_co_u32_e32 v39, vcc, v2, v39, vcc
	global_load_dword v2, v[15:16], off
	global_load_dword v40, v[38:39], off
	s_waitcnt vmcnt(1)
	v_mul_f32_e32 v41, v34, v2
	s_waitcnt vmcnt(0)
	v_mul_f32_e32 v42, v34, v40
	v_fmac_f32_e32 v42, v37, v2
	v_fma_f32 v40, v37, v40, -v41
	global_store_dword v[15:16], v42, off
	global_store_dword v[38:39], v40, off
.LBB13_30:                              ;   in Loop: Header=BB13_10 Depth=1
	s_or_b64 exec, exec, s[22:23]
.LBB13_31:                              ;   in Loop: Header=BB13_10 Depth=1
	v_add_u32_e32 v38, v36, v21
	v_ashrrev_i32_e32 v39, 31, v38
	v_lshlrev_b64 v[38:39], 2, v[38:39]
	v_mov_b32_e32 v2, s30
	v_add_co_u32_e32 v38, vcc, s10, v38
	v_addc_co_u32_e32 v39, vcc, v2, v39, vcc
	global_load_dword v2, v[7:8], off
	global_load_dword v40, v[38:39], off
	s_waitcnt vmcnt(1) lgkmcnt(0)
	v_mul_f32_e32 v41, v34, v2
	s_waitcnt vmcnt(0)
	v_mul_f32_e32 v42, v34, v40
	v_fmac_f32_e32 v42, v37, v2
	v_fma_f32 v40, v37, v40, -v41
	global_store_dword v[7:8], v42, off
	global_store_dword v[38:39], v40, off
	s_and_saveexec_b64 s[22:23], s[4:5]
	s_cbranch_execz .LBB13_33
; %bb.32:                               ;   in Loop: Header=BB13_10 Depth=1
	v_add_u32_e32 v38, v36, v24
	v_ashrrev_i32_e32 v39, 31, v38
	v_lshlrev_b64 v[38:39], 2, v[38:39]
	v_mov_b32_e32 v2, s30
	v_add_co_u32_e32 v38, vcc, s10, v38
	v_addc_co_u32_e32 v39, vcc, v2, v39, vcc
	global_load_dword v2, v[9:10], off
	global_load_dword v36, v[38:39], off
	s_waitcnt vmcnt(1)
	v_mul_f32_e32 v40, v34, v2
	s_waitcnt vmcnt(0)
	v_mul_f32_e32 v41, v34, v36
	v_fmac_f32_e32 v41, v37, v2
	v_fma_f32 v36, v37, v36, -v40
	global_store_dword v[9:10], v41, off
	global_store_dword v[38:39], v36, off
.LBB13_33:                              ;   in Loop: Header=BB13_10 Depth=1
	s_or_b64 exec, exec, s[22:23]
	v_mov_b32_e32 v39, v34
.LBB13_34:                              ;   in Loop: Header=BB13_10 Depth=1
	s_or_b64 exec, exec, s[20:21]
	s_waitcnt vmcnt(0)
	s_barrier
	s_and_saveexec_b64 s[20:21], s[8:9]
	s_cbranch_execz .LBB13_37
; %bb.35:                               ;   in Loop: Header=BB13_10 Depth=1
	v_add_u32_e32 v40, v35, v25
	v_ashrrev_i32_e32 v41, 31, v40
	v_lshlrev_b64 v[40:41], 2, v[40:41]
	v_mov_b32_e32 v2, s30
	v_add_co_u32_e32 v40, vcc, s10, v40
	v_addc_co_u32_e32 v41, vcc, v2, v41, vcc
	global_load_dword v2, v[11:12], off
	global_load_dword v36, v[40:41], off
	s_waitcnt vmcnt(1)
	v_mul_f32_e32 v38, v34, v2
	s_waitcnt vmcnt(0)
	v_mul_f32_e32 v42, v39, v36
	v_fmac_f32_e32 v42, v37, v2
	v_fma_f32 v36, v37, v36, -v38
	global_store_dword v[11:12], v42, off
	global_store_dword v[40:41], v36, off
	s_and_b64 exec, exec, s[4:5]
	s_cbranch_execz .LBB13_37
; %bb.36:                               ;   in Loop: Header=BB13_10 Depth=1
	v_add_u32_e32 v40, v35, v26
	v_ashrrev_i32_e32 v41, 31, v40
	v_lshlrev_b64 v[40:41], 2, v[40:41]
	v_mov_b32_e32 v2, s30
	v_add_co_u32_e32 v40, vcc, s10, v40
	v_addc_co_u32_e32 v41, vcc, v2, v41, vcc
	global_load_dword v2, v[13:14], off
	global_load_dword v36, v[40:41], off
	s_waitcnt vmcnt(1)
	v_mul_f32_e32 v38, v34, v2
	s_waitcnt vmcnt(0)
	v_mul_f32_e32 v42, v39, v36
	v_fmac_f32_e32 v42, v37, v2
	v_fma_f32 v36, v37, v36, -v38
	global_store_dword v[13:14], v42, off
	global_store_dword v[40:41], v36, off
.LBB13_37:                              ;   in Loop: Header=BB13_10 Depth=1
	s_or_b64 exec, exec, s[20:21]
	s_and_b64 s[8:9], s[0:1], s[6:7]
	s_waitcnt vmcnt(0)
	s_barrier
	s_and_saveexec_b64 s[6:7], s[8:9]
	s_cbranch_execz .LBB13_9
; %bb.38:                               ;   in Loop: Header=BB13_10 Depth=1
	v_mad_u64_u32 v[40:41], s[8:9], v35, s11, v[4:5]
	v_add_u32_e32 v35, v35, v23
	v_ashrrev_i32_e32 v36, 31, v35
	v_ashrrev_i32_e32 v41, 31, v40
	v_lshlrev_b64 v[40:41], 2, v[40:41]
	v_mov_b32_e32 v2, s30
	v_add_co_u32_e32 v40, vcc, s10, v40
	v_lshlrev_b64 v[35:36], 2, v[35:36]
	v_addc_co_u32_e32 v41, vcc, v2, v41, vcc
	v_add_co_u32_e32 v35, vcc, s10, v35
	v_addc_co_u32_e32 v36, vcc, v2, v36, vcc
	global_store_dword v[40:41], v3, off
	global_store_dword v[35:36], v3, off
	s_branch .LBB13_9
.LBB13_39:
	s_endpgm
	.section	.rodata,"a",@progbits
	.p2align	6, 0x0
	.amdhsa_kernel _ZN9rocsolver6v33100L21syevj_offd_kernel_orgIffPfEEviiT1_iilT0_PT_PiS7_S7_
		.amdhsa_group_segment_fixed_size 0
		.amdhsa_private_segment_fixed_size 0
		.amdhsa_kernarg_size 328
		.amdhsa_user_sgpr_count 6
		.amdhsa_user_sgpr_private_segment_buffer 1
		.amdhsa_user_sgpr_dispatch_ptr 0
		.amdhsa_user_sgpr_queue_ptr 0
		.amdhsa_user_sgpr_kernarg_segment_ptr 1
		.amdhsa_user_sgpr_dispatch_id 0
		.amdhsa_user_sgpr_flat_scratch_init 0
		.amdhsa_user_sgpr_private_segment_size 0
		.amdhsa_uses_dynamic_stack 0
		.amdhsa_system_sgpr_private_segment_wavefront_offset 0
		.amdhsa_system_sgpr_workgroup_id_x 1
		.amdhsa_system_sgpr_workgroup_id_y 0
		.amdhsa_system_sgpr_workgroup_id_z 1
		.amdhsa_system_sgpr_workgroup_info 0
		.amdhsa_system_vgpr_workitem_id 1
		.amdhsa_next_free_vgpr 45
		.amdhsa_next_free_sgpr 36
		.amdhsa_reserve_vcc 1
		.amdhsa_reserve_flat_scratch 0
		.amdhsa_float_round_mode_32 0
		.amdhsa_float_round_mode_16_64 0
		.amdhsa_float_denorm_mode_32 3
		.amdhsa_float_denorm_mode_16_64 3
		.amdhsa_dx10_clamp 1
		.amdhsa_ieee_mode 1
		.amdhsa_fp16_overflow 0
		.amdhsa_exception_fp_ieee_invalid_op 0
		.amdhsa_exception_fp_denorm_src 0
		.amdhsa_exception_fp_ieee_div_zero 0
		.amdhsa_exception_fp_ieee_overflow 0
		.amdhsa_exception_fp_ieee_underflow 0
		.amdhsa_exception_fp_ieee_inexact 0
		.amdhsa_exception_int_div_zero 0
	.end_amdhsa_kernel
	.section	.text._ZN9rocsolver6v33100L21syevj_offd_kernel_orgIffPfEEviiT1_iilT0_PT_PiS7_S7_,"axG",@progbits,_ZN9rocsolver6v33100L21syevj_offd_kernel_orgIffPfEEviiT1_iilT0_PT_PiS7_S7_,comdat
.Lfunc_end13:
	.size	_ZN9rocsolver6v33100L21syevj_offd_kernel_orgIffPfEEviiT1_iilT0_PT_PiS7_S7_, .Lfunc_end13-_ZN9rocsolver6v33100L21syevj_offd_kernel_orgIffPfEEviiT1_iilT0_PT_PiS7_S7_
                                        ; -- End function
	.set _ZN9rocsolver6v33100L21syevj_offd_kernel_orgIffPfEEviiT1_iilT0_PT_PiS7_S7_.num_vgpr, 45
	.set _ZN9rocsolver6v33100L21syevj_offd_kernel_orgIffPfEEviiT1_iilT0_PT_PiS7_S7_.num_agpr, 0
	.set _ZN9rocsolver6v33100L21syevj_offd_kernel_orgIffPfEEviiT1_iilT0_PT_PiS7_S7_.numbered_sgpr, 36
	.set _ZN9rocsolver6v33100L21syevj_offd_kernel_orgIffPfEEviiT1_iilT0_PT_PiS7_S7_.num_named_barrier, 0
	.set _ZN9rocsolver6v33100L21syevj_offd_kernel_orgIffPfEEviiT1_iilT0_PT_PiS7_S7_.private_seg_size, 0
	.set _ZN9rocsolver6v33100L21syevj_offd_kernel_orgIffPfEEviiT1_iilT0_PT_PiS7_S7_.uses_vcc, 1
	.set _ZN9rocsolver6v33100L21syevj_offd_kernel_orgIffPfEEviiT1_iilT0_PT_PiS7_S7_.uses_flat_scratch, 0
	.set _ZN9rocsolver6v33100L21syevj_offd_kernel_orgIffPfEEviiT1_iilT0_PT_PiS7_S7_.has_dyn_sized_stack, 0
	.set _ZN9rocsolver6v33100L21syevj_offd_kernel_orgIffPfEEviiT1_iilT0_PT_PiS7_S7_.has_recursion, 0
	.set _ZN9rocsolver6v33100L21syevj_offd_kernel_orgIffPfEEviiT1_iilT0_PT_PiS7_S7_.has_indirect_call, 0
	.section	.AMDGPU.csdata,"",@progbits
; Kernel info:
; codeLenInByte = 2688
; TotalNumSgprs: 40
; NumVgprs: 45
; ScratchSize: 0
; MemoryBound: 0
; FloatMode: 240
; IeeeMode: 1
; LDSByteSize: 0 bytes/workgroup (compile time only)
; SGPRBlocks: 4
; VGPRBlocks: 11
; NumSGPRsForWavesPerEU: 40
; NumVGPRsForWavesPerEU: 45
; Occupancy: 5
; WaveLimiterHint : 0
; COMPUTE_PGM_RSRC2:SCRATCH_EN: 0
; COMPUTE_PGM_RSRC2:USER_SGPR: 6
; COMPUTE_PGM_RSRC2:TRAP_HANDLER: 0
; COMPUTE_PGM_RSRC2:TGID_X_EN: 1
; COMPUTE_PGM_RSRC2:TGID_Y_EN: 0
; COMPUTE_PGM_RSRC2:TGID_Z_EN: 1
; COMPUTE_PGM_RSRC2:TIDIG_COMP_CNT: 1
	.section	.text._ZN9rocsolver6v33100L17syevj_offd_kernelIffPfEEviiT1_iilT0_PT_PiS7_S7_i,"axG",@progbits,_ZN9rocsolver6v33100L17syevj_offd_kernelIffPfEEviiT1_iilT0_PT_PiS7_S7_i,comdat
	.globl	_ZN9rocsolver6v33100L17syevj_offd_kernelIffPfEEviiT1_iilT0_PT_PiS7_S7_i ; -- Begin function _ZN9rocsolver6v33100L17syevj_offd_kernelIffPfEEviiT1_iilT0_PT_PiS7_S7_i
	.p2align	8
	.type	_ZN9rocsolver6v33100L17syevj_offd_kernelIffPfEEviiT1_iilT0_PT_PiS7_S7_i,@function
_ZN9rocsolver6v33100L17syevj_offd_kernelIffPfEEviiT1_iilT0_PT_PiS7_S7_i: ; @_ZN9rocsolver6v33100L17syevj_offd_kernelIffPfEEviiT1_iilT0_PT_PiS7_S7_i
; %bb.0:
	s_mov_b32 s20, s7
	s_load_dwordx2 s[22:23], s[4:5], 0x0
	s_load_dword s7, s[4:5], 0x48
	s_waitcnt lgkmcnt(0)
	s_abs_i32 s0, s22
	v_cvt_f32_u32_e32 v2, s0
	s_cmp_ge_u32 s20, s7
	v_rcp_iflag_f32_e32 v2, v2
	v_mul_f32_e32 v2, 0x4f7ffffe, v2
	v_cvt_u32_f32_e32 v2, v2
	v_readfirstlane_b32 s1, v2
	s_cbranch_scc1 .LBB14_82
; %bb.1:
	s_sub_i32 s8, 0, s0
	s_mov_b64 s[2:3], src_shared_base
	s_mul_i32 s8, s8, s1
	s_add_i32 s2, s23, -1
	s_mul_hi_u32 s8, s1, s8
	s_ashr_i32 s21, s2, 31
	s_abs_i32 s2, s2
	s_add_i32 s1, s1, s8
	s_mul_hi_u32 s1, s2, s1
	s_mul_i32 s28, s1, s0
	s_ashr_i32 s31, s22, 31
	s_sub_i32 s2, s2, s28
	s_load_dwordx4 s[8:11], s[4:5], 0x8
	s_load_dwordx2 s[26:27], s[4:5], 0x18
	s_load_dword s24, s[4:5], 0x20
	s_load_dwordx8 s[12:19], s[4:5], 0x28
	s_xor_b32 s21, s21, s31
	s_add_i32 s28, s1, 1
	s_sub_i32 s29, s2, s0
	s_cmp_ge_u32 s2, s0
	s_cselect_b32 s1, s28, s1
	s_cselect_b32 s2, s29, s2
	s_add_i32 s28, s1, 1
	v_mov_b32_e32 v4, 0x800000
	s_cmp_ge_u32 s2, s0
	s_mov_b32 s65, s3
	s_waitcnt lgkmcnt(0)
	v_div_scale_f32 v5, s[2:3], s24, s24, v4
	s_cselect_b32 s0, s28, s1
	s_load_dword s60, s[4:5], 0x50
	s_load_dwordx2 s[28:29], s[4:5], 0x58
	s_mov_b32 s4, 0x800000
	v_mov_b32_e32 v2, s24
	v_div_scale_f32 v6, vcc, s4, v2, s4
	s_xor_b32 s0, s0, s21
	s_sub_i32 s33, s0, s21
	s_add_i32 s0, s33, 1
	s_lshr_b32 s1, s0, 31
	s_add_i32 s1, s0, s1
	s_and_b32 s1, s1, -2
	s_sub_i32 s1, s0, s1
	s_add_i32 s0, s1, s0
	v_rcp_f32_e32 v7, v5
	s_lshr_b32 s1, s0, 31
	s_add_i32 s0, s0, s1
	s_lshl_b32 s63, s22, 2
	v_fma_f32 v8, -v5, v7, 1.0
	v_fmac_f32_e32 v7, v8, v7
	v_mul_f32_e32 v8, v6, v7
	v_fma_f32 v9, -v5, v8, v6
	v_fmac_f32_e32 v8, v9, v7
	v_fma_f32 v5, -v5, v8, v6
	v_cvt_f32_u32_e32 v6, s22
	s_lshl_b32 s66, s22, 1
	s_ashr_i32 s61, s0, 1
	s_mov_b32 s30, s22
	s_add_i32 s0, s63, 0
	s_mul_hi_i32 s3, s66, s66
	s_mul_i32 s2, s66, s66
	s_waitcnt lgkmcnt(0)
	s_lshr_b32 s62, s29, 16
	s_and_b32 s29, s29, 0xffff
	s_add_i32 s64, s0, s63
	s_lshl_b64 s[0:1], s[30:31], 3
	s_lshl_b64 s[2:3], s[2:3], 2
	s_add_u32 s0, s2, s0
	s_mul_i32 s4, s22, s22
	v_rcp_iflag_f32_e32 v6, v6
	s_addc_u32 s1, s3, s1
	s_ashr_i32 s3, s10, 31
	s_lshl_b32 s67, s4, 2
	s_cmp_lt_u32 s6, s61
	s_mul_i32 s4, s33, s22
	v_div_fmas_f32 v5, v5, v7, v8
	s_cselect_b64 s[30:31], -1, 0
	s_sub_i32 s68, s23, s4
	s_cmp_lg_u64 s[12:13], 0
	v_mul_f32_e32 v6, 0x4f7ffffe, v6
	s_mov_b32 s2, s10
	s_cselect_b64 s[34:35], -1, 0
	s_cmp_gt_i32 s22, 0
	v_cvt_u32_f32_e32 v6, v6
	s_cselect_b64 s[36:37], -1, 0
	s_ashr_i32 s69, s11, 31
	s_lshl_b64 s[2:3], s[2:3], 2
	s_add_u32 s70, s8, s2
	s_addc_u32 s71, s9, s3
	s_sub_i32 s72, 0, s22
	v_mul_lo_u32 v7, s72, v6
	v_mov_b32_e32 v2, 0x10001
	v_mov_b32_e32 v3, 0
	v_cmp_lt_u64_e64 s[0:1], s[0:1], v[2:3]
	v_mul_hi_u32 v2, v6, v7
	v_div_fixup_f32 v8, v5, s24, v4
	v_mul_lo_u32 v4, v1, s22
	s_mul_i32 s8, s22, s62
	v_add_u32_e32 v9, v6, v2
	v_add_u32_e32 v2, s22, v1
	v_mul_lo_u32 v2, s22, v2
	s_mov_b32 s25, 0
	v_cmp_gt_u32_e64 s[2:3], s22, v1
	v_cmp_gt_u32_e64 s[4:5], s22, v0
	s_mov_b32 s73, s11
	v_mov_b32_e32 v3, 0
	v_lshlrev_b32_e32 v10, 1, v4
	s_lshl_b32 s74, s8, 1
	v_lshl_add_u32 v11, v0, 2, 0
	s_lshl_b32 s75, s29, 2
	v_lshl_add_u32 v12, v2, 1, v0
	s_mov_b32 s76, 0x7f800000
	s_mov_b32 s77, 0xf800000
	v_mov_b32_e32 v13, 0x260
	s_branch .LBB14_3
.LBB14_2:                               ;   in Loop: Header=BB14_3 Depth=1
	s_add_i32 s20, s20, s28
	s_cmp_ge_u32 s20, s7
	s_cbranch_scc1 .LBB14_82
.LBB14_3:                               ; =>This Loop Header: Depth=1
                                        ;     Child Loop BB14_8 Depth 2
                                        ;       Child Loop BB14_16 Depth 3
                                        ;         Child Loop BB14_18 Depth 4
                                        ;       Child Loop BB14_23 Depth 3
                                        ;         Child Loop BB14_26 Depth 4
                                        ;           Child Loop BB14_33 Depth 5
                                        ;         Child Loop BB14_48 Depth 4
                                        ;           Child Loop BB14_51 Depth 5
	;; [unrolled: 2-line block ×4, first 2 shown]
                                        ;       Child Loop BB14_79 Depth 3
                                        ;         Child Loop BB14_81 Depth 4
	s_mov_b32 s21, s25
	s_lshl_b64 s[8:9], s[20:21], 2
	s_add_u32 s8, s18, s8
	s_addc_u32 s9, s19, s9
	global_load_dword v2, v3, s[8:9] offset:4
	s_waitcnt vmcnt(0)
	v_cmp_ne_u32_e32 vcc, 0, v2
	s_cbranch_vccnz .LBB14_2
; %bb.4:                                ;   in Loop: Header=BB14_3 Depth=1
	s_andn2_b64 vcc, exec, s[30:31]
	s_cbranch_vccnz .LBB14_2
; %bb.5:                                ;   in Loop: Header=BB14_3 Depth=1
	s_mul_i32 s8, s27, s20
	s_mul_hi_u32 s9, s26, s20
	s_add_i32 s9, s9, s8
	s_mul_i32 s8, s26, s20
	s_lshl_b64 s[8:9], s[8:9], 2
	s_add_u32 s21, s70, s8
	s_addc_u32 s78, s71, s9
	s_mul_i32 s79, s20, s61
	s_mov_b32 s24, s6
	s_branch .LBB14_8
.LBB14_6:                               ;   in Loop: Header=BB14_8 Depth=2
	s_or_b64 exec, exec, s[10:11]
	s_waitcnt vmcnt(0)
	s_barrier
.LBB14_7:                               ;   in Loop: Header=BB14_8 Depth=2
	s_add_i32 s24, s24, s60
	s_cmp_lt_u32 s24, s61
	s_cbranch_scc0 .LBB14_2
.LBB14_8:                               ;   Parent Loop BB14_3 Depth=1
                                        ; =>  This Loop Header: Depth=2
                                        ;       Child Loop BB14_16 Depth 3
                                        ;         Child Loop BB14_18 Depth 4
                                        ;       Child Loop BB14_23 Depth 3
                                        ;         Child Loop BB14_26 Depth 4
                                        ;           Child Loop BB14_33 Depth 5
                                        ;         Child Loop BB14_48 Depth 4
                                        ;           Child Loop BB14_51 Depth 5
	;; [unrolled: 2-line block ×4, first 2 shown]
                                        ;       Child Loop BB14_79 Depth 3
                                        ;         Child Loop BB14_81 Depth 4
	s_lshl_b64 s[8:9], s[24:25], 2
	s_add_u32 s10, s14, s8
	s_addc_u32 s11, s15, s9
	s_add_u32 s8, s16, s8
	s_addc_u32 s9, s17, s9
	global_load_dword v2, v3, s[10:11]
	global_load_dword v4, v3, s[8:9]
	s_waitcnt vmcnt(1)
	v_readfirstlane_b32 s8, v2
	s_waitcnt vmcnt(0)
	v_readfirstlane_b32 s9, v4
	s_max_i32 s82, s8, s9
	s_cmp_gt_i32 s82, s33
	s_cbranch_scc1 .LBB14_7
; %bb.9:                                ;   in Loop: Header=BB14_8 Depth=2
	s_andn2_b64 vcc, exec, s[34:35]
	s_cbranch_vccnz .LBB14_11
; %bb.10:                               ;   in Loop: Header=BB14_8 Depth=2
	s_add_i32 s8, s24, s79
	s_mul_i32 s8, s67, s8
	s_mov_b32 s9, s25
	s_lshl_b64 s[8:9], s[8:9], 2
	s_add_u32 s38, s12, s8
	s_addc_u32 s39, s13, s9
	s_branch .LBB14_12
.LBB14_11:                              ;   in Loop: Header=BB14_8 Depth=2
	s_mov_b64 s[38:39], 0
.LBB14_12:                              ;   in Loop: Header=BB14_8 Depth=2
	v_min_i32_e32 v4, v4, v2
	v_mov_b32_e32 v2, s22
	v_mov_b32_e32 v5, s68
	v_cmp_eq_u32_e32 vcc, s33, v4
	s_cmp_eq_u32 s82, s33
	v_cndmask_b32_e32 v2, v2, v5, vcc
	s_cselect_b32 s8, s68, s22
	v_add_u32_e32 v14, s8, v2
	s_and_b64 s[8:9], s[0:1], exec
	s_cselect_b32 s80, s65, s39
	s_cselect_b32 s81, s64, s38
	s_cmp_lg_u64 s[38:39], 0
	s_cselect_b64 s[40:41], -1, 0
	s_cmp_eq_u64 s[38:39], 0
	v_cmp_lt_u32_e32 vcc, v1, v14
	s_cbranch_scc1 .LBB14_20
; %bb.13:                               ;   in Loop: Header=BB14_8 Depth=2
	s_barrier
	s_and_saveexec_b64 s[10:11], vcc
	s_cbranch_execz .LBB14_19
; %bb.14:                               ;   in Loop: Header=BB14_8 Depth=2
	v_cmp_lt_u32_e32 vcc, v0, v14
	s_mov_b64 s[42:43], 0
	v_mov_b32_e32 v5, v10
	v_mov_b32_e32 v6, v1
	s_branch .LBB14_16
.LBB14_15:                              ;   in Loop: Header=BB14_16 Depth=3
	s_or_b64 exec, exec, s[44:45]
	v_add_u32_e32 v6, s62, v6
	v_cmp_ge_u32_e64 s[8:9], v6, v14
	s_or_b64 s[42:43], s[8:9], s[42:43]
	v_add_u32_e32 v5, s74, v5
	s_andn2_b64 exec, exec, s[42:43]
	s_cbranch_execz .LBB14_19
.LBB14_16:                              ;   Parent Loop BB14_3 Depth=1
                                        ;     Parent Loop BB14_8 Depth=2
                                        ; =>    This Loop Header: Depth=3
                                        ;         Child Loop BB14_18 Depth 4
	s_and_saveexec_b64 s[44:45], vcc
	s_cbranch_execz .LBB14_15
; %bb.17:                               ;   in Loop: Header=BB14_16 Depth=3
	s_mov_b64 s[46:47], 0
	v_mov_b32_e32 v7, v0
.LBB14_18:                              ;   Parent Loop BB14_3 Depth=1
                                        ;     Parent Loop BB14_8 Depth=2
                                        ;       Parent Loop BB14_16 Depth=3
                                        ; =>      This Inner Loop Header: Depth=4
	v_add_u32_e32 v2, v5, v7
	v_cmp_eq_u32_e64 s[8:9], v6, v7
	v_add_u32_e32 v7, s29, v7
	v_lshlrev_b64 v[15:16], 2, v[2:3]
	v_cndmask_b32_e64 v17, 0, 1.0, s[8:9]
	v_cmp_ge_u32_e64 s[8:9], v7, v14
	v_mov_b32_e32 v18, s80
	s_or_b64 s[46:47], s[8:9], s[46:47]
	v_add_co_u32_e64 v15, s[8:9], s81, v15
	v_addc_co_u32_e64 v16, s[8:9], v18, v16, s[8:9]
	flat_store_dword v[15:16], v17
	s_andn2_b64 exec, exec, s[46:47]
	s_cbranch_execnz .LBB14_18
	s_branch .LBB14_15
.LBB14_19:                              ;   in Loop: Header=BB14_8 Depth=2
	s_or_b64 exec, exec, s[10:11]
	s_waitcnt vmcnt(0) lgkmcnt(0)
	s_barrier
.LBB14_20:                              ;   in Loop: Header=BB14_8 Depth=2
	s_andn2_b64 vcc, exec, s[36:37]
	s_cbranch_vccnz .LBB14_75
; %bb.21:                               ;   in Loop: Header=BB14_8 Depth=2
	v_mul_lo_u32 v15, v4, s22
	s_mul_i32 s82, s82, s22
	s_mov_b32 s83, 0
	v_mov_b32_e32 v17, v0
	v_add_u32_e32 v16, v0, v15
	s_branch .LBB14_23
.LBB14_22:                              ;   in Loop: Header=BB14_23 Depth=3
	s_or_b64 exec, exec, s[10:11]
	s_add_i32 s83, s83, 1
	s_cmp_eq_u32 s83, s22
	v_add_u32_e32 v17, 1, v17
	s_cbranch_scc1 .LBB14_75
.LBB14_23:                              ;   Parent Loop BB14_3 Depth=1
                                        ;     Parent Loop BB14_8 Depth=2
                                        ; =>    This Loop Header: Depth=3
                                        ;         Child Loop BB14_26 Depth 4
                                        ;           Child Loop BB14_33 Depth 5
                                        ;         Child Loop BB14_48 Depth 4
                                        ;           Child Loop BB14_51 Depth 5
	;; [unrolled: 2-line block ×4, first 2 shown]
	s_and_saveexec_b64 s[42:43], s[2:3]
	s_cbranch_execz .LBB14_45
; %bb.24:                               ;   in Loop: Header=BB14_23 Depth=3
	s_mov_b64 s[44:45], 0
	v_mov_b32_e32 v18, v1
	s_branch .LBB14_26
.LBB14_25:                              ;   in Loop: Header=BB14_26 Depth=4
	s_or_b64 exec, exec, s[46:47]
	v_add_u32_e32 v18, s62, v18
	v_cmp_le_u32_e32 vcc, s22, v18
	s_or_b64 s[44:45], vcc, s[44:45]
	s_andn2_b64 exec, exec, s[44:45]
	s_cbranch_execz .LBB14_45
.LBB14_26:                              ;   Parent Loop BB14_3 Depth=1
                                        ;     Parent Loop BB14_8 Depth=2
                                        ;       Parent Loop BB14_23 Depth=3
                                        ; =>      This Loop Header: Depth=4
                                        ;           Child Loop BB14_33 Depth 5
	s_and_saveexec_b64 s[46:47], s[4:5]
	s_cbranch_execz .LBB14_25
; %bb.27:                               ;   in Loop: Header=BB14_26 Depth=4
	s_mov_b32 s84, 0
	v_cmp_eq_u32_e64 s[8:9], 0, v18
	s_mov_b64 s[48:49], 0
	v_mov_b32_e32 v19, v11
	v_mov_b32_e32 v20, v17
	s_branch .LBB14_33
.LBB14_28:                              ;   in Loop: Header=BB14_33 Depth=5
	s_or_b64 exec, exec, s[58:59]
.LBB14_29:                              ;   in Loop: Header=BB14_33 Depth=5
	s_or_b64 exec, exec, s[56:57]
.LBB14_30:                              ;   in Loop: Header=BB14_33 Depth=5
	s_or_b64 exec, exec, s[54:55]
	v_mul_f32_e32 v2, v21, v6
	v_and_b32_e32 v4, 0x7fffffff, v21
	v_div_scale_f32 v6, s[10:11], v4, v4, v2
	v_div_scale_f32 v4, vcc, v2, v4, v2
	v_rcp_f32_e32 v7, v6
	v_fma_f32 v22, -v6, v7, 1.0
	v_fmac_f32_e32 v7, v22, v7
	v_mul_f32_e32 v22, v4, v7
	v_fma_f32 v23, -v6, v22, v4
	v_fmac_f32_e32 v22, v23, v7
	v_fma_f32 v4, -v6, v22, v4
	v_div_fmas_f32 v4, v4, v7, v22
	v_div_fixup_f32 v24, v4, |v21|, v2
.LBB14_31:                              ;   in Loop: Header=BB14_33 Depth=5
	s_or_b64 exec, exec, s[52:53]
	v_add_u32_e32 v2, s63, v19
	ds_write_b32 v19, v5
	ds_write_b32 v2, v24
.LBB14_32:                              ;   in Loop: Header=BB14_33 Depth=5
	s_or_b64 exec, exec, s[50:51]
	s_add_i32 s84, s84, s29
	v_add_u32_e32 v2, s84, v0
	v_cmp_le_u32_e32 vcc, s22, v2
	v_add_u32_e32 v20, s29, v20
	s_or_b64 s[48:49], vcc, s[48:49]
	v_add_u32_e32 v19, s75, v19
	s_andn2_b64 exec, exec, s[48:49]
	s_cbranch_execz .LBB14_25
.LBB14_33:                              ;   Parent Loop BB14_3 Depth=1
                                        ;     Parent Loop BB14_8 Depth=2
                                        ;       Parent Loop BB14_23 Depth=3
                                        ;         Parent Loop BB14_26 Depth=4
                                        ; =>        This Inner Loop Header: Depth=5
	v_mul_hi_u32 v4, v9, v20
	v_add_u32_e32 v6, s84, v0
	v_add_u32_e32 v2, s84, v16
	v_mul_lo_u32 v5, s22, v4
	v_not_b32_e32 v4, v4
	v_mul_lo_u32 v4, s22, v4
	v_sub_u32_e32 v5, s83, v5
	v_add_u32_e32 v5, v6, v5
	v_add3_u32 v4, s83, v4, v6
	v_cmp_le_u32_e32 vcc, s22, v5
	v_cndmask_b32_e32 v4, v5, v4, vcc
	v_subrev_u32_e32 v5, s22, v4
	v_cmp_le_u32_e32 vcc, s22, v4
	v_cndmask_b32_e32 v4, v4, v5, vcc
	v_add_u32_e32 v4, s82, v4
	v_cmp_gt_u32_e32 vcc, s23, v2
	s_and_b64 s[10:11], s[8:9], vcc
	v_cmp_gt_u32_e32 vcc, s23, v4
	s_and_b64 s[10:11], s[10:11], vcc
	s_and_saveexec_b64 s[50:51], s[10:11]
	s_cbranch_execz .LBB14_32
; %bb.34:                               ;   in Loop: Header=BB14_33 Depth=5
	v_mad_u64_u32 v[21:22], s[10:11], v4, s73, 0
	v_mov_b32_e32 v24, s78
	v_mov_b32_e32 v5, v22
	v_mad_u64_u32 v[5:6], s[10:11], v4, s69, v[5:6]
	v_lshlrev_b64 v[6:7], 2, v[2:3]
	v_mov_b32_e32 v22, v5
	v_lshlrev_b64 v[22:23], 2, v[21:22]
	v_mov_b32_e32 v5, 1.0
	v_add_co_u32_e32 v22, vcc, s21, v22
	v_addc_co_u32_e32 v23, vcc, v24, v23, vcc
	v_add_co_u32_e32 v24, vcc, v22, v6
	v_addc_co_u32_e32 v25, vcc, v23, v7, vcc
	global_load_dword v21, v[24:25], off
	s_waitcnt vmcnt(0)
	v_mul_f32_e32 v24, v21, v21
	v_cmp_nlt_f32_e32 vcc, v24, v8
	v_mov_b32_e32 v24, 0
	s_and_saveexec_b64 s[52:53], vcc
	s_cbranch_execz .LBB14_31
; %bb.35:                               ;   in Loop: Header=BB14_33 Depth=5
	v_mad_u64_u32 v[24:25], s[10:11], v2, s73, 0
	v_mov_b32_e32 v5, v3
	v_lshlrev_b64 v[4:5], 2, v[4:5]
	v_mad_u64_u32 v[25:26], s[10:11], v2, s69, v[25:26]
	v_add_co_u32_e32 v4, vcc, v22, v4
	v_addc_co_u32_e32 v5, vcc, v23, v5, vcc
	v_lshlrev_b64 v[22:23], 2, v[24:25]
	v_mov_b32_e32 v2, s78
	v_add_co_u32_e32 v22, vcc, s21, v22
	v_addc_co_u32_e32 v2, vcc, v2, v23, vcc
	v_add_co_u32_e32 v6, vcc, v22, v6
	v_addc_co_u32_e32 v7, vcc, v2, v7, vcc
	global_load_dword v4, v[4:5], off
	s_nop 0
	global_load_dword v5, v[6:7], off
	v_add_f32_e64 v2, |v21|, |v21|
	s_waitcnt vmcnt(0)
	v_sub_f32_e32 v4, v4, v5
	v_max_f32_e64 v5, |v4|, |v2|
	v_cvt_f64_f32_e32 v[6:7], v5
	v_cmp_ngt_f32_e32 vcc, 0, v4
	v_frexp_exp_i32_f64_e32 v6, v[6:7]
	v_sub_u32_e32 v7, 0, v6
	v_ldexp_f32 v22, |v4|, v7
	v_ldexp_f32 v7, |v2|, v7
	v_mul_f32_e32 v7, v7, v7
	v_fmac_f32_e32 v7, v22, v22
	v_sqrt_f32_e32 v22, v7
                                        ; implicit-def: $vgpr7
	s_and_saveexec_b64 s[10:11], vcc
	s_xor_b64 s[10:11], exec, s[10:11]
; %bb.36:                               ;   in Loop: Header=BB14_33 Depth=5
	v_ldexp_f32 v6, v22, v6
	v_mov_b32_e32 v7, 0x7f800000
	v_cmp_neq_f32_e32 vcc, s76, v5
	v_cndmask_b32_e32 v7, v7, v6, vcc
                                        ; implicit-def: $vgpr22
                                        ; implicit-def: $vgpr6
                                        ; implicit-def: $vgpr5
; %bb.37:                               ;   in Loop: Header=BB14_33 Depth=5
	s_andn2_saveexec_b64 s[10:11], s[10:11]
; %bb.38:                               ;   in Loop: Header=BB14_33 Depth=5
	v_ldexp_f32 v6, -v22, v6
	v_mov_b32_e32 v7, 0xff800000
	v_cmp_neq_f32_e32 vcc, s76, v5
	v_cndmask_b32_e32 v7, v7, v6, vcc
; %bb.39:                               ;   in Loop: Header=BB14_33 Depth=5
	s_or_b64 exec, exec, s[10:11]
	v_mov_b32_e32 v6, 0
	v_cmp_neq_f32_e32 vcc, 0, v2
	v_mov_b32_e32 v5, 1.0
	s_and_saveexec_b64 s[54:55], vcc
	s_cbranch_execz .LBB14_30
; %bb.40:                               ;   in Loop: Header=BB14_33 Depth=5
	v_add_f32_e32 v4, v4, v7
	v_mov_b32_e32 v5, 0
	v_cmp_neq_f32_e32 vcc, 0, v4
	v_mov_b32_e32 v6, 1.0
	s_and_saveexec_b64 s[56:57], vcc
	s_cbranch_execz .LBB14_29
; %bb.41:                               ;   in Loop: Header=BB14_33 Depth=5
	v_cmp_ngt_f32_e64 s[10:11], |v2|, |v4|
                                        ; implicit-def: $vgpr5
                                        ; implicit-def: $vgpr6
	s_and_saveexec_b64 s[58:59], s[10:11]
	s_xor_b64 s[58:59], exec, s[58:59]
	s_cbranch_execz .LBB14_43
; %bb.42:                               ;   in Loop: Header=BB14_33 Depth=5
	v_div_scale_f32 v5, s[10:11], v4, v4, -v2
	v_div_scale_f32 v6, vcc, -v2, v4, -v2
	v_rcp_f32_e32 v7, v5
	v_fma_f32 v22, -v5, v7, 1.0
	v_fmac_f32_e32 v7, v22, v7
	v_mul_f32_e32 v22, v6, v7
	v_fma_f32 v23, -v5, v22, v6
	v_fmac_f32_e32 v22, v23, v7
	v_fma_f32 v5, -v5, v22, v6
	v_div_fmas_f32 v5, v5, v7, v22
	v_div_fixup_f32 v2, v5, v4, -v2
	v_fma_f32 v4, v2, v2, 1.0
	v_mul_f32_e32 v5, 0x4f800000, v4
	v_cmp_gt_f32_e32 vcc, s77, v4
	v_cndmask_b32_e32 v4, v4, v5, vcc
	v_sqrt_f32_e32 v5, v4
	v_add_u32_e32 v6, -1, v5
	v_add_u32_e32 v7, 1, v5
	v_fma_f32 v22, -v6, v5, v4
	v_fma_f32 v23, -v7, v5, v4
	v_cmp_ge_f32_e64 s[10:11], 0, v22
	v_cndmask_b32_e64 v5, v5, v6, s[10:11]
	v_cmp_lt_f32_e64 s[10:11], 0, v23
	v_cndmask_b32_e64 v5, v5, v7, s[10:11]
	v_mul_f32_e32 v6, 0x37800000, v5
	v_cndmask_b32_e32 v5, v5, v6, vcc
	v_cmp_class_f32_e32 vcc, v4, v13
	v_cndmask_b32_e32 v4, v5, v4, vcc
	v_div_scale_f32 v5, s[10:11], v4, v4, 1.0
	v_div_scale_f32 v6, vcc, 1.0, v4, 1.0
	v_rcp_f32_e32 v7, v5
	v_fma_f32 v22, -v5, v7, 1.0
	v_fmac_f32_e32 v7, v22, v7
	v_mul_f32_e32 v22, v6, v7
	v_fma_f32 v23, -v5, v22, v6
	v_fmac_f32_e32 v22, v23, v7
	v_fma_f32 v5, -v5, v22, v6
	v_div_fmas_f32 v5, v5, v7, v22
	v_div_fixup_f32 v5, v5, v4, 1.0
	v_mul_f32_e32 v6, v2, v5
                                        ; implicit-def: $vgpr2
                                        ; implicit-def: $vgpr4
.LBB14_43:                              ;   in Loop: Header=BB14_33 Depth=5
	s_andn2_saveexec_b64 s[58:59], s[58:59]
	s_cbranch_execz .LBB14_28
; %bb.44:                               ;   in Loop: Header=BB14_33 Depth=5
	v_div_scale_f32 v5, s[10:11], v2, v2, -v4
	v_div_scale_f32 v6, vcc, -v4, v2, -v4
	v_rcp_f32_e32 v7, v5
	v_fma_f32 v22, -v5, v7, 1.0
	v_fmac_f32_e32 v7, v22, v7
	v_mul_f32_e32 v22, v6, v7
	v_fma_f32 v23, -v5, v22, v6
	v_fmac_f32_e32 v22, v23, v7
	v_fma_f32 v5, -v5, v22, v6
	v_div_fmas_f32 v5, v5, v7, v22
	v_div_fixup_f32 v2, v5, v2, -v4
	v_fma_f32 v4, v2, v2, 1.0
	v_mul_f32_e32 v5, 0x4f800000, v4
	v_cmp_gt_f32_e32 vcc, s77, v4
	v_cndmask_b32_e32 v4, v4, v5, vcc
	v_sqrt_f32_e32 v5, v4
	v_add_u32_e32 v6, -1, v5
	v_add_u32_e32 v7, 1, v5
	v_fma_f32 v22, -v6, v5, v4
	v_fma_f32 v23, -v7, v5, v4
	v_cmp_ge_f32_e64 s[10:11], 0, v22
	v_cndmask_b32_e64 v5, v5, v6, s[10:11]
	v_cmp_lt_f32_e64 s[10:11], 0, v23
	v_cndmask_b32_e64 v5, v5, v7, s[10:11]
	v_mul_f32_e32 v6, 0x37800000, v5
	v_cndmask_b32_e32 v5, v5, v6, vcc
	v_cmp_class_f32_e32 vcc, v4, v13
	v_cndmask_b32_e32 v4, v5, v4, vcc
	v_div_scale_f32 v5, s[10:11], v4, v4, 1.0
	v_div_scale_f32 v6, vcc, 1.0, v4, 1.0
	v_rcp_f32_e32 v7, v5
	v_fma_f32 v22, -v5, v7, 1.0
	v_fmac_f32_e32 v7, v22, v7
	v_mul_f32_e32 v22, v6, v7
	v_fma_f32 v23, -v5, v22, v6
	v_fmac_f32_e32 v22, v23, v7
	v_fma_f32 v5, -v5, v22, v6
	v_div_fmas_f32 v5, v5, v7, v22
	v_div_fixup_f32 v6, v5, v4, 1.0
	v_mul_f32_e32 v5, v2, v6
	s_branch .LBB14_28
.LBB14_45:                              ;   in Loop: Header=BB14_23 Depth=3
	s_or_b64 exec, exec, s[42:43]
	s_waitcnt vmcnt(0) lgkmcnt(0)
	s_barrier
	s_and_saveexec_b64 s[10:11], s[2:3]
	s_cbranch_execz .LBB14_58
; %bb.46:                               ;   in Loop: Header=BB14_23 Depth=3
	s_mov_b64 s[42:43], 0
	v_mov_b32_e32 v18, v12
	v_add_u32_e32 v19, v0, v10
	v_mov_b32_e32 v20, v1
	s_branch .LBB14_48
.LBB14_47:                              ;   in Loop: Header=BB14_48 Depth=4
	s_or_b64 exec, exec, s[44:45]
	v_add_u32_e32 v20, s62, v20
	v_cmp_le_u32_e32 vcc, s22, v20
	v_add_u32_e32 v19, s74, v19
	s_or_b64 s[42:43], vcc, s[42:43]
	v_add_u32_e32 v18, s74, v18
	s_andn2_b64 exec, exec, s[42:43]
	s_cbranch_execz .LBB14_58
.LBB14_48:                              ;   Parent Loop BB14_3 Depth=1
                                        ;     Parent Loop BB14_8 Depth=2
                                        ;       Parent Loop BB14_23 Depth=3
                                        ; =>      This Loop Header: Depth=4
                                        ;           Child Loop BB14_51 Depth 5
	s_and_saveexec_b64 s[44:45], s[4:5]
	s_cbranch_execz .LBB14_47
; %bb.49:                               ;   in Loop: Header=BB14_48 Depth=4
	v_add_u32_e32 v4, s22, v20
	v_mul_lo_u32 v21, v4, s66
	v_add_u32_e32 v2, v20, v15
	v_add_u32_e32 v6, s82, v20
	v_mov_b32_e32 v7, v3
	v_cmp_gt_u32_e64 s[8:9], s23, v6
	v_lshlrev_b64 v[4:5], 2, v[2:3]
	v_lshlrev_b64 v[6:7], 2, v[6:7]
	s_mov_b32 s52, 0
	s_mov_b64 s[46:47], 0
	v_mov_b32_e32 v22, v11
	v_mov_b32_e32 v23, v17
	s_branch .LBB14_51
.LBB14_50:                              ;   in Loop: Header=BB14_51 Depth=5
	s_or_b64 exec, exec, s[48:49]
	s_add_i32 s52, s52, s29
	v_add_u32_e32 v2, s52, v0
	v_cmp_le_u32_e32 vcc, s22, v2
	v_add_u32_e32 v23, s29, v23
	s_or_b64 s[46:47], vcc, s[46:47]
	v_add_u32_e32 v22, s75, v22
	s_andn2_b64 exec, exec, s[46:47]
	s_cbranch_execz .LBB14_47
.LBB14_51:                              ;   Parent Loop BB14_3 Depth=1
                                        ;     Parent Loop BB14_8 Depth=2
                                        ;       Parent Loop BB14_23 Depth=3
                                        ;         Parent Loop BB14_48 Depth=4
                                        ; =>        This Inner Loop Header: Depth=5
	v_mul_hi_u32 v2, v9, v23
	v_add_u32_e32 v25, s52, v0
	v_add_u32_e32 v27, s52, v16
	v_mul_lo_u32 v24, s22, v2
	v_not_b32_e32 v2, v2
	v_mul_lo_u32 v2, s22, v2
	v_sub_u32_e32 v24, s83, v24
	v_add_u32_e32 v24, v25, v24
	v_add3_u32 v2, s83, v2, v25
	v_cmp_le_u32_e32 vcc, s22, v24
	v_cndmask_b32_e32 v2, v24, v2, vcc
	v_subrev_u32_e32 v24, s22, v2
	v_cmp_le_u32_e32 vcc, s22, v2
	v_cndmask_b32_e32 v2, v2, v24, vcc
	v_add_u32_e32 v26, s82, v2
	v_max_u32_e32 v24, v27, v26
	v_cmp_gt_u32_e32 vcc, s23, v24
	s_and_saveexec_b64 s[48:49], vcc
	s_cbranch_execz .LBB14_50
; %bb.52:                               ;   in Loop: Header=BB14_51 Depth=5
	v_add_u32_e32 v25, s63, v22
	ds_read_b32 v24, v22
	ds_read_b32 v25, v25
	s_andn2_b64 vcc, exec, s[40:41]
	s_cbranch_vccnz .LBB14_56
; %bb.53:                               ;   in Loop: Header=BB14_51 Depth=5
	v_add_u32_e32 v28, s22, v2
	v_add_u32_e32 v2, s52, v19
	v_mul_lo_u32 v31, v20, s66
	v_lshlrev_b64 v[29:30], 2, v[2:3]
	v_mov_b32_e32 v2, s80
	v_add_co_u32_e32 v29, vcc, s81, v29
	v_addc_co_u32_e32 v30, vcc, v2, v30, vcc
	v_add_u32_e32 v2, v28, v31
	v_lshlrev_b64 v[31:32], 2, v[2:3]
	v_mov_b32_e32 v2, s80
	v_add_co_u32_e32 v31, vcc, s81, v31
	v_addc_co_u32_e32 v32, vcc, v2, v32, vcc
	flat_load_dword v2, v[29:30]
	flat_load_dword v33, v[31:32]
	s_waitcnt vmcnt(0) lgkmcnt(0)
	v_mul_f32_e32 v34, v25, v2
	v_mul_f32_e32 v35, v25, v33
	v_fmac_f32_e32 v35, v24, v2
	v_fma_f32 v33, v24, v33, -v34
	flat_store_dword v[29:30], v35
	flat_store_dword v[31:32], v33
	s_and_saveexec_b64 s[50:51], s[8:9]
	s_cbranch_execz .LBB14_55
; %bb.54:                               ;   in Loop: Header=BB14_51 Depth=5
	v_add_u32_e32 v2, s52, v18
	v_lshlrev_b64 v[29:30], 2, v[2:3]
	v_mov_b32_e32 v2, s80
	v_add_co_u32_e32 v29, vcc, s81, v29
	v_addc_co_u32_e32 v30, vcc, v2, v30, vcc
	v_add_u32_e32 v2, v28, v21
	v_lshlrev_b64 v[31:32], 2, v[2:3]
	v_mov_b32_e32 v2, s80
	v_add_co_u32_e32 v31, vcc, s81, v31
	v_addc_co_u32_e32 v32, vcc, v2, v32, vcc
	flat_load_dword v2, v[29:30]
	flat_load_dword v28, v[31:32]
	s_waitcnt vmcnt(0) lgkmcnt(0)
	v_mul_f32_e32 v33, v25, v2
	v_mul_f32_e32 v34, v25, v28
	v_fmac_f32_e32 v34, v24, v2
	v_fma_f32 v28, v24, v28, -v33
	flat_store_dword v[29:30], v34
	flat_store_dword v[31:32], v28
.LBB14_55:                              ;   in Loop: Header=BB14_51 Depth=5
	s_or_b64 exec, exec, s[50:51]
.LBB14_56:                              ;   in Loop: Header=BB14_51 Depth=5
	v_mad_u64_u32 v[28:29], s[50:51], v27, s73, 0
	v_mov_b32_e32 v32, s78
	v_mov_b32_e32 v2, v29
	v_mad_u64_u32 v[29:30], s[50:51], v27, s69, v[2:3]
	v_mad_u64_u32 v[30:31], s[50:51], v26, s73, 0
	v_lshlrev_b64 v[27:28], 2, v[28:29]
	v_add_co_u32_e32 v2, vcc, s21, v27
	v_addc_co_u32_e32 v27, vcc, v32, v28, vcc
	v_mov_b32_e32 v28, v31
	v_mad_u64_u32 v[28:29], s[50:51], v26, s69, v[28:29]
	v_add_co_u32_e32 v32, vcc, v2, v4
	v_mov_b32_e32 v31, v28
	v_lshlrev_b64 v[28:29], 2, v[30:31]
	v_addc_co_u32_e32 v33, vcc, v27, v5, vcc
	v_mov_b32_e32 v30, s78
	v_add_co_u32_e32 v26, vcc, s21, v28
	v_addc_co_u32_e32 v28, vcc, v30, v29, vcc
	v_add_co_u32_e32 v29, vcc, v26, v4
	v_addc_co_u32_e32 v30, vcc, v28, v5, vcc
	global_load_dword v31, v[29:30], off
	global_load_dword v34, v[32:33], off
	s_waitcnt vmcnt(0) lgkmcnt(0)
	v_mul_f32_e32 v35, v25, v31
	v_mul_f32_e32 v36, v25, v34
	v_fmac_f32_e32 v35, v24, v34
	v_fma_f32 v31, v24, v31, -v36
	global_store_dword v[32:33], v35, off
	global_store_dword v[29:30], v31, off
	s_and_b64 exec, exec, s[8:9]
	s_cbranch_execz .LBB14_50
; %bb.57:                               ;   in Loop: Header=BB14_51 Depth=5
	v_add_co_u32_e32 v29, vcc, v2, v6
	v_addc_co_u32_e32 v30, vcc, v27, v7, vcc
	v_add_co_u32_e32 v26, vcc, v26, v6
	v_addc_co_u32_e32 v27, vcc, v28, v7, vcc
	global_load_dword v2, v[26:27], off
	global_load_dword v28, v[29:30], off
	s_waitcnt vmcnt(1)
	v_mul_f32_e32 v31, v25, v2
	s_waitcnt vmcnt(0)
	v_mul_f32_e32 v25, v25, v28
	v_fmac_f32_e32 v31, v24, v28
	v_fma_f32 v2, v24, v2, -v25
	global_store_dword v[29:30], v31, off
	global_store_dword v[26:27], v2, off
	s_branch .LBB14_50
.LBB14_58:                              ;   in Loop: Header=BB14_23 Depth=3
	s_or_b64 exec, exec, s[10:11]
	s_waitcnt vmcnt(0)
	s_barrier
	s_and_saveexec_b64 s[10:11], s[2:3]
	s_cbranch_execz .LBB14_67
; %bb.59:                               ;   in Loop: Header=BB14_23 Depth=3
	s_mov_b64 s[42:43], 0
	v_mov_b32_e32 v18, v1
	s_branch .LBB14_61
.LBB14_60:                              ;   in Loop: Header=BB14_61 Depth=4
	s_or_b64 exec, exec, s[44:45]
	v_add_u32_e32 v18, s62, v18
	v_cmp_le_u32_e32 vcc, s22, v18
	s_or_b64 s[42:43], vcc, s[42:43]
	s_andn2_b64 exec, exec, s[42:43]
	s_cbranch_execz .LBB14_67
.LBB14_61:                              ;   Parent Loop BB14_3 Depth=1
                                        ;     Parent Loop BB14_8 Depth=2
                                        ;       Parent Loop BB14_23 Depth=3
                                        ; =>      This Loop Header: Depth=4
                                        ;           Child Loop BB14_64 Depth 5
	s_and_saveexec_b64 s[44:45], s[4:5]
	s_cbranch_execz .LBB14_60
; %bb.62:                               ;   in Loop: Header=BB14_61 Depth=4
	v_add_u32_e32 v6, v18, v15
	v_mad_u64_u32 v[4:5], s[8:9], v6, s73, 0
	v_add_u32_e32 v23, s82, v18
	v_mov_b32_e32 v20, s78
	v_mov_b32_e32 v2, v5
	v_mad_u64_u32 v[5:6], s[8:9], v6, s69, v[2:3]
	v_mad_u64_u32 v[6:7], s[8:9], v23, s73, 0
	v_lshlrev_b64 v[4:5], 2, v[4:5]
	s_mov_b32 s50, 0
	v_mov_b32_e32 v2, v7
	v_mad_u64_u32 v[21:22], s[8:9], v23, s69, v[2:3]
	v_add_co_u32_e32 v19, vcc, s21, v4
	v_mov_b32_e32 v7, v21
	v_addc_co_u32_e32 v20, vcc, v20, v5, vcc
	v_lshlrev_b64 v[4:5], 2, v[6:7]
	v_mov_b32_e32 v2, s78
	v_add_co_u32_e64 v21, s[8:9], s21, v4
	v_cmp_gt_u32_e32 vcc, s23, v23
	v_addc_co_u32_e64 v22, s[8:9], v2, v5, s[8:9]
	s_mov_b64 s[46:47], 0
	v_mov_b32_e32 v23, v11
	v_mov_b32_e32 v24, v17
	s_branch .LBB14_64
.LBB14_63:                              ;   in Loop: Header=BB14_64 Depth=5
	s_or_b64 exec, exec, s[48:49]
	s_add_i32 s50, s50, s29
	v_add_u32_e32 v2, s50, v0
	v_cmp_le_u32_e64 s[8:9], s22, v2
	v_add_u32_e32 v24, s29, v24
	s_or_b64 s[46:47], s[8:9], s[46:47]
	v_add_u32_e32 v23, s75, v23
	s_andn2_b64 exec, exec, s[46:47]
	s_cbranch_execz .LBB14_60
.LBB14_64:                              ;   Parent Loop BB14_3 Depth=1
                                        ;     Parent Loop BB14_8 Depth=2
                                        ;       Parent Loop BB14_23 Depth=3
                                        ;         Parent Loop BB14_61 Depth=4
                                        ; =>        This Inner Loop Header: Depth=5
	v_mul_hi_u32 v4, v9, v24
	v_add_u32_e32 v6, s50, v0
	v_add_u32_e32 v2, s50, v16
	v_mul_lo_u32 v5, s22, v4
	v_not_b32_e32 v4, v4
	v_mul_lo_u32 v4, s22, v4
	v_sub_u32_e32 v5, s83, v5
	v_add_u32_e32 v5, v6, v5
	v_add3_u32 v4, s83, v4, v6
	v_cmp_le_u32_e64 s[8:9], s22, v5
	v_cndmask_b32_e64 v4, v5, v4, s[8:9]
	v_subrev_u32_e32 v5, s22, v4
	v_cmp_le_u32_e64 s[8:9], s22, v4
	v_cndmask_b32_e64 v4, v4, v5, s[8:9]
	v_add_u32_e32 v6, s82, v4
	v_max_u32_e32 v4, v2, v6
	v_cmp_gt_u32_e64 s[8:9], s23, v4
	s_and_saveexec_b64 s[48:49], s[8:9]
	s_cbranch_execz .LBB14_63
; %bb.65:                               ;   in Loop: Header=BB14_64 Depth=5
	v_lshlrev_b64 v[4:5], 2, v[2:3]
	v_mov_b32_e32 v7, v3
	v_add_co_u32_e64 v26, s[8:9], v19, v4
	v_lshlrev_b64 v[6:7], 2, v[6:7]
	v_addc_co_u32_e64 v27, s[8:9], v20, v5, s[8:9]
	v_add_co_u32_e64 v28, s[8:9], v19, v6
	v_addc_co_u32_e64 v29, s[8:9], v20, v7, s[8:9]
	global_load_dword v30, v[26:27], off
	global_load_dword v31, v[28:29], off
	v_add_u32_e32 v2, s63, v23
	ds_read_b32 v25, v2
	ds_read_b32 v2, v23
	s_waitcnt vmcnt(1) lgkmcnt(1)
	v_mul_f32_e32 v32, v25, v30
	s_waitcnt vmcnt(0)
	v_mul_f32_e32 v33, v25, v31
	s_waitcnt lgkmcnt(0)
	v_fmac_f32_e32 v33, v2, v30
	v_fma_f32 v31, v2, v31, -v32
	global_store_dword v[26:27], v33, off
	global_store_dword v[28:29], v31, off
	s_and_b64 exec, exec, vcc
	s_cbranch_execz .LBB14_63
; %bb.66:                               ;   in Loop: Header=BB14_64 Depth=5
	v_add_co_u32_e64 v4, s[8:9], v21, v4
	v_addc_co_u32_e64 v5, s[8:9], v22, v5, s[8:9]
	v_add_co_u32_e64 v6, s[8:9], v21, v6
	v_addc_co_u32_e64 v7, s[8:9], v22, v7, s[8:9]
	global_load_dword v26, v[6:7], off
	global_load_dword v27, v[4:5], off
	s_waitcnt vmcnt(1)
	v_mul_f32_e32 v28, v25, v26
	s_waitcnt vmcnt(0)
	v_mul_f32_e32 v25, v25, v27
	v_fmac_f32_e32 v28, v2, v27
	v_fma_f32 v2, v2, v26, -v25
	global_store_dword v[4:5], v28, off
	global_store_dword v[6:7], v2, off
	s_branch .LBB14_63
.LBB14_67:                              ;   in Loop: Header=BB14_23 Depth=3
	s_or_b64 exec, exec, s[10:11]
	s_waitcnt vmcnt(0)
	s_barrier
	s_and_saveexec_b64 s[10:11], s[2:3]
	s_cbranch_execz .LBB14_22
; %bb.68:                               ;   in Loop: Header=BB14_23 Depth=3
	s_mov_b64 s[42:43], 0
	v_mov_b32_e32 v6, v1
	s_branch .LBB14_70
.LBB14_69:                              ;   in Loop: Header=BB14_70 Depth=4
	s_or_b64 exec, exec, s[44:45]
	v_add_u32_e32 v6, s62, v6
	v_cmp_le_u32_e32 vcc, s22, v6
	s_or_b64 s[42:43], vcc, s[42:43]
	s_andn2_b64 exec, exec, s[42:43]
	s_cbranch_execz .LBB14_22
.LBB14_70:                              ;   Parent Loop BB14_3 Depth=1
                                        ;     Parent Loop BB14_8 Depth=2
                                        ;       Parent Loop BB14_23 Depth=3
                                        ; =>      This Loop Header: Depth=4
                                        ;           Child Loop BB14_73 Depth 5
	s_and_saveexec_b64 s[44:45], s[4:5]
	s_cbranch_execz .LBB14_69
; %bb.71:                               ;   in Loop: Header=BB14_70 Depth=4
	v_cmp_eq_u32_e32 vcc, 0, v6
	s_mov_b64 s[46:47], 0
	v_mov_b32_e32 v7, v17
	v_mov_b32_e32 v18, v0
	s_branch .LBB14_73
.LBB14_72:                              ;   in Loop: Header=BB14_73 Depth=5
	s_or_b64 exec, exec, s[48:49]
	v_add_u32_e32 v18, s29, v18
	v_cmp_le_u32_e64 s[8:9], s22, v18
	s_or_b64 s[46:47], s[8:9], s[46:47]
	v_add_u32_e32 v7, s29, v7
	s_andn2_b64 exec, exec, s[46:47]
	s_cbranch_execz .LBB14_69
.LBB14_73:                              ;   Parent Loop BB14_3 Depth=1
                                        ;     Parent Loop BB14_8 Depth=2
                                        ;       Parent Loop BB14_23 Depth=3
                                        ;         Parent Loop BB14_70 Depth=4
                                        ; =>        This Inner Loop Header: Depth=5
	v_mul_hi_u32 v4, v9, v7
	v_add_u32_e32 v2, s83, v18
	v_not_b32_e32 v19, v4
	v_mad_u64_u32 v[4:5], s[8:9], s72, v4, v[2:3]
	v_mad_u64_u32 v[19:20], s[8:9], s22, v19, v[2:3]
	v_cmp_le_u32_e64 s[8:9], s22, v4
	v_cndmask_b32_e64 v2, v4, v19, s[8:9]
	v_subrev_u32_e32 v4, s22, v2
	v_cmp_le_u32_e64 s[8:9], s22, v2
	v_cndmask_b32_e64 v2, v2, v4, s[8:9]
	v_add_u32_e32 v4, s82, v2
	v_cmp_gt_u32_e64 s[8:9], s23, v4
	s_and_b64 s[8:9], vcc, s[8:9]
	s_and_saveexec_b64 s[48:49], s[8:9]
	s_cbranch_execz .LBB14_72
; %bb.74:                               ;   in Loop: Header=BB14_73 Depth=5
	v_mad_u64_u32 v[19:20], s[8:9], v4, s73, 0
	v_mov_b32_e32 v23, s78
	v_mov_b32_e32 v5, v3
	;; [unrolled: 1-line block ×3, first 2 shown]
	v_mad_u64_u32 v[20:21], s[8:9], v4, s69, v[2:3]
	v_add_u32_e32 v2, v15, v18
	v_mad_u64_u32 v[21:22], s[8:9], v2, s73, 0
	v_lshlrev_b64 v[19:20], 2, v[19:20]
	v_lshlrev_b64 v[4:5], 2, v[4:5]
	v_add_co_u32_e64 v24, s[8:9], s21, v19
	v_addc_co_u32_e64 v25, s[8:9], v23, v20, s[8:9]
	v_lshlrev_b64 v[19:20], 2, v[2:3]
	v_mad_u64_u32 v[22:23], s[8:9], v2, s69, v[22:23]
	v_add_co_u32_e64 v19, s[8:9], v24, v19
	v_addc_co_u32_e64 v20, s[8:9], v25, v20, s[8:9]
	global_store_dword v[19:20], v3, off
	v_lshlrev_b64 v[19:20], 2, v[21:22]
	v_mov_b32_e32 v2, s78
	v_add_co_u32_e64 v19, s[8:9], s21, v19
	v_addc_co_u32_e64 v2, s[8:9], v2, v20, s[8:9]
	v_add_co_u32_e64 v4, s[8:9], v19, v4
	v_addc_co_u32_e64 v5, s[8:9], v2, v5, s[8:9]
	global_store_dword v[4:5], v3, off
	s_branch .LBB14_72
.LBB14_75:                              ;   in Loop: Header=BB14_8 Depth=2
	s_and_b64 s[8:9], s[40:41], s[0:1]
	s_and_b64 vcc, exec, s[8:9]
	s_cbranch_vccz .LBB14_7
; %bb.76:                               ;   in Loop: Header=BB14_8 Depth=2
	v_cmp_lt_u32_e32 vcc, v1, v14
	s_waitcnt vmcnt(0)
	s_barrier
	s_and_saveexec_b64 s[10:11], vcc
	s_cbranch_execz .LBB14_6
; %bb.77:                               ;   in Loop: Header=BB14_8 Depth=2
	v_cmp_lt_u32_e32 vcc, v0, v14
	s_mov_b64 s[40:41], 0
	v_mov_b32_e32 v4, v10
	v_mov_b32_e32 v5, v1
	s_branch .LBB14_79
.LBB14_78:                              ;   in Loop: Header=BB14_79 Depth=3
	s_or_b64 exec, exec, s[42:43]
	v_add_u32_e32 v5, s62, v5
	v_cmp_ge_u32_e64 s[8:9], v5, v14
	s_or_b64 s[40:41], s[8:9], s[40:41]
	v_add_u32_e32 v4, s74, v4
	s_andn2_b64 exec, exec, s[40:41]
	s_cbranch_execz .LBB14_6
.LBB14_79:                              ;   Parent Loop BB14_3 Depth=1
                                        ;     Parent Loop BB14_8 Depth=2
                                        ; =>    This Loop Header: Depth=3
                                        ;         Child Loop BB14_81 Depth 4
	s_and_saveexec_b64 s[42:43], vcc
	s_cbranch_execz .LBB14_78
; %bb.80:                               ;   in Loop: Header=BB14_79 Depth=3
	s_mov_b64 s[44:45], 0
	v_mov_b32_e32 v6, v0
.LBB14_81:                              ;   Parent Loop BB14_3 Depth=1
                                        ;     Parent Loop BB14_8 Depth=2
                                        ;       Parent Loop BB14_79 Depth=3
                                        ; =>      This Inner Loop Header: Depth=4
	v_add_u32_e32 v2, v4, v6
	v_lshlrev_b64 v[15:16], 2, v[2:3]
	v_mov_b32_e32 v7, s80
	v_add_co_u32_e64 v17, s[8:9], s81, v15
	v_addc_co_u32_e64 v18, s[8:9], v7, v16, s[8:9]
	flat_load_dword v2, v[17:18]
	v_add_u32_e32 v6, s29, v6
	v_cmp_ge_u32_e64 s[8:9], v6, v14
	v_mov_b32_e32 v7, s39
	s_or_b64 s[44:45], s[8:9], s[44:45]
	v_add_co_u32_e64 v15, s[8:9], s38, v15
	v_addc_co_u32_e64 v16, s[8:9], v7, v16, s[8:9]
	s_waitcnt vmcnt(0) lgkmcnt(0)
	global_store_dword v[15:16], v2, off
	s_andn2_b64 exec, exec, s[44:45]
	s_cbranch_execnz .LBB14_81
	s_branch .LBB14_78
.LBB14_82:
	s_endpgm
	.section	.rodata,"a",@progbits
	.p2align	6, 0x0
	.amdhsa_kernel _ZN9rocsolver6v33100L17syevj_offd_kernelIffPfEEviiT1_iilT0_PT_PiS7_S7_i
		.amdhsa_group_segment_fixed_size 0
		.amdhsa_private_segment_fixed_size 0
		.amdhsa_kernarg_size 336
		.amdhsa_user_sgpr_count 6
		.amdhsa_user_sgpr_private_segment_buffer 1
		.amdhsa_user_sgpr_dispatch_ptr 0
		.amdhsa_user_sgpr_queue_ptr 0
		.amdhsa_user_sgpr_kernarg_segment_ptr 1
		.amdhsa_user_sgpr_dispatch_id 0
		.amdhsa_user_sgpr_flat_scratch_init 0
		.amdhsa_user_sgpr_private_segment_size 0
		.amdhsa_uses_dynamic_stack 0
		.amdhsa_system_sgpr_private_segment_wavefront_offset 0
		.amdhsa_system_sgpr_workgroup_id_x 1
		.amdhsa_system_sgpr_workgroup_id_y 0
		.amdhsa_system_sgpr_workgroup_id_z 1
		.amdhsa_system_sgpr_workgroup_info 0
		.amdhsa_system_vgpr_workitem_id 1
		.amdhsa_next_free_vgpr 37
		.amdhsa_next_free_sgpr 85
		.amdhsa_reserve_vcc 1
		.amdhsa_reserve_flat_scratch 0
		.amdhsa_float_round_mode_32 0
		.amdhsa_float_round_mode_16_64 0
		.amdhsa_float_denorm_mode_32 3
		.amdhsa_float_denorm_mode_16_64 3
		.amdhsa_dx10_clamp 1
		.amdhsa_ieee_mode 1
		.amdhsa_fp16_overflow 0
		.amdhsa_exception_fp_ieee_invalid_op 0
		.amdhsa_exception_fp_denorm_src 0
		.amdhsa_exception_fp_ieee_div_zero 0
		.amdhsa_exception_fp_ieee_overflow 0
		.amdhsa_exception_fp_ieee_underflow 0
		.amdhsa_exception_fp_ieee_inexact 0
		.amdhsa_exception_int_div_zero 0
	.end_amdhsa_kernel
	.section	.text._ZN9rocsolver6v33100L17syevj_offd_kernelIffPfEEviiT1_iilT0_PT_PiS7_S7_i,"axG",@progbits,_ZN9rocsolver6v33100L17syevj_offd_kernelIffPfEEviiT1_iilT0_PT_PiS7_S7_i,comdat
.Lfunc_end14:
	.size	_ZN9rocsolver6v33100L17syevj_offd_kernelIffPfEEviiT1_iilT0_PT_PiS7_S7_i, .Lfunc_end14-_ZN9rocsolver6v33100L17syevj_offd_kernelIffPfEEviiT1_iilT0_PT_PiS7_S7_i
                                        ; -- End function
	.set _ZN9rocsolver6v33100L17syevj_offd_kernelIffPfEEviiT1_iilT0_PT_PiS7_S7_i.num_vgpr, 37
	.set _ZN9rocsolver6v33100L17syevj_offd_kernelIffPfEEviiT1_iilT0_PT_PiS7_S7_i.num_agpr, 0
	.set _ZN9rocsolver6v33100L17syevj_offd_kernelIffPfEEviiT1_iilT0_PT_PiS7_S7_i.numbered_sgpr, 85
	.set _ZN9rocsolver6v33100L17syevj_offd_kernelIffPfEEviiT1_iilT0_PT_PiS7_S7_i.num_named_barrier, 0
	.set _ZN9rocsolver6v33100L17syevj_offd_kernelIffPfEEviiT1_iilT0_PT_PiS7_S7_i.private_seg_size, 0
	.set _ZN9rocsolver6v33100L17syevj_offd_kernelIffPfEEviiT1_iilT0_PT_PiS7_S7_i.uses_vcc, 1
	.set _ZN9rocsolver6v33100L17syevj_offd_kernelIffPfEEviiT1_iilT0_PT_PiS7_S7_i.uses_flat_scratch, 0
	.set _ZN9rocsolver6v33100L17syevj_offd_kernelIffPfEEviiT1_iilT0_PT_PiS7_S7_i.has_dyn_sized_stack, 0
	.set _ZN9rocsolver6v33100L17syevj_offd_kernelIffPfEEviiT1_iilT0_PT_PiS7_S7_i.has_recursion, 0
	.set _ZN9rocsolver6v33100L17syevj_offd_kernelIffPfEEviiT1_iilT0_PT_PiS7_S7_i.has_indirect_call, 0
	.section	.AMDGPU.csdata,"",@progbits
; Kernel info:
; codeLenInByte = 4320
; TotalNumSgprs: 89
; NumVgprs: 37
; ScratchSize: 0
; MemoryBound: 0
; FloatMode: 240
; IeeeMode: 1
; LDSByteSize: 0 bytes/workgroup (compile time only)
; SGPRBlocks: 11
; VGPRBlocks: 9
; NumSGPRsForWavesPerEU: 89
; NumVGPRsForWavesPerEU: 37
; Occupancy: 6
; WaveLimiterHint : 1
; COMPUTE_PGM_RSRC2:SCRATCH_EN: 0
; COMPUTE_PGM_RSRC2:USER_SGPR: 6
; COMPUTE_PGM_RSRC2:TRAP_HANDLER: 0
; COMPUTE_PGM_RSRC2:TGID_X_EN: 1
; COMPUTE_PGM_RSRC2:TGID_Y_EN: 0
; COMPUTE_PGM_RSRC2:TGID_Z_EN: 1
; COMPUTE_PGM_RSRC2:TIDIG_COMP_CNT: 1
	.section	.text._ZN9rocsolver6v33100L21syevj_offd_rotate_orgILb0EffPfEEvbiiT2_iilPT0_PiS6_S6_,"axG",@progbits,_ZN9rocsolver6v33100L21syevj_offd_rotate_orgILb0EffPfEEvbiiT2_iilPT0_PiS6_S6_,comdat
	.globl	_ZN9rocsolver6v33100L21syevj_offd_rotate_orgILb0EffPfEEvbiiT2_iilPT0_PiS6_S6_ ; -- Begin function _ZN9rocsolver6v33100L21syevj_offd_rotate_orgILb0EffPfEEvbiiT2_iilPT0_PiS6_S6_
	.p2align	8
	.type	_ZN9rocsolver6v33100L21syevj_offd_rotate_orgILb0EffPfEEvbiiT2_iilPT0_PiS6_S6_,@function
_ZN9rocsolver6v33100L21syevj_offd_rotate_orgILb0EffPfEEvbiiT2_iilPT0_PiS6_S6_: ; @_ZN9rocsolver6v33100L21syevj_offd_rotate_orgILb0EffPfEEvbiiT2_iilPT0_PiS6_S6_
; %bb.0:
	s_load_dwordx2 s[0:1], s[4:5], 0x40
	s_ashr_i32 s9, s8, 31
	s_lshl_b64 s[2:3], s[8:9], 2
	s_waitcnt lgkmcnt(0)
	s_add_u32 s0, s0, s2
	s_addc_u32 s1, s1, s3
	s_load_dword s0, s[0:1], 0x4
	s_waitcnt lgkmcnt(0)
	s_cmp_lg_u32 s0, 0
	s_cbranch_scc0 .LBB15_2
.LBB15_1:
	s_endpgm
.LBB15_2:
	s_load_dwordx8 s[12:19], s[4:5], 0x20
	s_mov_b32 s10, s7
	s_ashr_i32 s7, s6, 31
	s_lshl_b64 s[0:1], s[6:7], 2
	s_waitcnt lgkmcnt(0)
	s_add_u32 s2, s16, s0
	s_addc_u32 s3, s17, s1
	s_add_u32 s0, s18, s0
	s_load_dword s11, s[2:3], 0x0
	s_addc_u32 s1, s19, s1
	s_load_dword s20, s[0:1], 0x0
	s_load_dwordx4 s[16:19], s[4:5], 0x0
	s_waitcnt lgkmcnt(0)
	s_max_i32 s7, s11, s20
	s_cmp_ge_i32 s7, s17
	s_cbranch_scc1 .LBB15_1
; %bb.3:
	s_add_u32 s0, s4, 0x48
	s_addc_u32 s1, s5, 0
	s_bitcmp1_b32 s16, 0
	s_cselect_b64 s[2:3], -1, 0
	s_xor_b64 s[2:3], s[2:3], -1
	s_min_i32 s17, s11, s20
	s_and_b64 vcc, exec, s[2:3]
	s_mov_b32 s16, s10
	s_cbranch_vccnz .LBB15_5
; %bb.4:
	s_lshr_b32 s2, s16, 31
	s_add_i32 s2, s16, s2
	s_ashr_i32 s10, s2, 1
	s_cmp_lg_u32 s10, s17
	s_cselect_b64 s[2:3], -1, 0
	s_cmp_lg_u32 s10, s7
	s_cselect_b64 s[10:11], -1, 0
	s_and_b64 s[2:3], s[2:3], s[10:11]
.LBB15_5:
	s_andn2_b64 vcc, exec, s[2:3]
	s_cbranch_vccnz .LBB15_1
; %bb.6:
	s_load_dword s19, s[0:1], 0xc
	s_waitcnt lgkmcnt(0)
	s_bfe_u32 s10, s19, 0xf0001
	s_mul_i32 s11, s7, s10
	s_mul_i32 s1, s17, s10
	s_sub_i32 s2, s11, s10
	s_lshr_b32 s0, s19, 16
	v_mov_b32_e32 v2, s1
	v_mov_b32_e32 v3, s2
	v_cmp_gt_u32_e32 vcc, s10, v0
	v_cndmask_b32_e32 v2, v3, v2, vcc
	s_mul_i32 s16, s16, s0
	v_add_u32_e32 v7, v2, v0
	v_add_u32_e32 v2, s16, v1
	v_max_i32_e32 v3, v7, v2
	v_cmp_gt_i32_e32 vcc, s18, v3
	s_and_saveexec_b64 s[0:1], vcc
	s_cbranch_execz .LBB15_1
; %bb.7:
	s_load_dword s20, s[4:5], 0x48
	s_load_dwordx4 s[0:3], s[4:5], 0x10
	s_lshl_b32 s4, s10, 1
	v_mov_b32_e32 v8, 0
	s_waitcnt lgkmcnt(0)
	s_mul_i32 s5, s20, s8
	s_ashr_i32 s21, s2, 31
	s_mov_b32 s20, s2
	s_add_i32 s2, s5, s6
	s_mul_i32 s5, s12, s9
	s_mul_hi_u32 s6, s12, s8
	s_add_i32 s5, s6, s5
	s_mul_i32 s6, s13, s8
	s_add_i32 s9, s5, s6
	s_mul_i32 s8, s12, s8
	s_lshl_b64 s[8:9], s[8:9], 2
	s_add_u32 s5, s0, s8
	s_addc_u32 s6, s1, s9
	s_lshl_b64 s[0:1], s[20:21], 2
	s_mul_i32 s2, s2, s10
	s_add_u32 s0, s5, s0
	s_mul_i32 s2, s2, s10
	s_addc_u32 s1, s6, s1
	s_lshl_b32 s8, s2, 2
	s_ashr_i32 s9, s8, 31
	s_lshl_b64 s[8:9], s[8:9], 2
	s_add_u32 s2, s14, s8
	s_addc_u32 s5, s15, s9
	s_and_b32 s6, 0xffff, s19
	s_cmp_lt_u32 s6, 2
	s_cbranch_scc1 .LBB15_10
; %bb.8:
	s_mul_i32 s6, s3, s17
	s_mul_i32 s6, s6, s10
	s_add_i32 s6, s16, s6
	v_mov_b32_e32 v6, 0
	v_add_u32_e32 v3, s6, v1
	v_mov_b32_e32 v9, s5
	v_mov_b32_e32 v10, s1
	;; [unrolled: 1-line block ×3, first 2 shown]
	s_mov_b32 s6, s10
	v_mov_b32_e32 v8, v6
.LBB15_9:                               ; =>This Inner Loop Header: Depth=1
	v_lshlrev_b64 v[11:12], 2, v[5:6]
	v_ashrrev_i32_e32 v4, 31, v3
	v_lshlrev_b64 v[13:14], 2, v[3:4]
	v_add_co_u32_e32 v11, vcc, s2, v11
	v_addc_co_u32_e32 v12, vcc, v9, v12, vcc
	global_load_dword v4, v[11:12], off
	v_add_co_u32_e32 v11, vcc, s0, v13
	v_addc_co_u32_e32 v12, vcc, v10, v14, vcc
	global_load_dword v11, v[11:12], off
	s_add_i32 s6, s6, -1
	v_add_u32_e32 v5, s4, v5
	v_add_u32_e32 v3, s3, v3
	s_cmp_eq_u32 s6, 0
	s_waitcnt vmcnt(0)
	v_fmac_f32_e32 v8, v4, v11
	s_cbranch_scc0 .LBB15_9
.LBB15_10:
	s_sub_i32 s6, s18, s11
	s_min_i32 s6, s6, s10
	s_cmp_lt_i32 s6, 1
	s_cbranch_scc1 .LBB15_13
; %bb.11:
	s_mul_i32 s7, s3, s7
	s_mul_i32 s7, s7, s10
	s_add_i32 s16, s16, s7
	s_mul_i32 s10, s10, s10
	v_add_u32_e32 v3, s16, v1
	v_lshl_add_u32 v0, s10, 1, v0
	v_mov_b32_e32 v1, 0
	v_mov_b32_e32 v5, s5
	;; [unrolled: 1-line block ×3, first 2 shown]
.LBB15_12:                              ; =>This Inner Loop Header: Depth=1
	v_lshlrev_b64 v[9:10], 2, v[0:1]
	v_ashrrev_i32_e32 v4, 31, v3
	v_lshlrev_b64 v[11:12], 2, v[3:4]
	v_add_co_u32_e32 v9, vcc, s2, v9
	v_addc_co_u32_e32 v10, vcc, v5, v10, vcc
	global_load_dword v4, v[9:10], off
	v_add_co_u32_e32 v9, vcc, s0, v11
	v_addc_co_u32_e32 v10, vcc, v6, v12, vcc
	global_load_dword v9, v[9:10], off
	s_add_i32 s6, s6, -1
	v_add_u32_e32 v0, s4, v0
	v_add_u32_e32 v3, s3, v3
	s_cmp_lg_u32 s6, 0
	s_waitcnt vmcnt(0)
	v_fmac_f32_e32 v8, v4, v9
	s_cbranch_scc1 .LBB15_12
.LBB15_13:
	v_mad_u64_u32 v[0:1], s[2:3], v7, s3, v[2:3]
	v_mov_b32_e32 v2, s1
	v_ashrrev_i32_e32 v1, 31, v0
	v_lshlrev_b64 v[0:1], 2, v[0:1]
	s_barrier
	v_add_co_u32_e32 v0, vcc, s0, v0
	v_addc_co_u32_e32 v1, vcc, v2, v1, vcc
	global_store_dword v[0:1], v8, off
	s_endpgm
	.section	.rodata,"a",@progbits
	.p2align	6, 0x0
	.amdhsa_kernel _ZN9rocsolver6v33100L21syevj_offd_rotate_orgILb0EffPfEEvbiiT2_iilPT0_PiS6_S6_
		.amdhsa_group_segment_fixed_size 0
		.amdhsa_private_segment_fixed_size 0
		.amdhsa_kernarg_size 328
		.amdhsa_user_sgpr_count 6
		.amdhsa_user_sgpr_private_segment_buffer 1
		.amdhsa_user_sgpr_dispatch_ptr 0
		.amdhsa_user_sgpr_queue_ptr 0
		.amdhsa_user_sgpr_kernarg_segment_ptr 1
		.amdhsa_user_sgpr_dispatch_id 0
		.amdhsa_user_sgpr_flat_scratch_init 0
		.amdhsa_user_sgpr_private_segment_size 0
		.amdhsa_uses_dynamic_stack 0
		.amdhsa_system_sgpr_private_segment_wavefront_offset 0
		.amdhsa_system_sgpr_workgroup_id_x 1
		.amdhsa_system_sgpr_workgroup_id_y 1
		.amdhsa_system_sgpr_workgroup_id_z 1
		.amdhsa_system_sgpr_workgroup_info 0
		.amdhsa_system_vgpr_workitem_id 1
		.amdhsa_next_free_vgpr 15
		.amdhsa_next_free_sgpr 22
		.amdhsa_reserve_vcc 1
		.amdhsa_reserve_flat_scratch 0
		.amdhsa_float_round_mode_32 0
		.amdhsa_float_round_mode_16_64 0
		.amdhsa_float_denorm_mode_32 3
		.amdhsa_float_denorm_mode_16_64 3
		.amdhsa_dx10_clamp 1
		.amdhsa_ieee_mode 1
		.amdhsa_fp16_overflow 0
		.amdhsa_exception_fp_ieee_invalid_op 0
		.amdhsa_exception_fp_denorm_src 0
		.amdhsa_exception_fp_ieee_div_zero 0
		.amdhsa_exception_fp_ieee_overflow 0
		.amdhsa_exception_fp_ieee_underflow 0
		.amdhsa_exception_fp_ieee_inexact 0
		.amdhsa_exception_int_div_zero 0
	.end_amdhsa_kernel
	.section	.text._ZN9rocsolver6v33100L21syevj_offd_rotate_orgILb0EffPfEEvbiiT2_iilPT0_PiS6_S6_,"axG",@progbits,_ZN9rocsolver6v33100L21syevj_offd_rotate_orgILb0EffPfEEvbiiT2_iilPT0_PiS6_S6_,comdat
.Lfunc_end15:
	.size	_ZN9rocsolver6v33100L21syevj_offd_rotate_orgILb0EffPfEEvbiiT2_iilPT0_PiS6_S6_, .Lfunc_end15-_ZN9rocsolver6v33100L21syevj_offd_rotate_orgILb0EffPfEEvbiiT2_iilPT0_PiS6_S6_
                                        ; -- End function
	.set _ZN9rocsolver6v33100L21syevj_offd_rotate_orgILb0EffPfEEvbiiT2_iilPT0_PiS6_S6_.num_vgpr, 15
	.set _ZN9rocsolver6v33100L21syevj_offd_rotate_orgILb0EffPfEEvbiiT2_iilPT0_PiS6_S6_.num_agpr, 0
	.set _ZN9rocsolver6v33100L21syevj_offd_rotate_orgILb0EffPfEEvbiiT2_iilPT0_PiS6_S6_.numbered_sgpr, 22
	.set _ZN9rocsolver6v33100L21syevj_offd_rotate_orgILb0EffPfEEvbiiT2_iilPT0_PiS6_S6_.num_named_barrier, 0
	.set _ZN9rocsolver6v33100L21syevj_offd_rotate_orgILb0EffPfEEvbiiT2_iilPT0_PiS6_S6_.private_seg_size, 0
	.set _ZN9rocsolver6v33100L21syevj_offd_rotate_orgILb0EffPfEEvbiiT2_iilPT0_PiS6_S6_.uses_vcc, 1
	.set _ZN9rocsolver6v33100L21syevj_offd_rotate_orgILb0EffPfEEvbiiT2_iilPT0_PiS6_S6_.uses_flat_scratch, 0
	.set _ZN9rocsolver6v33100L21syevj_offd_rotate_orgILb0EffPfEEvbiiT2_iilPT0_PiS6_S6_.has_dyn_sized_stack, 0
	.set _ZN9rocsolver6v33100L21syevj_offd_rotate_orgILb0EffPfEEvbiiT2_iilPT0_PiS6_S6_.has_recursion, 0
	.set _ZN9rocsolver6v33100L21syevj_offd_rotate_orgILb0EffPfEEvbiiT2_iilPT0_PiS6_S6_.has_indirect_call, 0
	.section	.AMDGPU.csdata,"",@progbits
; Kernel info:
; codeLenInByte = 732
; TotalNumSgprs: 26
; NumVgprs: 15
; ScratchSize: 0
; MemoryBound: 0
; FloatMode: 240
; IeeeMode: 1
; LDSByteSize: 0 bytes/workgroup (compile time only)
; SGPRBlocks: 3
; VGPRBlocks: 3
; NumSGPRsForWavesPerEU: 26
; NumVGPRsForWavesPerEU: 15
; Occupancy: 10
; WaveLimiterHint : 0
; COMPUTE_PGM_RSRC2:SCRATCH_EN: 0
; COMPUTE_PGM_RSRC2:USER_SGPR: 6
; COMPUTE_PGM_RSRC2:TRAP_HANDLER: 0
; COMPUTE_PGM_RSRC2:TGID_X_EN: 1
; COMPUTE_PGM_RSRC2:TGID_Y_EN: 1
; COMPUTE_PGM_RSRC2:TGID_Z_EN: 1
; COMPUTE_PGM_RSRC2:TIDIG_COMP_CNT: 1
	.section	.text._ZN9rocsolver6v33100L17syevj_offd_rotateILb0EffPfEEvbiiT2_iilPT0_PiS6_S6_i,"axG",@progbits,_ZN9rocsolver6v33100L17syevj_offd_rotateILb0EffPfEEvbiiT2_iilPT0_PiS6_S6_i,comdat
	.globl	_ZN9rocsolver6v33100L17syevj_offd_rotateILb0EffPfEEvbiiT2_iilPT0_PiS6_S6_i ; -- Begin function _ZN9rocsolver6v33100L17syevj_offd_rotateILb0EffPfEEvbiiT2_iilPT0_PiS6_S6_i
	.p2align	8
	.type	_ZN9rocsolver6v33100L17syevj_offd_rotateILb0EffPfEEvbiiT2_iilPT0_PiS6_S6_i,@function
_ZN9rocsolver6v33100L17syevj_offd_rotateILb0EffPfEEvbiiT2_iilPT0_PiS6_S6_i: ; @_ZN9rocsolver6v33100L17syevj_offd_rotateILb0EffPfEEvbiiT2_iilPT0_PiS6_S6_i
; %bb.0:
	s_load_dwordx4 s[20:23], s[4:5], 0x0
	s_load_dword s33, s[4:5], 0x48
	s_waitcnt lgkmcnt(0)
	s_abs_i32 s2, s21
	v_cvt_f32_u32_e32 v2, s2
	s_cmp_ge_u32 s8, s33
	v_rcp_iflag_f32_e32 v2, v2
	v_mul_f32_e32 v2, 0x4f7ffffe, v2
	v_cvt_u32_f32_e32 v2, v2
	v_readfirstlane_b32 s3, v2
	s_cbranch_scc1 .LBB16_35
; %bb.1:
	s_sub_i32 s10, 0, s2
	s_mov_b64 s[0:1], src_shared_base
	s_mul_i32 s10, s10, s3
	s_add_i32 s0, s22, -1
	s_mul_hi_u32 s10, s3, s10
	s_ashr_i32 s9, s0, 31
	s_ashr_i32 s24, s21, 31
	s_abs_i32 s0, s0
	s_add_i32 s3, s3, s10
	s_bitcmp1_b32 s20, 0
	s_mul_hi_u32 s3, s0, s3
	s_cselect_b64 s[10:11], -1, 0
	v_cndmask_b32_e64 v7, 0, 1, s[10:11]
	s_xor_b64 s[34:35], s[10:11], -1
	s_mul_i32 s10, s3, s2
	s_sub_i32 s0, s0, s10
	s_xor_b32 s9, s9, s24
	s_add_i32 s10, s3, 1
	s_sub_i32 s11, s0, s2
	s_cmp_ge_u32 s0, s2
	s_cselect_b32 s3, s10, s3
	s_cselect_b32 s0, s11, s0
	s_add_i32 s10, s3, 1
	s_cmp_ge_u32 s0, s2
	s_cselect_b32 s0, s10, s3
	s_xor_b32 s0, s0, s9
	s_sub_i32 s20, s0, s9
	s_add_i32 s48, s20, 1
	s_lshr_b32 s0, s48, 31
	s_add_i32 s0, s48, s0
	s_and_b32 s0, s0, -2
	s_sub_i32 s0, s48, s0
	s_load_dwordx4 s[28:31], s[4:5], 0x10
	s_load_dwordx8 s[12:19], s[4:5], 0x20
	s_load_dwordx2 s[36:37], s[4:5], 0x40
	s_load_dwordx4 s[24:27], s[4:5], 0x50
	s_add_i32 s0, s0, s48
	s_lshr_b32 s2, s0, 31
	s_add_i32 s0, s0, s2
	s_lshl_b32 s51, s21, 1
	s_ashr_i32 s49, s0, 1
	s_mul_i32 s0, s51, s21
	s_lshl_b32 s2, s0, 2
	s_waitcnt lgkmcnt(0)
	s_lshr_b32 s50, s27, 16
	s_and_b32 s27, s27, 0xffff
	s_add_i32 s52, s2, 0
	s_mul_i32 s0, s0, 3
	s_cmpk_lt_u32 s0, 0x4001
	s_mul_i32 s9, s21, s21
	s_cselect_b64 s[38:39], -1, 0
	s_ashr_i32 s3, s30, 31
	s_lshl_b32 s54, s9, 2
	s_cmp_lt_u32 s6, s49
	s_mul_i32 s0, s20, s21
	s_cselect_b64 s[4:5], -1, 0
	s_sub_i32 s55, s22, s0
	s_mov_b32 s2, s30
	s_cmp_lt_u32 s7, s48
	s_cselect_b64 s[40:41], -1, 0
	s_ashr_i32 s57, s31, 31
	s_lshl_b64 s[2:3], s[2:3], 2
	s_add_u32 s59, s28, s2
	s_addc_u32 s60, s29, s3
	s_lshl_b32 s2, s9, 3
	v_mad_u32_u24 v8, v1, s27, v0
	s_mul_i32 s56, s50, s27
	s_add_i32 s2, s2, 0
	v_cndmask_b32_e64 v3, 0, 1, s[4:5]
	s_mov_b32 s23, 0
	s_mov_b32 s53, s1
	v_cmp_gt_u32_e64 s[0:1], s54, v8
	s_mov_b32 s58, s31
	v_lshl_add_u32 v9, v8, 2, s2
	s_lshl_b32 s61, s56, 2
	v_lshl_add_u32 v2, v0, 2, 0
	v_lshlrev_b32_e32 v10, 2, v1
	s_lshl_b32 s62, s50, 2
	s_lshl_b32 s63, s27, 2
	s_mul_i32 s64, s7, s21
	s_mul_i32 s65, s25, s21
	v_mov_b32_e32 v4, 0
	v_cmp_ne_u32_e64 s[2:3], 1, v3
	s_branch .LBB16_3
.LBB16_2:                               ;   in Loop: Header=BB16_3 Depth=1
	s_add_i32 s8, s8, s26
	s_cmp_ge_u32 s8, s33
	s_cbranch_scc1 .LBB16_35
.LBB16_3:                               ; =>This Loop Header: Depth=1
                                        ;     Child Loop BB16_7 Depth 2
                                        ;       Child Loop BB16_11 Depth 3
                                        ;       Child Loop BB16_17 Depth 3
                                        ;         Child Loop BB16_23 Depth 4
                                        ;           Child Loop BB16_25 Depth 5
                                        ;         Child Loop BB16_29 Depth 4
                                        ;           Child Loop BB16_32 Depth 5
                                        ;             Child Loop BB16_34 Depth 6
	s_mov_b32 s9, s23
	s_lshl_b64 s[4:5], s[8:9], 2
	s_add_u32 s4, s36, s4
	s_addc_u32 s5, s37, s5
	s_load_dword s4, s[4:5], 0x4
	s_waitcnt lgkmcnt(0)
	s_cmp_lg_u32 s4, 0
	s_cbranch_scc1 .LBB16_2
; %bb.4:                                ;   in Loop: Header=BB16_3 Depth=1
	s_and_b64 vcc, exec, s[2:3]
	s_cbranch_vccnz .LBB16_2
; %bb.5:                                ;   in Loop: Header=BB16_3 Depth=1
	s_mul_i32 s4, s13, s8
	s_mul_hi_u32 s5, s12, s8
	s_add_i32 s5, s5, s4
	s_mul_i32 s4, s12, s8
	s_lshl_b64 s[4:5], s[4:5], 2
	s_add_u32 s9, s59, s4
	s_addc_u32 s66, s60, s5
	s_mul_i32 s67, s8, s49
	s_mov_b32 s22, s6
	s_branch .LBB16_7
.LBB16_6:                               ;   in Loop: Header=BB16_7 Depth=2
	s_add_i32 s22, s22, s24
	s_cmp_lt_u32 s22, s49
	s_cbranch_scc0 .LBB16_2
.LBB16_7:                               ;   Parent Loop BB16_3 Depth=1
                                        ; =>  This Loop Header: Depth=2
                                        ;       Child Loop BB16_11 Depth 3
                                        ;       Child Loop BB16_17 Depth 3
                                        ;         Child Loop BB16_23 Depth 4
                                        ;           Child Loop BB16_25 Depth 5
                                        ;         Child Loop BB16_29 Depth 4
                                        ;           Child Loop BB16_32 Depth 5
                                        ;             Child Loop BB16_34 Depth 6
	s_lshl_b64 s[4:5], s[22:23], 2
	s_add_u32 s10, s16, s4
	s_addc_u32 s11, s17, s5
	s_add_u32 s4, s18, s4
	s_addc_u32 s5, s19, s5
	s_load_dword s28, s[4:5], 0x0
	s_load_dword s29, s[10:11], 0x0
	s_waitcnt lgkmcnt(0)
	s_max_i32 s68, s29, s28
	s_cmp_gt_i32 s68, s20
	s_cbranch_scc1 .LBB16_6
; %bb.8:                                ;   in Loop: Header=BB16_7 Depth=2
	s_add_i32 s4, s22, s67
	s_mul_i32 s4, s54, s4
	s_mov_b32 s5, s23
	s_lshl_b64 s[4:5], s[4:5], 2
	s_add_u32 s30, s14, s4
	s_addc_u32 s31, s15, s5
	s_andn2_b64 vcc, exec, s[38:39]
	s_cbranch_vccnz .LBB16_13
; %bb.9:                                ;   in Loop: Header=BB16_7 Depth=2
	s_barrier
	s_and_saveexec_b64 s[4:5], s[0:1]
	s_cbranch_execz .LBB16_12
; %bb.10:                               ;   in Loop: Header=BB16_7 Depth=2
	s_mov_b64 s[10:11], 0
	v_mov_b32_e32 v5, s31
	v_mov_b32_e32 v6, v9
	v_mov_b32_e32 v3, v8
.LBB16_11:                              ;   Parent Loop BB16_3 Depth=1
                                        ;     Parent Loop BB16_7 Depth=2
                                        ; =>    This Inner Loop Header: Depth=3
	v_lshlrev_b64 v[11:12], 2, v[3:4]
	v_add_u32_e32 v3, s56, v3
	v_add_co_u32_e32 v11, vcc, s30, v11
	v_addc_co_u32_e32 v12, vcc, v5, v12, vcc
	global_load_dword v11, v[11:12], off
	v_cmp_le_u32_e32 vcc, s54, v3
	s_or_b64 s[10:11], vcc, s[10:11]
	s_waitcnt vmcnt(0)
	ds_write_b32 v6, v11
	v_add_u32_e32 v6, s61, v6
	s_andn2_b64 exec, exec, s[10:11]
	s_cbranch_execnz .LBB16_11
.LBB16_12:                              ;   in Loop: Header=BB16_7 Depth=2
	s_or_b64 exec, exec, s[4:5]
	s_waitcnt lgkmcnt(0)
	s_barrier
.LBB16_13:                              ;   in Loop: Header=BB16_7 Depth=2
	s_andn2_b64 vcc, exec, s[40:41]
	s_cbranch_vccnz .LBB16_6
; %bb.14:                               ;   in Loop: Header=BB16_7 Depth=2
	s_min_i32 s69, s28, s29
	s_cmp_eq_u32 s69, s20
	s_cselect_b32 s71, s55, s21
	s_cmp_eq_u32 s68, s20
	s_cselect_b32 s4, s55, s21
	s_add_i32 s72, s71, s4
	s_mul_i32 s10, s68, s21
	s_and_b64 s[4:5], s[38:39], exec
	s_cselect_b32 s73, s53, s31
	s_cselect_b32 s74, s52, s30
	s_sub_i32 s75, s10, s71
	s_cmp_gt_i32 s72, 0
	s_mul_i32 s70, s69, s21
	v_cmp_gt_u32_e64 s[4:5], s72, v1
	s_cselect_b64 s[28:29], -1, 0
	s_mov_b32 s76, s64
	s_mov_b32 s77, s7
	s_branch .LBB16_17
.LBB16_15:                              ;   in Loop: Header=BB16_17 Depth=3
	s_or_b64 exec, exec, s[30:31]
	s_waitcnt vmcnt(0)
	s_barrier
.LBB16_16:                              ;   in Loop: Header=BB16_17 Depth=3
	s_add_i32 s77, s77, s25
	s_add_i32 s76, s76, s65
	s_cmp_lt_u32 s77, s48
	s_cbranch_scc0 .LBB16_6
.LBB16_17:                              ;   Parent Loop BB16_3 Depth=1
                                        ;     Parent Loop BB16_7 Depth=2
                                        ; =>    This Loop Header: Depth=3
                                        ;         Child Loop BB16_23 Depth 4
                                        ;           Child Loop BB16_25 Depth 5
                                        ;         Child Loop BB16_29 Depth 4
                                        ;           Child Loop BB16_32 Depth 5
                                        ;             Child Loop BB16_34 Depth 6
	v_cmp_ne_u32_e32 vcc, 1, v7
	s_mov_b64 s[10:11], s[34:35]
	s_cbranch_vccz .LBB16_19
; %bb.18:                               ;   in Loop: Header=BB16_17 Depth=3
	s_andn2_b64 vcc, exec, s[10:11]
	s_cbranch_vccnz .LBB16_16
	s_branch .LBB16_20
.LBB16_19:                              ;   in Loop: Header=BB16_17 Depth=3
	s_cmp_lg_u32 s77, s69
	s_cselect_b64 s[10:11], -1, 0
	s_cmp_lg_u32 s77, s68
	s_cselect_b64 s[30:31], -1, 0
	s_and_b64 s[10:11], s[10:11], s[30:31]
	s_andn2_b64 vcc, exec, s[10:11]
	s_cbranch_vccnz .LBB16_16
.LBB16_20:                              ;   in Loop: Header=BB16_17 Depth=3
	s_cmp_eq_u32 s77, s20
	s_cselect_b32 s78, s55, s21
	s_barrier
	s_and_saveexec_b64 s[30:31], s[4:5]
	s_cbranch_execz .LBB16_26
; %bb.21:                               ;   in Loop: Header=BB16_17 Depth=3
	v_mad_u64_u32 v[5:6], s[10:11], v10, s78, v[2:3]
	v_cmp_gt_u32_e32 vcc, s78, v0
	s_mul_i32 s79, s62, s78
	s_mov_b64 s[42:43], 0
	v_mov_b32_e32 v6, v1
	s_branch .LBB16_23
.LBB16_22:                              ;   in Loop: Header=BB16_23 Depth=4
	s_or_b64 exec, exec, s[44:45]
	v_add_u32_e32 v6, s50, v6
	v_cmp_le_u32_e64 s[10:11], s72, v6
	s_or_b64 s[42:43], s[10:11], s[42:43]
	v_add_u32_e32 v5, s79, v5
	s_andn2_b64 exec, exec, s[42:43]
	s_cbranch_execz .LBB16_26
.LBB16_23:                              ;   Parent Loop BB16_3 Depth=1
                                        ;     Parent Loop BB16_7 Depth=2
                                        ;       Parent Loop BB16_17 Depth=3
                                        ; =>      This Loop Header: Depth=4
                                        ;           Child Loop BB16_25 Depth 5
	s_and_saveexec_b64 s[44:45], vcc
	s_cbranch_execz .LBB16_22
; %bb.24:                               ;   in Loop: Header=BB16_23 Depth=4
	v_mov_b32_e32 v3, s75
	v_mov_b32_e32 v11, s70
	v_cmp_gt_u32_e64 s[10:11], s71, v6
	v_cndmask_b32_e64 v3, v3, v11, s[10:11]
	v_add_u32_e32 v13, v6, v3
	v_mad_u64_u32 v[11:12], s[10:11], v13, s58, 0
	s_mov_b64 s[46:47], 0
	v_mov_b32_e32 v14, v0
	v_mov_b32_e32 v3, v12
	v_mad_u64_u32 v[12:13], s[10:11], v13, s57, v[3:4]
	v_mov_b32_e32 v3, s66
	v_mov_b32_e32 v13, v5
	v_lshlrev_b64 v[11:12], 2, v[11:12]
	v_add_co_u32_e64 v11, s[10:11], s9, v11
	v_addc_co_u32_e64 v12, s[10:11], v3, v12, s[10:11]
.LBB16_25:                              ;   Parent Loop BB16_3 Depth=1
                                        ;     Parent Loop BB16_7 Depth=2
                                        ;       Parent Loop BB16_17 Depth=3
                                        ;         Parent Loop BB16_23 Depth=4
                                        ; =>        This Inner Loop Header: Depth=5
	v_add_u32_e32 v3, s76, v14
	v_lshlrev_b64 v[15:16], 2, v[3:4]
	v_add_u32_e32 v14, s27, v14
	v_add_co_u32_e64 v15, s[10:11], v11, v15
	v_addc_co_u32_e64 v16, s[10:11], v12, v16, s[10:11]
	global_load_dword v3, v[15:16], off
	v_cmp_le_u32_e64 s[10:11], s78, v14
	s_or_b64 s[46:47], s[10:11], s[46:47]
	s_waitcnt vmcnt(0)
	ds_write_b32 v13, v3
	v_add_u32_e32 v13, s63, v13
	s_andn2_b64 exec, exec, s[46:47]
	s_cbranch_execnz .LBB16_25
	s_branch .LBB16_22
.LBB16_26:                              ;   in Loop: Header=BB16_17 Depth=3
	s_or_b64 exec, exec, s[30:31]
	s_waitcnt lgkmcnt(0)
	s_barrier
	s_and_saveexec_b64 s[30:31], s[4:5]
	s_cbranch_execz .LBB16_15
; %bb.27:                               ;   in Loop: Header=BB16_17 Depth=3
	s_mul_i32 s79, s77, s21
	v_cmp_gt_u32_e64 s[10:11], s78, v0
	s_lshl_b32 s80, s78, 2
	s_mov_b64 s[42:43], 0
	v_mov_b32_e32 v5, v1
	s_branch .LBB16_29
.LBB16_28:                              ;   in Loop: Header=BB16_29 Depth=4
	s_or_b64 exec, exec, s[44:45]
	v_add_u32_e32 v5, s50, v5
	v_cmp_le_u32_e32 vcc, s72, v5
	s_or_b64 s[42:43], vcc, s[42:43]
	s_andn2_b64 exec, exec, s[42:43]
	s_cbranch_execz .LBB16_15
.LBB16_29:                              ;   Parent Loop BB16_3 Depth=1
                                        ;     Parent Loop BB16_7 Depth=2
                                        ;       Parent Loop BB16_17 Depth=3
                                        ; =>      This Loop Header: Depth=4
                                        ;           Child Loop BB16_32 Depth 5
                                        ;             Child Loop BB16_34 Depth 6
	s_and_saveexec_b64 s[44:45], s[10:11]
	s_cbranch_execz .LBB16_28
; %bb.30:                               ;   in Loop: Header=BB16_29 Depth=4
	v_mov_b32_e32 v3, s75
	v_mov_b32_e32 v6, s70
	v_cmp_gt_u32_e32 vcc, s71, v5
	v_cndmask_b32_e32 v3, v3, v6, vcc
	v_add_u32_e32 v6, v5, v3
	v_mad_u64_u32 v[11:12], s[46:47], v6, s58, 0
	v_mov_b32_e32 v3, v12
	v_mad_u64_u32 v[12:13], s[46:47], v6, s57, v[3:4]
	v_mov_b32_e32 v3, s66
	s_mov_b64 s[46:47], 0
	v_lshlrev_b64 v[11:12], 2, v[11:12]
	v_mov_b32_e32 v13, v0
	v_add_co_u32_e32 v6, vcc, s9, v11
	v_addc_co_u32_e32 v11, vcc, v3, v12, vcc
	v_mov_b32_e32 v12, v2
	s_branch .LBB16_32
.LBB16_31:                              ;   in Loop: Header=BB16_32 Depth=5
	v_add_u32_e32 v3, s79, v13
	v_lshlrev_b64 v[15:16], 2, v[3:4]
	v_add_u32_e32 v13, s27, v13
	v_add_co_u32_e32 v15, vcc, v6, v15
	v_addc_co_u32_e32 v16, vcc, v11, v16, vcc
	v_cmp_le_u32_e32 vcc, s78, v13
	s_or_b64 s[46:47], vcc, s[46:47]
	v_add_u32_e32 v12, s63, v12
	global_store_dword v[15:16], v14, off
	s_andn2_b64 exec, exec, s[46:47]
	s_cbranch_execz .LBB16_28
.LBB16_32:                              ;   Parent Loop BB16_3 Depth=1
                                        ;     Parent Loop BB16_7 Depth=2
                                        ;       Parent Loop BB16_17 Depth=3
                                        ;         Parent Loop BB16_29 Depth=4
                                        ; =>        This Loop Header: Depth=5
                                        ;             Child Loop BB16_34 Depth 6
	v_mov_b32_e32 v14, 0
	s_andn2_b64 vcc, exec, s[28:29]
	s_cbranch_vccnz .LBB16_31
; %bb.33:                               ;   in Loop: Header=BB16_32 Depth=5
	v_mov_b32_e32 v3, v5
	v_mov_b32_e32 v15, v12
	s_mov_b32 s81, s72
.LBB16_34:                              ;   Parent Loop BB16_3 Depth=1
                                        ;     Parent Loop BB16_7 Depth=2
                                        ;       Parent Loop BB16_17 Depth=3
                                        ;         Parent Loop BB16_29 Depth=4
                                        ;           Parent Loop BB16_32 Depth=5
                                        ; =>          This Inner Loop Header: Depth=6
	v_lshlrev_b64 v[16:17], 2, v[3:4]
	v_mov_b32_e32 v18, s73
	v_add_co_u32_e32 v16, vcc, s74, v16
	v_addc_co_u32_e32 v17, vcc, v18, v17, vcc
	flat_load_dword v16, v[16:17]
	ds_read_b32 v17, v15
	s_add_i32 s81, s81, -1
	v_add_u32_e32 v15, s80, v15
	v_add_u32_e32 v3, s51, v3
	s_cmp_eq_u32 s81, 0
	s_waitcnt vmcnt(0) lgkmcnt(0)
	v_fmac_f32_e32 v14, v17, v16
	s_cbranch_scc0 .LBB16_34
	s_branch .LBB16_31
.LBB16_35:
	s_endpgm
	.section	.rodata,"a",@progbits
	.p2align	6, 0x0
	.amdhsa_kernel _ZN9rocsolver6v33100L17syevj_offd_rotateILb0EffPfEEvbiiT2_iilPT0_PiS6_S6_i
		.amdhsa_group_segment_fixed_size 0
		.amdhsa_private_segment_fixed_size 0
		.amdhsa_kernarg_size 336
		.amdhsa_user_sgpr_count 6
		.amdhsa_user_sgpr_private_segment_buffer 1
		.amdhsa_user_sgpr_dispatch_ptr 0
		.amdhsa_user_sgpr_queue_ptr 0
		.amdhsa_user_sgpr_kernarg_segment_ptr 1
		.amdhsa_user_sgpr_dispatch_id 0
		.amdhsa_user_sgpr_flat_scratch_init 0
		.amdhsa_user_sgpr_private_segment_size 0
		.amdhsa_uses_dynamic_stack 0
		.amdhsa_system_sgpr_private_segment_wavefront_offset 0
		.amdhsa_system_sgpr_workgroup_id_x 1
		.amdhsa_system_sgpr_workgroup_id_y 1
		.amdhsa_system_sgpr_workgroup_id_z 1
		.amdhsa_system_sgpr_workgroup_info 0
		.amdhsa_system_vgpr_workitem_id 1
		.amdhsa_next_free_vgpr 19
		.amdhsa_next_free_sgpr 82
		.amdhsa_reserve_vcc 1
		.amdhsa_reserve_flat_scratch 0
		.amdhsa_float_round_mode_32 0
		.amdhsa_float_round_mode_16_64 0
		.amdhsa_float_denorm_mode_32 3
		.amdhsa_float_denorm_mode_16_64 3
		.amdhsa_dx10_clamp 1
		.amdhsa_ieee_mode 1
		.amdhsa_fp16_overflow 0
		.amdhsa_exception_fp_ieee_invalid_op 0
		.amdhsa_exception_fp_denorm_src 0
		.amdhsa_exception_fp_ieee_div_zero 0
		.amdhsa_exception_fp_ieee_overflow 0
		.amdhsa_exception_fp_ieee_underflow 0
		.amdhsa_exception_fp_ieee_inexact 0
		.amdhsa_exception_int_div_zero 0
	.end_amdhsa_kernel
	.section	.text._ZN9rocsolver6v33100L17syevj_offd_rotateILb0EffPfEEvbiiT2_iilPT0_PiS6_S6_i,"axG",@progbits,_ZN9rocsolver6v33100L17syevj_offd_rotateILb0EffPfEEvbiiT2_iilPT0_PiS6_S6_i,comdat
.Lfunc_end16:
	.size	_ZN9rocsolver6v33100L17syevj_offd_rotateILb0EffPfEEvbiiT2_iilPT0_PiS6_S6_i, .Lfunc_end16-_ZN9rocsolver6v33100L17syevj_offd_rotateILb0EffPfEEvbiiT2_iilPT0_PiS6_S6_i
                                        ; -- End function
	.set _ZN9rocsolver6v33100L17syevj_offd_rotateILb0EffPfEEvbiiT2_iilPT0_PiS6_S6_i.num_vgpr, 19
	.set _ZN9rocsolver6v33100L17syevj_offd_rotateILb0EffPfEEvbiiT2_iilPT0_PiS6_S6_i.num_agpr, 0
	.set _ZN9rocsolver6v33100L17syevj_offd_rotateILb0EffPfEEvbiiT2_iilPT0_PiS6_S6_i.numbered_sgpr, 82
	.set _ZN9rocsolver6v33100L17syevj_offd_rotateILb0EffPfEEvbiiT2_iilPT0_PiS6_S6_i.num_named_barrier, 0
	.set _ZN9rocsolver6v33100L17syevj_offd_rotateILb0EffPfEEvbiiT2_iilPT0_PiS6_S6_i.private_seg_size, 0
	.set _ZN9rocsolver6v33100L17syevj_offd_rotateILb0EffPfEEvbiiT2_iilPT0_PiS6_S6_i.uses_vcc, 1
	.set _ZN9rocsolver6v33100L17syevj_offd_rotateILb0EffPfEEvbiiT2_iilPT0_PiS6_S6_i.uses_flat_scratch, 0
	.set _ZN9rocsolver6v33100L17syevj_offd_rotateILb0EffPfEEvbiiT2_iilPT0_PiS6_S6_i.has_dyn_sized_stack, 0
	.set _ZN9rocsolver6v33100L17syevj_offd_rotateILb0EffPfEEvbiiT2_iilPT0_PiS6_S6_i.has_recursion, 0
	.set _ZN9rocsolver6v33100L17syevj_offd_rotateILb0EffPfEEvbiiT2_iilPT0_PiS6_S6_i.has_indirect_call, 0
	.section	.AMDGPU.csdata,"",@progbits
; Kernel info:
; codeLenInByte = 1456
; TotalNumSgprs: 86
; NumVgprs: 19
; ScratchSize: 0
; MemoryBound: 0
; FloatMode: 240
; IeeeMode: 1
; LDSByteSize: 0 bytes/workgroup (compile time only)
; SGPRBlocks: 10
; VGPRBlocks: 4
; NumSGPRsForWavesPerEU: 86
; NumVGPRsForWavesPerEU: 19
; Occupancy: 9
; WaveLimiterHint : 1
; COMPUTE_PGM_RSRC2:SCRATCH_EN: 0
; COMPUTE_PGM_RSRC2:USER_SGPR: 6
; COMPUTE_PGM_RSRC2:TRAP_HANDLER: 0
; COMPUTE_PGM_RSRC2:TGID_X_EN: 1
; COMPUTE_PGM_RSRC2:TGID_Y_EN: 1
; COMPUTE_PGM_RSRC2:TGID_Z_EN: 1
; COMPUTE_PGM_RSRC2:TIDIG_COMP_CNT: 1
	.section	.text._ZN9rocsolver6v33100L21syevj_offd_rotate_orgILb1EffPfEEvbiiT2_iilPT0_PiS6_S6_,"axG",@progbits,_ZN9rocsolver6v33100L21syevj_offd_rotate_orgILb1EffPfEEvbiiT2_iilPT0_PiS6_S6_,comdat
	.globl	_ZN9rocsolver6v33100L21syevj_offd_rotate_orgILb1EffPfEEvbiiT2_iilPT0_PiS6_S6_ ; -- Begin function _ZN9rocsolver6v33100L21syevj_offd_rotate_orgILb1EffPfEEvbiiT2_iilPT0_PiS6_S6_
	.p2align	8
	.type	_ZN9rocsolver6v33100L21syevj_offd_rotate_orgILb1EffPfEEvbiiT2_iilPT0_PiS6_S6_,@function
_ZN9rocsolver6v33100L21syevj_offd_rotate_orgILb1EffPfEEvbiiT2_iilPT0_PiS6_S6_: ; @_ZN9rocsolver6v33100L21syevj_offd_rotate_orgILb1EffPfEEvbiiT2_iilPT0_PiS6_S6_
; %bb.0:
	s_load_dwordx2 s[0:1], s[4:5], 0x40
	s_ashr_i32 s9, s8, 31
	s_lshl_b64 s[2:3], s[8:9], 2
	s_waitcnt lgkmcnt(0)
	s_add_u32 s0, s0, s2
	s_addc_u32 s1, s1, s3
	s_load_dword s0, s[0:1], 0x4
	s_waitcnt lgkmcnt(0)
	s_cmp_lg_u32 s0, 0
	s_cbranch_scc0 .LBB17_2
.LBB17_1:
	s_endpgm
.LBB17_2:
	s_load_dwordx8 s[12:19], s[4:5], 0x20
	s_mov_b32 s20, s7
	s_ashr_i32 s7, s6, 31
	s_lshl_b64 s[0:1], s[6:7], 2
	s_waitcnt lgkmcnt(0)
	s_add_u32 s2, s16, s0
	s_addc_u32 s3, s17, s1
	s_add_u32 s10, s18, s0
	s_load_dword s7, s[2:3], 0x0
	s_addc_u32 s11, s19, s1
	s_load_dword s16, s[10:11], 0x0
	s_load_dwordx4 s[0:3], s[4:5], 0x0
	s_waitcnt lgkmcnt(0)
	s_max_i32 s3, s7, s16
	s_cmp_ge_i32 s3, s1
	s_cbranch_scc1 .LBB17_1
; %bb.3:
	s_add_u32 s10, s4, 0x48
	s_addc_u32 s11, s5, 0
	s_bitcmp1_b32 s0, 0
	s_cselect_b64 s[0:1], -1, 0
	s_xor_b64 s[0:1], s[0:1], -1
	s_min_i32 s17, s7, s16
	s_and_b64 vcc, exec, s[0:1]
	s_mov_b32 s16, s20
	s_cbranch_vccnz .LBB17_5
; %bb.4:
	s_lshr_b32 s0, s16, 31
	s_add_i32 s0, s16, s0
	s_ashr_i32 s7, s0, 1
	s_cmp_lg_u32 s7, s17
	s_cselect_b64 s[0:1], -1, 0
	s_cmp_lg_u32 s7, s3
	s_cselect_b64 s[18:19], -1, 0
	s_and_b64 s[0:1], s[0:1], s[18:19]
.LBB17_5:
	s_andn2_b64 vcc, exec, s[0:1]
	s_cbranch_vccnz .LBB17_1
; %bb.6:
	s_load_dword s1, s[10:11], 0xc
	s_waitcnt lgkmcnt(0)
	s_bfe_u32 s7, s1, 0xf0001
	s_mul_i32 s10, s3, s7
	s_mul_i32 s0, s17, s7
	s_sub_i32 s3, s10, s7
	s_lshr_b32 s11, s1, 16
	v_mov_b32_e32 v2, s0
	v_mov_b32_e32 v3, s3
	v_cmp_gt_u32_e32 vcc, s7, v0
	v_cndmask_b32_e32 v2, v3, v2, vcc
	s_mul_i32 s3, s16, s11
	v_add_u32_e32 v5, v2, v0
	v_add_u32_e32 v1, s3, v1
	v_max_i32_e32 v2, v5, v1
	v_cmp_gt_i32_e32 vcc, s2, v2
	s_and_saveexec_b64 s[16:17], vcc
	s_cbranch_execz .LBB17_1
; %bb.7:
	s_load_dword s11, s[4:5], 0x48
	s_load_dwordx4 s[16:19], s[4:5], 0x10
	s_mul_i32 s9, s12, s9
	s_lshl_b32 s3, s7, 1
	s_waitcnt lgkmcnt(0)
	s_mul_i32 s11, s11, s8
	s_add_i32 s6, s11, s6
	s_mul_hi_u32 s11, s12, s8
	s_add_i32 s9, s11, s9
	s_mul_i32 s11, s13, s8
	s_add_i32 s9, s9, s11
	s_mul_i32 s8, s12, s8
	s_ashr_i32 s5, s18, 31
	s_lshl_b64 s[8:9], s[8:9], 2
	s_mov_b32 s4, s18
	s_add_u32 s8, s16, s8
	s_addc_u32 s9, s17, s9
	s_lshl_b64 s[4:5], s[4:5], 2
	s_mul_i32 s6, s6, s7
	s_add_u32 s4, s8, s4
	s_mul_i32 s6, s6, s7
	s_addc_u32 s5, s9, s5
	s_lshl_b32 s8, s6, 2
	s_ashr_i32 s9, s8, 31
	s_lshl_b64 s[8:9], s[8:9], 2
	v_mul_lo_u32 v8, v1, s19
	s_add_u32 s6, s14, s8
	s_addc_u32 s8, s15, s9
	s_and_b32 s1, 0xffff, s1
	s_cmp_gt_u32 s1, 1
	s_cbranch_scc0 .LBB17_11
; %bb.8:
	v_mul_lo_u32 v7, v1, s19
	v_mov_b32_e32 v2, 0
	v_mov_b32_e32 v9, s8
	;; [unrolled: 1-line block ×3, first 2 shown]
	v_add_u32_e32 v3, s0, v7
	v_mov_b32_e32 v1, v0
	s_mov_b32 s0, s7
	v_mov_b32_e32 v6, v2
.LBB17_9:                               ; =>This Inner Loop Header: Depth=1
	v_lshlrev_b64 v[11:12], 2, v[1:2]
	v_ashrrev_i32_e32 v4, 31, v3
	v_lshlrev_b64 v[13:14], 2, v[3:4]
	v_add_co_u32_e32 v11, vcc, s6, v11
	v_addc_co_u32_e32 v12, vcc, v9, v12, vcc
	global_load_dword v4, v[11:12], off
	v_add_co_u32_e32 v11, vcc, s4, v13
	v_addc_co_u32_e32 v12, vcc, v10, v14, vcc
	global_load_dword v11, v[11:12], off
	s_add_i32 s0, s0, -1
	v_add_u32_e32 v1, s3, v1
	v_add_u32_e32 v3, 1, v3
	s_cmp_eq_u32 s0, 0
	s_waitcnt vmcnt(0)
	v_fmac_f32_e32 v6, v4, v11
	s_cbranch_scc0 .LBB17_9
; %bb.10:
	s_mov_b64 s[0:1], 0
	s_branch .LBB17_12
.LBB17_11:
	s_mov_b64 s[0:1], -1
                                        ; implicit-def: $vgpr6
                                        ; implicit-def: $vgpr7
.LBB17_12:
	s_and_b64 vcc, exec, s[0:1]
	s_cbranch_vccz .LBB17_14
; %bb.13:
	v_mov_b32_e32 v6, 0
	v_mov_b32_e32 v7, v8
.LBB17_14:
	s_sub_i32 s0, s2, s10
	s_min_i32 s0, s0, s7
	s_cmp_lt_i32 s0, 1
	s_cbranch_scc1 .LBB17_17
; %bb.15:
	s_mul_i32 s7, s7, s7
	v_lshl_add_u32 v0, s7, 1, v0
	v_add_u32_e32 v2, s10, v7
	v_mov_b32_e32 v1, 0
	v_mov_b32_e32 v4, s8
	;; [unrolled: 1-line block ×3, first 2 shown]
.LBB17_16:                              ; =>This Inner Loop Header: Depth=1
	v_lshlrev_b64 v[9:10], 2, v[0:1]
	v_ashrrev_i32_e32 v3, 31, v2
	v_lshlrev_b64 v[11:12], 2, v[2:3]
	v_add_co_u32_e32 v9, vcc, s6, v9
	v_addc_co_u32_e32 v10, vcc, v4, v10, vcc
	global_load_dword v3, v[9:10], off
	v_add_co_u32_e32 v9, vcc, s4, v11
	v_addc_co_u32_e32 v10, vcc, v8, v12, vcc
	global_load_dword v9, v[9:10], off
	s_add_i32 s0, s0, -1
	v_add_u32_e32 v0, s3, v0
	v_add_u32_e32 v2, 1, v2
	s_cmp_lg_u32 s0, 0
	s_waitcnt vmcnt(0)
	v_fmac_f32_e32 v6, v3, v9
	s_cbranch_scc1 .LBB17_16
.LBB17_17:
	v_add_u32_e32 v0, v5, v7
	v_ashrrev_i32_e32 v1, 31, v0
	v_lshlrev_b64 v[0:1], 2, v[0:1]
	v_mov_b32_e32 v2, s5
	v_add_co_u32_e32 v0, vcc, s4, v0
	v_addc_co_u32_e32 v1, vcc, v2, v1, vcc
	s_barrier
	global_store_dword v[0:1], v6, off
	s_endpgm
	.section	.rodata,"a",@progbits
	.p2align	6, 0x0
	.amdhsa_kernel _ZN9rocsolver6v33100L21syevj_offd_rotate_orgILb1EffPfEEvbiiT2_iilPT0_PiS6_S6_
		.amdhsa_group_segment_fixed_size 0
		.amdhsa_private_segment_fixed_size 0
		.amdhsa_kernarg_size 328
		.amdhsa_user_sgpr_count 6
		.amdhsa_user_sgpr_private_segment_buffer 1
		.amdhsa_user_sgpr_dispatch_ptr 0
		.amdhsa_user_sgpr_queue_ptr 0
		.amdhsa_user_sgpr_kernarg_segment_ptr 1
		.amdhsa_user_sgpr_dispatch_id 0
		.amdhsa_user_sgpr_flat_scratch_init 0
		.amdhsa_user_sgpr_private_segment_size 0
		.amdhsa_uses_dynamic_stack 0
		.amdhsa_system_sgpr_private_segment_wavefront_offset 0
		.amdhsa_system_sgpr_workgroup_id_x 1
		.amdhsa_system_sgpr_workgroup_id_y 1
		.amdhsa_system_sgpr_workgroup_id_z 1
		.amdhsa_system_sgpr_workgroup_info 0
		.amdhsa_system_vgpr_workitem_id 1
		.amdhsa_next_free_vgpr 15
		.amdhsa_next_free_sgpr 21
		.amdhsa_reserve_vcc 1
		.amdhsa_reserve_flat_scratch 0
		.amdhsa_float_round_mode_32 0
		.amdhsa_float_round_mode_16_64 0
		.amdhsa_float_denorm_mode_32 3
		.amdhsa_float_denorm_mode_16_64 3
		.amdhsa_dx10_clamp 1
		.amdhsa_ieee_mode 1
		.amdhsa_fp16_overflow 0
		.amdhsa_exception_fp_ieee_invalid_op 0
		.amdhsa_exception_fp_denorm_src 0
		.amdhsa_exception_fp_ieee_div_zero 0
		.amdhsa_exception_fp_ieee_overflow 0
		.amdhsa_exception_fp_ieee_underflow 0
		.amdhsa_exception_fp_ieee_inexact 0
		.amdhsa_exception_int_div_zero 0
	.end_amdhsa_kernel
	.section	.text._ZN9rocsolver6v33100L21syevj_offd_rotate_orgILb1EffPfEEvbiiT2_iilPT0_PiS6_S6_,"axG",@progbits,_ZN9rocsolver6v33100L21syevj_offd_rotate_orgILb1EffPfEEvbiiT2_iilPT0_PiS6_S6_,comdat
.Lfunc_end17:
	.size	_ZN9rocsolver6v33100L21syevj_offd_rotate_orgILb1EffPfEEvbiiT2_iilPT0_PiS6_S6_, .Lfunc_end17-_ZN9rocsolver6v33100L21syevj_offd_rotate_orgILb1EffPfEEvbiiT2_iilPT0_PiS6_S6_
                                        ; -- End function
	.set _ZN9rocsolver6v33100L21syevj_offd_rotate_orgILb1EffPfEEvbiiT2_iilPT0_PiS6_S6_.num_vgpr, 15
	.set _ZN9rocsolver6v33100L21syevj_offd_rotate_orgILb1EffPfEEvbiiT2_iilPT0_PiS6_S6_.num_agpr, 0
	.set _ZN9rocsolver6v33100L21syevj_offd_rotate_orgILb1EffPfEEvbiiT2_iilPT0_PiS6_S6_.numbered_sgpr, 21
	.set _ZN9rocsolver6v33100L21syevj_offd_rotate_orgILb1EffPfEEvbiiT2_iilPT0_PiS6_S6_.num_named_barrier, 0
	.set _ZN9rocsolver6v33100L21syevj_offd_rotate_orgILb1EffPfEEvbiiT2_iilPT0_PiS6_S6_.private_seg_size, 0
	.set _ZN9rocsolver6v33100L21syevj_offd_rotate_orgILb1EffPfEEvbiiT2_iilPT0_PiS6_S6_.uses_vcc, 1
	.set _ZN9rocsolver6v33100L21syevj_offd_rotate_orgILb1EffPfEEvbiiT2_iilPT0_PiS6_S6_.uses_flat_scratch, 0
	.set _ZN9rocsolver6v33100L21syevj_offd_rotate_orgILb1EffPfEEvbiiT2_iilPT0_PiS6_S6_.has_dyn_sized_stack, 0
	.set _ZN9rocsolver6v33100L21syevj_offd_rotate_orgILb1EffPfEEvbiiT2_iilPT0_PiS6_S6_.has_recursion, 0
	.set _ZN9rocsolver6v33100L21syevj_offd_rotate_orgILb1EffPfEEvbiiT2_iilPT0_PiS6_S6_.has_indirect_call, 0
	.section	.AMDGPU.csdata,"",@progbits
; Kernel info:
; codeLenInByte = 744
; TotalNumSgprs: 25
; NumVgprs: 15
; ScratchSize: 0
; MemoryBound: 0
; FloatMode: 240
; IeeeMode: 1
; LDSByteSize: 0 bytes/workgroup (compile time only)
; SGPRBlocks: 3
; VGPRBlocks: 3
; NumSGPRsForWavesPerEU: 25
; NumVGPRsForWavesPerEU: 15
; Occupancy: 10
; WaveLimiterHint : 0
; COMPUTE_PGM_RSRC2:SCRATCH_EN: 0
; COMPUTE_PGM_RSRC2:USER_SGPR: 6
; COMPUTE_PGM_RSRC2:TRAP_HANDLER: 0
; COMPUTE_PGM_RSRC2:TGID_X_EN: 1
; COMPUTE_PGM_RSRC2:TGID_Y_EN: 1
; COMPUTE_PGM_RSRC2:TGID_Z_EN: 1
; COMPUTE_PGM_RSRC2:TIDIG_COMP_CNT: 1
	.section	.text._ZN9rocsolver6v33100L17syevj_offd_rotateILb1EffPfEEvbiiT2_iilPT0_PiS6_S6_i,"axG",@progbits,_ZN9rocsolver6v33100L17syevj_offd_rotateILb1EffPfEEvbiiT2_iilPT0_PiS6_S6_i,comdat
	.globl	_ZN9rocsolver6v33100L17syevj_offd_rotateILb1EffPfEEvbiiT2_iilPT0_PiS6_S6_i ; -- Begin function _ZN9rocsolver6v33100L17syevj_offd_rotateILb1EffPfEEvbiiT2_iilPT0_PiS6_S6_i
	.p2align	8
	.type	_ZN9rocsolver6v33100L17syevj_offd_rotateILb1EffPfEEvbiiT2_iilPT0_PiS6_S6_i,@function
_ZN9rocsolver6v33100L17syevj_offd_rotateILb1EffPfEEvbiiT2_iilPT0_PiS6_S6_i: ; @_ZN9rocsolver6v33100L17syevj_offd_rotateILb1EffPfEEvbiiT2_iilPT0_PiS6_S6_i
; %bb.0:
	s_load_dwordx4 s[20:23], s[4:5], 0x0
	s_load_dword s33, s[4:5], 0x48
	s_waitcnt lgkmcnt(0)
	s_abs_i32 s2, s21
	v_cvt_f32_u32_e32 v2, s2
	s_cmp_ge_u32 s8, s33
	v_rcp_iflag_f32_e32 v2, v2
	v_mul_f32_e32 v2, 0x4f7ffffe, v2
	v_cvt_u32_f32_e32 v2, v2
	v_readfirstlane_b32 s3, v2
	s_cbranch_scc1 .LBB18_35
; %bb.1:
	s_sub_i32 s10, 0, s2
	s_mov_b64 s[0:1], src_shared_base
	s_mul_i32 s10, s10, s3
	s_add_i32 s0, s22, -1
	s_mul_hi_u32 s10, s3, s10
	s_ashr_i32 s9, s0, 31
	s_ashr_i32 s24, s21, 31
	s_abs_i32 s0, s0
	s_add_i32 s3, s3, s10
	s_bitcmp1_b32 s20, 0
	s_mul_hi_u32 s3, s0, s3
	s_cselect_b64 s[10:11], -1, 0
	v_cndmask_b32_e64 v4, 0, 1, s[10:11]
	s_xor_b64 s[34:35], s[10:11], -1
	s_mul_i32 s10, s3, s2
	s_sub_i32 s0, s0, s10
	s_xor_b32 s9, s9, s24
	s_add_i32 s10, s3, 1
	s_sub_i32 s11, s0, s2
	s_cmp_ge_u32 s0, s2
	s_cselect_b32 s3, s10, s3
	s_cselect_b32 s0, s11, s0
	s_add_i32 s10, s3, 1
	s_cmp_ge_u32 s0, s2
	s_cselect_b32 s0, s10, s3
	s_xor_b32 s0, s0, s9
	s_sub_i32 s20, s0, s9
	s_add_i32 s48, s20, 1
	s_lshr_b32 s0, s48, 31
	s_add_i32 s0, s48, s0
	s_and_b32 s0, s0, -2
	s_sub_i32 s0, s48, s0
	s_load_dwordx4 s[28:31], s[4:5], 0x10
	s_load_dwordx8 s[12:19], s[4:5], 0x20
	s_load_dwordx2 s[36:37], s[4:5], 0x40
	s_load_dwordx4 s[24:27], s[4:5], 0x50
	s_add_i32 s0, s0, s48
	s_lshr_b32 s2, s0, 31
	s_add_i32 s0, s0, s2
	s_lshl_b32 s51, s21, 1
	s_ashr_i32 s49, s0, 1
	s_mul_i32 s0, s51, s21
	s_lshl_b32 s2, s0, 2
	s_waitcnt lgkmcnt(0)
	s_lshr_b32 s50, s27, 16
	s_and_b32 s27, s27, 0xffff
	s_add_i32 s52, s2, 0
	s_mul_i32 s0, s0, 3
	s_cmpk_lt_u32 s0, 0x4001
	s_mul_i32 s9, s21, s21
	s_cselect_b64 s[38:39], -1, 0
	s_ashr_i32 s3, s30, 31
	s_lshl_b32 s54, s9, 2
	s_cmp_lt_u32 s6, s49
	s_mul_i32 s0, s20, s21
	s_cselect_b64 s[4:5], -1, 0
	s_sub_i32 s55, s22, s0
	s_mov_b32 s2, s30
	s_cmp_lt_u32 s7, s48
	s_cselect_b64 s[40:41], -1, 0
	s_ashr_i32 s57, s31, 31
	s_lshl_b64 s[2:3], s[2:3], 2
	s_add_u32 s59, s28, s2
	s_addc_u32 s60, s29, s3
	s_lshl_b32 s2, s9, 3
	v_mad_u32_u24 v5, v1, s27, v0
	s_mul_i32 s56, s50, s27
	s_add_i32 s2, s2, 0
	v_cndmask_b32_e64 v2, 0, 1, s[4:5]
	s_mov_b32 s23, 0
	s_mov_b32 s53, s1
	v_cmp_gt_u32_e64 s[0:1], s54, v5
	s_mov_b32 s58, s31
	v_lshl_add_u32 v6, v5, 2, s2
	s_lshl_b32 s61, s56, 2
	v_lshl_add_u32 v7, v0, 2, 0
	v_lshlrev_b32_e32 v8, 2, v1
	s_lshl_b32 s62, s50, 2
	s_lshl_b32 s63, s27, 2
	v_mov_b32_e32 v3, 0
	v_cmp_ne_u32_e64 s[2:3], 1, v2
	s_branch .LBB18_3
.LBB18_2:                               ;   in Loop: Header=BB18_3 Depth=1
	s_add_i32 s8, s8, s26
	s_cmp_ge_u32 s8, s33
	s_cbranch_scc1 .LBB18_35
.LBB18_3:                               ; =>This Loop Header: Depth=1
                                        ;     Child Loop BB18_7 Depth 2
                                        ;       Child Loop BB18_11 Depth 3
                                        ;       Child Loop BB18_17 Depth 3
                                        ;         Child Loop BB18_23 Depth 4
                                        ;           Child Loop BB18_25 Depth 5
                                        ;         Child Loop BB18_29 Depth 4
                                        ;           Child Loop BB18_32 Depth 5
                                        ;             Child Loop BB18_34 Depth 6
	s_mov_b32 s9, s23
	s_lshl_b64 s[4:5], s[8:9], 2
	s_add_u32 s4, s36, s4
	s_addc_u32 s5, s37, s5
	s_load_dword s4, s[4:5], 0x4
	s_waitcnt lgkmcnt(0)
	s_cmp_lg_u32 s4, 0
	s_cbranch_scc1 .LBB18_2
; %bb.4:                                ;   in Loop: Header=BB18_3 Depth=1
	s_and_b64 vcc, exec, s[2:3]
	s_cbranch_vccnz .LBB18_2
; %bb.5:                                ;   in Loop: Header=BB18_3 Depth=1
	s_mul_i32 s4, s13, s8
	s_mul_hi_u32 s5, s12, s8
	s_add_i32 s5, s5, s4
	s_mul_i32 s4, s12, s8
	s_lshl_b64 s[4:5], s[4:5], 2
	s_add_u32 s9, s59, s4
	s_addc_u32 s64, s60, s5
	s_mul_i32 s65, s8, s49
	s_mov_b32 s22, s6
	s_branch .LBB18_7
.LBB18_6:                               ;   in Loop: Header=BB18_7 Depth=2
	s_add_i32 s22, s22, s24
	s_cmp_lt_u32 s22, s49
	s_cbranch_scc0 .LBB18_2
.LBB18_7:                               ;   Parent Loop BB18_3 Depth=1
                                        ; =>  This Loop Header: Depth=2
                                        ;       Child Loop BB18_11 Depth 3
                                        ;       Child Loop BB18_17 Depth 3
                                        ;         Child Loop BB18_23 Depth 4
                                        ;           Child Loop BB18_25 Depth 5
                                        ;         Child Loop BB18_29 Depth 4
                                        ;           Child Loop BB18_32 Depth 5
                                        ;             Child Loop BB18_34 Depth 6
	s_lshl_b64 s[4:5], s[22:23], 2
	s_add_u32 s10, s16, s4
	s_addc_u32 s11, s17, s5
	s_add_u32 s4, s18, s4
	s_addc_u32 s5, s19, s5
	s_load_dword s28, s[4:5], 0x0
	s_load_dword s29, s[10:11], 0x0
	s_waitcnt lgkmcnt(0)
	s_max_i32 s66, s29, s28
	s_cmp_gt_i32 s66, s20
	s_cbranch_scc1 .LBB18_6
; %bb.8:                                ;   in Loop: Header=BB18_7 Depth=2
	s_add_i32 s4, s22, s65
	s_mul_i32 s4, s54, s4
	s_mov_b32 s5, s23
	s_lshl_b64 s[4:5], s[4:5], 2
	s_add_u32 s30, s14, s4
	s_addc_u32 s31, s15, s5
	s_andn2_b64 vcc, exec, s[38:39]
	s_cbranch_vccnz .LBB18_13
; %bb.9:                                ;   in Loop: Header=BB18_7 Depth=2
	s_barrier
	s_and_saveexec_b64 s[4:5], s[0:1]
	s_cbranch_execz .LBB18_12
; %bb.10:                               ;   in Loop: Header=BB18_7 Depth=2
	s_mov_b64 s[10:11], 0
	v_mov_b32_e32 v9, s31
	v_mov_b32_e32 v10, v6
	;; [unrolled: 1-line block ×3, first 2 shown]
.LBB18_11:                              ;   Parent Loop BB18_3 Depth=1
                                        ;     Parent Loop BB18_7 Depth=2
                                        ; =>    This Inner Loop Header: Depth=3
	v_lshlrev_b64 v[11:12], 2, v[2:3]
	v_add_u32_e32 v2, s56, v2
	v_add_co_u32_e32 v11, vcc, s30, v11
	v_addc_co_u32_e32 v12, vcc, v9, v12, vcc
	global_load_dword v11, v[11:12], off
	v_cmp_le_u32_e32 vcc, s54, v2
	s_or_b64 s[10:11], vcc, s[10:11]
	s_waitcnt vmcnt(0)
	ds_write_b32 v10, v11
	v_add_u32_e32 v10, s61, v10
	s_andn2_b64 exec, exec, s[10:11]
	s_cbranch_execnz .LBB18_11
.LBB18_12:                              ;   in Loop: Header=BB18_7 Depth=2
	s_or_b64 exec, exec, s[4:5]
	s_waitcnt lgkmcnt(0)
	s_barrier
.LBB18_13:                              ;   in Loop: Header=BB18_7 Depth=2
	s_andn2_b64 vcc, exec, s[40:41]
	s_cbranch_vccnz .LBB18_6
; %bb.14:                               ;   in Loop: Header=BB18_7 Depth=2
	s_min_i32 s67, s28, s29
	s_cmp_eq_u32 s67, s20
	s_cselect_b32 s69, s55, s21
	s_cmp_eq_u32 s66, s20
	s_cselect_b32 s4, s55, s21
	s_add_i32 s70, s69, s4
	v_mul_lo_u32 v2, v8, s70
	s_mul_i32 s10, s66, s21
	s_and_b64 s[4:5], s[38:39], exec
	s_cselect_b32 s71, s53, s31
	s_cselect_b32 s72, s52, s30
	s_sub_i32 s73, s10, s69
	s_cmp_gt_i32 s70, 0
	s_mul_i32 s68, s67, s21
	v_cmp_gt_u32_e64 s[4:5], s70, v0
	s_cselect_b64 s[28:29], -1, 0
	v_add_u32_e32 v9, v7, v2
	s_mul_i32 s74, s62, s70
	v_add_u32_e32 v10, 0, v2
	s_mov_b32 s75, s7
	s_branch .LBB18_17
.LBB18_15:                              ;   in Loop: Header=BB18_17 Depth=3
	s_or_b64 exec, exec, s[10:11]
	s_waitcnt vmcnt(0)
	s_barrier
.LBB18_16:                              ;   in Loop: Header=BB18_17 Depth=3
	s_add_i32 s75, s75, s25
	s_cmp_lt_u32 s75, s48
	s_cbranch_scc0 .LBB18_6
.LBB18_17:                              ;   Parent Loop BB18_3 Depth=1
                                        ;     Parent Loop BB18_7 Depth=2
                                        ; =>    This Loop Header: Depth=3
                                        ;         Child Loop BB18_23 Depth 4
                                        ;           Child Loop BB18_25 Depth 5
                                        ;         Child Loop BB18_29 Depth 4
                                        ;           Child Loop BB18_32 Depth 5
                                        ;             Child Loop BB18_34 Depth 6
	v_cmp_ne_u32_e32 vcc, 1, v4
	s_mov_b64 s[10:11], s[34:35]
	s_cbranch_vccz .LBB18_19
; %bb.18:                               ;   in Loop: Header=BB18_17 Depth=3
	s_andn2_b64 vcc, exec, s[10:11]
	s_cbranch_vccnz .LBB18_16
	s_branch .LBB18_20
.LBB18_19:                              ;   in Loop: Header=BB18_17 Depth=3
	s_cmp_lg_u32 s75, s67
	s_cselect_b64 s[10:11], -1, 0
	s_cmp_lg_u32 s75, s66
	s_cselect_b64 s[30:31], -1, 0
	s_and_b64 s[10:11], s[10:11], s[30:31]
	s_andn2_b64 vcc, exec, s[10:11]
	s_cbranch_vccnz .LBB18_16
.LBB18_20:                              ;   in Loop: Header=BB18_17 Depth=3
	s_cmp_eq_u32 s75, s20
	s_cselect_b32 s77, s55, s21
	s_mul_i32 s76, s75, s21
	v_cmp_gt_u32_e32 vcc, s77, v1
	s_barrier
	s_and_saveexec_b64 s[30:31], vcc
	s_cbranch_execz .LBB18_26
; %bb.21:                               ;   in Loop: Header=BB18_17 Depth=3
	s_mov_b64 s[42:43], 0
	v_mov_b32_e32 v11, v9
	v_mov_b32_e32 v12, v1
	s_branch .LBB18_23
.LBB18_22:                              ;   in Loop: Header=BB18_23 Depth=4
	s_or_b64 exec, exec, s[44:45]
	v_add_u32_e32 v12, s50, v12
	v_cmp_le_u32_e64 s[10:11], s77, v12
	s_or_b64 s[42:43], s[10:11], s[42:43]
	v_add_u32_e32 v11, s74, v11
	s_andn2_b64 exec, exec, s[42:43]
	s_cbranch_execz .LBB18_26
.LBB18_23:                              ;   Parent Loop BB18_3 Depth=1
                                        ;     Parent Loop BB18_7 Depth=2
                                        ;       Parent Loop BB18_17 Depth=3
                                        ; =>      This Loop Header: Depth=4
                                        ;           Child Loop BB18_25 Depth 5
	s_and_saveexec_b64 s[44:45], s[4:5]
	s_cbranch_execz .LBB18_22
; %bb.24:                               ;   in Loop: Header=BB18_23 Depth=4
	v_add_u32_e32 v15, s76, v12
	v_mad_u64_u32 v[13:14], s[10:11], v15, s58, 0
	s_mov_b64 s[46:47], 0
	v_mov_b32_e32 v16, v0
	v_mov_b32_e32 v2, v14
	v_mad_u64_u32 v[14:15], s[10:11], v15, s57, v[2:3]
	v_mov_b32_e32 v2, s64
	v_mov_b32_e32 v15, v11
	v_lshlrev_b64 v[13:14], 2, v[13:14]
	v_add_co_u32_e64 v13, s[10:11], s9, v13
	v_addc_co_u32_e64 v14, s[10:11], v2, v14, s[10:11]
.LBB18_25:                              ;   Parent Loop BB18_3 Depth=1
                                        ;     Parent Loop BB18_7 Depth=2
                                        ;       Parent Loop BB18_17 Depth=3
                                        ;         Parent Loop BB18_23 Depth=4
                                        ; =>        This Inner Loop Header: Depth=5
	v_mov_b32_e32 v2, s73
	v_mov_b32_e32 v17, s68
	v_cmp_gt_u32_e64 s[10:11], s69, v16
	v_cndmask_b32_e64 v2, v2, v17, s[10:11]
	v_add_u32_e32 v2, v2, v16
	v_lshlrev_b64 v[17:18], 2, v[2:3]
	v_add_u32_e32 v16, s27, v16
	v_add_co_u32_e64 v17, s[10:11], v13, v17
	v_addc_co_u32_e64 v18, s[10:11], v14, v18, s[10:11]
	global_load_dword v2, v[17:18], off
	v_cmp_le_u32_e64 s[10:11], s70, v16
	s_or_b64 s[46:47], s[10:11], s[46:47]
	s_waitcnt vmcnt(0)
	ds_write_b32 v15, v2
	v_add_u32_e32 v15, s63, v15
	s_andn2_b64 exec, exec, s[46:47]
	s_cbranch_execnz .LBB18_25
	s_branch .LBB18_22
.LBB18_26:                              ;   in Loop: Header=BB18_17 Depth=3
	s_or_b64 exec, exec, s[30:31]
	s_waitcnt lgkmcnt(0)
	s_barrier
	s_and_saveexec_b64 s[10:11], vcc
	s_cbranch_execz .LBB18_15
; %bb.27:                               ;   in Loop: Header=BB18_17 Depth=3
	s_mov_b64 s[30:31], 0
	v_mov_b32_e32 v11, v10
	v_mov_b32_e32 v12, v1
	s_branch .LBB18_29
.LBB18_28:                              ;   in Loop: Header=BB18_29 Depth=4
	s_or_b64 exec, exec, s[42:43]
	v_add_u32_e32 v12, s50, v12
	v_cmp_le_u32_e32 vcc, s77, v12
	s_or_b64 s[30:31], vcc, s[30:31]
	v_add_u32_e32 v11, s74, v11
	s_andn2_b64 exec, exec, s[30:31]
	s_cbranch_execz .LBB18_15
.LBB18_29:                              ;   Parent Loop BB18_3 Depth=1
                                        ;     Parent Loop BB18_7 Depth=2
                                        ;       Parent Loop BB18_17 Depth=3
                                        ; =>      This Loop Header: Depth=4
                                        ;           Child Loop BB18_32 Depth 5
                                        ;             Child Loop BB18_34 Depth 6
	s_and_saveexec_b64 s[42:43], s[4:5]
	s_cbranch_execz .LBB18_28
; %bb.30:                               ;   in Loop: Header=BB18_29 Depth=4
	v_add_u32_e32 v15, s76, v12
	v_mad_u64_u32 v[13:14], s[44:45], v15, s58, 0
	v_mov_b32_e32 v2, v14
	v_mad_u64_u32 v[14:15], s[44:45], v15, s57, v[2:3]
	v_mov_b32_e32 v2, s64
	s_mov_b64 s[44:45], 0
	v_lshlrev_b64 v[13:14], 2, v[13:14]
	v_mov_b32_e32 v15, v0
	v_add_co_u32_e32 v13, vcc, s9, v13
	v_addc_co_u32_e32 v14, vcc, v2, v14, vcc
	s_branch .LBB18_32
.LBB18_31:                              ;   in Loop: Header=BB18_32 Depth=5
	v_mov_b32_e32 v2, s73
	v_mov_b32_e32 v17, s68
	v_cmp_gt_u32_e32 vcc, s69, v15
	v_cndmask_b32_e32 v2, v2, v17, vcc
	v_add_u32_e32 v2, v15, v2
	v_lshlrev_b64 v[17:18], 2, v[2:3]
	v_add_u32_e32 v15, s27, v15
	v_add_co_u32_e32 v17, vcc, v13, v17
	v_addc_co_u32_e32 v18, vcc, v14, v18, vcc
	v_cmp_le_u32_e32 vcc, s70, v15
	s_or_b64 s[44:45], vcc, s[44:45]
	global_store_dword v[17:18], v16, off
	s_andn2_b64 exec, exec, s[44:45]
	s_cbranch_execz .LBB18_28
.LBB18_32:                              ;   Parent Loop BB18_3 Depth=1
                                        ;     Parent Loop BB18_7 Depth=2
                                        ;       Parent Loop BB18_17 Depth=3
                                        ;         Parent Loop BB18_29 Depth=4
                                        ; =>        This Loop Header: Depth=5
                                        ;             Child Loop BB18_34 Depth 6
	v_mov_b32_e32 v16, 0
	s_andn2_b64 vcc, exec, s[28:29]
	s_cbranch_vccnz .LBB18_31
; %bb.33:                               ;   in Loop: Header=BB18_32 Depth=5
	v_mov_b32_e32 v2, v15
	s_mov_b32 s46, s70
	v_mov_b32_e32 v17, v11
.LBB18_34:                              ;   Parent Loop BB18_3 Depth=1
                                        ;     Parent Loop BB18_7 Depth=2
                                        ;       Parent Loop BB18_17 Depth=3
                                        ;         Parent Loop BB18_29 Depth=4
                                        ;           Parent Loop BB18_32 Depth=5
                                        ; =>          This Inner Loop Header: Depth=6
	v_lshlrev_b64 v[18:19], 2, v[2:3]
	v_mov_b32_e32 v20, s71
	v_add_co_u32_e32 v18, vcc, s72, v18
	v_addc_co_u32_e32 v19, vcc, v20, v19, vcc
	flat_load_dword v18, v[18:19]
	ds_read_b32 v19, v17
	s_add_i32 s46, s46, -1
	v_add_u32_e32 v17, 4, v17
	v_add_u32_e32 v2, s51, v2
	s_cmp_eq_u32 s46, 0
	s_waitcnt vmcnt(0) lgkmcnt(0)
	v_fmac_f32_e32 v16, v18, v19
	s_cbranch_scc0 .LBB18_34
	s_branch .LBB18_31
.LBB18_35:
	s_endpgm
	.section	.rodata,"a",@progbits
	.p2align	6, 0x0
	.amdhsa_kernel _ZN9rocsolver6v33100L17syevj_offd_rotateILb1EffPfEEvbiiT2_iilPT0_PiS6_S6_i
		.amdhsa_group_segment_fixed_size 0
		.amdhsa_private_segment_fixed_size 0
		.amdhsa_kernarg_size 336
		.amdhsa_user_sgpr_count 6
		.amdhsa_user_sgpr_private_segment_buffer 1
		.amdhsa_user_sgpr_dispatch_ptr 0
		.amdhsa_user_sgpr_queue_ptr 0
		.amdhsa_user_sgpr_kernarg_segment_ptr 1
		.amdhsa_user_sgpr_dispatch_id 0
		.amdhsa_user_sgpr_flat_scratch_init 0
		.amdhsa_user_sgpr_private_segment_size 0
		.amdhsa_uses_dynamic_stack 0
		.amdhsa_system_sgpr_private_segment_wavefront_offset 0
		.amdhsa_system_sgpr_workgroup_id_x 1
		.amdhsa_system_sgpr_workgroup_id_y 1
		.amdhsa_system_sgpr_workgroup_id_z 1
		.amdhsa_system_sgpr_workgroup_info 0
		.amdhsa_system_vgpr_workitem_id 1
		.amdhsa_next_free_vgpr 21
		.amdhsa_next_free_sgpr 78
		.amdhsa_reserve_vcc 1
		.amdhsa_reserve_flat_scratch 0
		.amdhsa_float_round_mode_32 0
		.amdhsa_float_round_mode_16_64 0
		.amdhsa_float_denorm_mode_32 3
		.amdhsa_float_denorm_mode_16_64 3
		.amdhsa_dx10_clamp 1
		.amdhsa_ieee_mode 1
		.amdhsa_fp16_overflow 0
		.amdhsa_exception_fp_ieee_invalid_op 0
		.amdhsa_exception_fp_denorm_src 0
		.amdhsa_exception_fp_ieee_div_zero 0
		.amdhsa_exception_fp_ieee_overflow 0
		.amdhsa_exception_fp_ieee_underflow 0
		.amdhsa_exception_fp_ieee_inexact 0
		.amdhsa_exception_int_div_zero 0
	.end_amdhsa_kernel
	.section	.text._ZN9rocsolver6v33100L17syevj_offd_rotateILb1EffPfEEvbiiT2_iilPT0_PiS6_S6_i,"axG",@progbits,_ZN9rocsolver6v33100L17syevj_offd_rotateILb1EffPfEEvbiiT2_iilPT0_PiS6_S6_i,comdat
.Lfunc_end18:
	.size	_ZN9rocsolver6v33100L17syevj_offd_rotateILb1EffPfEEvbiiT2_iilPT0_PiS6_S6_i, .Lfunc_end18-_ZN9rocsolver6v33100L17syevj_offd_rotateILb1EffPfEEvbiiT2_iilPT0_PiS6_S6_i
                                        ; -- End function
	.set _ZN9rocsolver6v33100L17syevj_offd_rotateILb1EffPfEEvbiiT2_iilPT0_PiS6_S6_i.num_vgpr, 21
	.set _ZN9rocsolver6v33100L17syevj_offd_rotateILb1EffPfEEvbiiT2_iilPT0_PiS6_S6_i.num_agpr, 0
	.set _ZN9rocsolver6v33100L17syevj_offd_rotateILb1EffPfEEvbiiT2_iilPT0_PiS6_S6_i.numbered_sgpr, 78
	.set _ZN9rocsolver6v33100L17syevj_offd_rotateILb1EffPfEEvbiiT2_iilPT0_PiS6_S6_i.num_named_barrier, 0
	.set _ZN9rocsolver6v33100L17syevj_offd_rotateILb1EffPfEEvbiiT2_iilPT0_PiS6_S6_i.private_seg_size, 0
	.set _ZN9rocsolver6v33100L17syevj_offd_rotateILb1EffPfEEvbiiT2_iilPT0_PiS6_S6_i.uses_vcc, 1
	.set _ZN9rocsolver6v33100L17syevj_offd_rotateILb1EffPfEEvbiiT2_iilPT0_PiS6_S6_i.uses_flat_scratch, 0
	.set _ZN9rocsolver6v33100L17syevj_offd_rotateILb1EffPfEEvbiiT2_iilPT0_PiS6_S6_i.has_dyn_sized_stack, 0
	.set _ZN9rocsolver6v33100L17syevj_offd_rotateILb1EffPfEEvbiiT2_iilPT0_PiS6_S6_i.has_recursion, 0
	.set _ZN9rocsolver6v33100L17syevj_offd_rotateILb1EffPfEEvbiiT2_iilPT0_PiS6_S6_i.has_indirect_call, 0
	.section	.AMDGPU.csdata,"",@progbits
; Kernel info:
; codeLenInByte = 1440
; TotalNumSgprs: 82
; NumVgprs: 21
; ScratchSize: 0
; MemoryBound: 0
; FloatMode: 240
; IeeeMode: 1
; LDSByteSize: 0 bytes/workgroup (compile time only)
; SGPRBlocks: 10
; VGPRBlocks: 5
; NumSGPRsForWavesPerEU: 82
; NumVGPRsForWavesPerEU: 21
; Occupancy: 9
; WaveLimiterHint : 1
; COMPUTE_PGM_RSRC2:SCRATCH_EN: 0
; COMPUTE_PGM_RSRC2:USER_SGPR: 6
; COMPUTE_PGM_RSRC2:TRAP_HANDLER: 0
; COMPUTE_PGM_RSRC2:TGID_X_EN: 1
; COMPUTE_PGM_RSRC2:TGID_Y_EN: 1
; COMPUTE_PGM_RSRC2:TGID_Z_EN: 1
; COMPUTE_PGM_RSRC2:TIDIG_COMP_CNT: 1
	.section	.text._ZN9rocsolver6v33100L17syevj_cycle_pairsIfEEviPiS2_,"axG",@progbits,_ZN9rocsolver6v33100L17syevj_cycle_pairsIfEEviPiS2_,comdat
	.globl	_ZN9rocsolver6v33100L17syevj_cycle_pairsIfEEviPiS2_ ; -- Begin function _ZN9rocsolver6v33100L17syevj_cycle_pairsIfEEviPiS2_
	.p2align	8
	.type	_ZN9rocsolver6v33100L17syevj_cycle_pairsIfEEviPiS2_,@function
_ZN9rocsolver6v33100L17syevj_cycle_pairsIfEEviPiS2_: ; @_ZN9rocsolver6v33100L17syevj_cycle_pairsIfEEviPiS2_
; %bb.0:
	s_load_dword s8, s[4:5], 0x0
	s_load_dwordx4 s[0:3], s[4:5], 0x8
	s_load_dword s11, s[4:5], 0x24
	v_cmp_eq_u32_e32 vcc, 0, v0
	s_waitcnt lgkmcnt(0)
	s_add_i32 s9, s8, -1
	s_and_saveexec_b64 s[4:5], vcc
	s_cbranch_execz .LBB19_6
; %bb.1:
	s_lshl_b32 s6, s9, 1
	s_or_b32 s7, s6, 1
	s_bfe_i32 s10, s9, 0x1001e
	s_add_i32 s12, s7, s10
	s_xor_b32 s10, s12, s10
	v_cvt_f32_u32_e32 v1, s10
	s_load_dword s12, s[2:3], 0x0
	s_sub_i32 s14, 0, s10
	v_rcp_iflag_f32_e32 v1, v1
	s_waitcnt lgkmcnt(0)
	s_add_i32 s12, s12, -1
	s_ashr_i32 s13, s12, 31
	v_mul_f32_e32 v1, 0x4f7ffffe, v1
	v_cvt_u32_f32_e32 v1, v1
	s_abs_i32 s12, s12
	v_readfirstlane_b32 s15, v1
	s_mul_i32 s14, s14, s15
	s_mul_hi_u32 s14, s15, s14
	s_add_i32 s15, s15, s14
	s_mul_hi_u32 s14, s12, s15
	s_mul_i32 s14, s14, s10
	s_sub_i32 s12, s12, s14
	s_sub_i32 s14, s12, s10
	s_cmp_ge_u32 s12, s10
	s_cselect_b32 s12, s14, s12
	s_sub_i32 s14, s12, s10
	s_cmp_ge_u32 s12, s10
	s_cselect_b32 s10, s14, s12
	s_xor_b32 s10, s10, s13
	s_sub_i32 s10, s10, s13
	s_bitcmp0_b32 s10, 0
	s_cbranch_scc1 .LBB19_3
; %bb.2:
	s_add_i32 s12, s10, 3
	s_cmp_gt_i32 s12, s6
	s_cselect_b32 s12, s7, s12
	s_cbranch_execz .LBB19_4
	s_branch .LBB19_5
.LBB19_3:
                                        ; implicit-def: $sgpr12
.LBB19_4:
	s_add_i32 s6, s10, -1
	s_cmp_gt_i32 s10, 1
	s_cselect_b32 s12, s6, 2
.LBB19_5:
	v_mov_b32_e32 v1, 0
	v_mov_b32_e32 v2, s12
	global_store_dword v1, v2, s[2:3]
.LBB19_6:
	s_or_b64 exec, exec, s[4:5]
	v_add_u32_e32 v2, 1, v0
	v_cmp_gt_i32_e32 vcc, s8, v2
	s_and_saveexec_b64 s[4:5], vcc
	s_cbranch_execz .LBB19_17
; %bb.7:
	s_lshl_b32 s9, s9, 1
	s_or_b32 s10, s9, 1
	v_cvt_f32_u32_e32 v1, s10
	s_sub_i32 s4, 0, s10
	v_lshlrev_b32_e32 v0, 2, v0
	s_and_b32 s11, 0xffff, s11
	v_rcp_iflag_f32_e32 v1, v1
	v_mov_b32_e32 v3, s1
	s_lshl_b32 s1, s11, 2
	v_mov_b32_e32 v7, s3
	v_mul_f32_e32 v1, 0x4f7ffffe, v1
	v_cvt_u32_f32_e32 v1, v1
	v_mul_lo_u32 v4, s4, v1
	s_mov_b64 s[4:5], 0
	v_mul_hi_u32 v6, v1, v4
	v_add_co_u32_e32 v4, vcc, 4, v0
	v_addc_co_u32_e64 v5, s[6:7], 0, 0, vcc
	v_add_u32_e32 v6, v1, v6
	s_branch .LBB19_9
.LBB19_8:                               ;   in Loop: Header=BB19_9 Depth=1
	s_or_b64 exec, exec, s[6:7]
	v_add_u32_e32 v2, s11, v2
	v_cmp_le_i32_e32 vcc, s8, v2
	s_or_b64 s[4:5], vcc, s[4:5]
	v_add_co_u32_e32 v4, vcc, s1, v4
	v_addc_co_u32_e32 v5, vcc, 0, v5, vcc
	global_store_dword v[0:1], v8, off
	s_andn2_b64 exec, exec, s[4:5]
	s_cbranch_execz .LBB19_17
.LBB19_9:                               ; =>This Inner Loop Header: Depth=1
	v_add_co_u32_e32 v0, vcc, s0, v4
	v_addc_co_u32_e32 v1, vcc, v3, v5, vcc
	global_load_dword v8, v[0:1], off
	s_waitcnt vmcnt(0)
	v_add_u32_e32 v8, -1, v8
	v_sub_u32_e32 v9, 0, v8
	v_max_i32_e32 v9, v8, v9
	v_mul_hi_u32 v10, v9, v6
	v_ashrrev_i32_e32 v8, 31, v8
	v_mul_lo_u32 v10, v10, s10
	v_sub_u32_e32 v9, v9, v10
	v_subrev_u32_e32 v10, s10, v9
	v_cmp_le_u32_e32 vcc, s10, v9
	v_cndmask_b32_e32 v9, v9, v10, vcc
	v_subrev_u32_e32 v10, s10, v9
	v_cmp_le_u32_e32 vcc, s10, v9
	v_cndmask_b32_e32 v9, v9, v10, vcc
	v_xor_b32_e32 v9, v9, v8
	v_sub_u32_e32 v9, v9, v8
	v_and_b32_e32 v8, 1, v9
	v_cmp_eq_u32_e32 vcc, 1, v8
                                        ; implicit-def: $vgpr8
	s_and_saveexec_b64 s[6:7], vcc
	s_xor_b64 s[6:7], exec, s[6:7]
; %bb.10:                               ;   in Loop: Header=BB19_9 Depth=1
	v_add_u32_e32 v8, 3, v9
	v_mov_b32_e32 v9, s10
	v_cmp_lt_i32_e32 vcc, s9, v8
	v_cndmask_b32_e32 v8, v8, v9, vcc
                                        ; implicit-def: $vgpr9
; %bb.11:                               ;   in Loop: Header=BB19_9 Depth=1
	s_andn2_saveexec_b64 s[6:7], s[6:7]
; %bb.12:                               ;   in Loop: Header=BB19_9 Depth=1
	v_add_u32_e32 v8, -1, v9
	v_cmp_lt_i32_e32 vcc, 1, v9
	v_cndmask_b32_e32 v8, 2, v8, vcc
; %bb.13:                               ;   in Loop: Header=BB19_9 Depth=1
	s_or_b64 exec, exec, s[6:7]
	global_store_dword v[0:1], v8, off
	v_add_co_u32_e32 v0, vcc, s2, v4
	v_addc_co_u32_e32 v1, vcc, v7, v5, vcc
	global_load_dword v8, v[0:1], off
	s_waitcnt vmcnt(0)
	v_add_u32_e32 v8, -1, v8
	v_sub_u32_e32 v9, 0, v8
	v_max_i32_e32 v9, v8, v9
	v_mul_hi_u32 v10, v9, v6
	v_ashrrev_i32_e32 v8, 31, v8
	v_mul_lo_u32 v10, v10, s10
	v_sub_u32_e32 v9, v9, v10
	v_subrev_u32_e32 v10, s10, v9
	v_cmp_le_u32_e32 vcc, s10, v9
	v_cndmask_b32_e32 v9, v9, v10, vcc
	v_subrev_u32_e32 v10, s10, v9
	v_cmp_le_u32_e32 vcc, s10, v9
	v_cndmask_b32_e32 v9, v9, v10, vcc
	v_xor_b32_e32 v9, v9, v8
	v_sub_u32_e32 v9, v9, v8
	v_and_b32_e32 v8, 1, v9
	v_cmp_eq_u32_e32 vcc, 1, v8
                                        ; implicit-def: $vgpr8
	s_and_saveexec_b64 s[6:7], vcc
	s_xor_b64 s[6:7], exec, s[6:7]
; %bb.14:                               ;   in Loop: Header=BB19_9 Depth=1
	v_add_u32_e32 v8, 3, v9
	v_mov_b32_e32 v9, s10
	v_cmp_lt_i32_e32 vcc, s9, v8
	v_cndmask_b32_e32 v8, v8, v9, vcc
                                        ; implicit-def: $vgpr9
; %bb.15:                               ;   in Loop: Header=BB19_9 Depth=1
	s_andn2_saveexec_b64 s[6:7], s[6:7]
	s_cbranch_execz .LBB19_8
; %bb.16:                               ;   in Loop: Header=BB19_9 Depth=1
	v_add_u32_e32 v8, -1, v9
	v_cmp_lt_i32_e32 vcc, 1, v9
	v_cndmask_b32_e32 v8, 2, v8, vcc
	s_branch .LBB19_8
.LBB19_17:
	s_endpgm
	.section	.rodata,"a",@progbits
	.p2align	6, 0x0
	.amdhsa_kernel _ZN9rocsolver6v33100L17syevj_cycle_pairsIfEEviPiS2_
		.amdhsa_group_segment_fixed_size 0
		.amdhsa_private_segment_fixed_size 0
		.amdhsa_kernarg_size 280
		.amdhsa_user_sgpr_count 6
		.amdhsa_user_sgpr_private_segment_buffer 1
		.amdhsa_user_sgpr_dispatch_ptr 0
		.amdhsa_user_sgpr_queue_ptr 0
		.amdhsa_user_sgpr_kernarg_segment_ptr 1
		.amdhsa_user_sgpr_dispatch_id 0
		.amdhsa_user_sgpr_flat_scratch_init 0
		.amdhsa_user_sgpr_private_segment_size 0
		.amdhsa_uses_dynamic_stack 0
		.amdhsa_system_sgpr_private_segment_wavefront_offset 0
		.amdhsa_system_sgpr_workgroup_id_x 1
		.amdhsa_system_sgpr_workgroup_id_y 0
		.amdhsa_system_sgpr_workgroup_id_z 0
		.amdhsa_system_sgpr_workgroup_info 0
		.amdhsa_system_vgpr_workitem_id 0
		.amdhsa_next_free_vgpr 11
		.amdhsa_next_free_sgpr 16
		.amdhsa_reserve_vcc 1
		.amdhsa_reserve_flat_scratch 0
		.amdhsa_float_round_mode_32 0
		.amdhsa_float_round_mode_16_64 0
		.amdhsa_float_denorm_mode_32 3
		.amdhsa_float_denorm_mode_16_64 3
		.amdhsa_dx10_clamp 1
		.amdhsa_ieee_mode 1
		.amdhsa_fp16_overflow 0
		.amdhsa_exception_fp_ieee_invalid_op 0
		.amdhsa_exception_fp_denorm_src 0
		.amdhsa_exception_fp_ieee_div_zero 0
		.amdhsa_exception_fp_ieee_overflow 0
		.amdhsa_exception_fp_ieee_underflow 0
		.amdhsa_exception_fp_ieee_inexact 0
		.amdhsa_exception_int_div_zero 0
	.end_amdhsa_kernel
	.section	.text._ZN9rocsolver6v33100L17syevj_cycle_pairsIfEEviPiS2_,"axG",@progbits,_ZN9rocsolver6v33100L17syevj_cycle_pairsIfEEviPiS2_,comdat
.Lfunc_end19:
	.size	_ZN9rocsolver6v33100L17syevj_cycle_pairsIfEEviPiS2_, .Lfunc_end19-_ZN9rocsolver6v33100L17syevj_cycle_pairsIfEEviPiS2_
                                        ; -- End function
	.set _ZN9rocsolver6v33100L17syevj_cycle_pairsIfEEviPiS2_.num_vgpr, 11
	.set _ZN9rocsolver6v33100L17syevj_cycle_pairsIfEEviPiS2_.num_agpr, 0
	.set _ZN9rocsolver6v33100L17syevj_cycle_pairsIfEEviPiS2_.numbered_sgpr, 16
	.set _ZN9rocsolver6v33100L17syevj_cycle_pairsIfEEviPiS2_.num_named_barrier, 0
	.set _ZN9rocsolver6v33100L17syevj_cycle_pairsIfEEviPiS2_.private_seg_size, 0
	.set _ZN9rocsolver6v33100L17syevj_cycle_pairsIfEEviPiS2_.uses_vcc, 1
	.set _ZN9rocsolver6v33100L17syevj_cycle_pairsIfEEviPiS2_.uses_flat_scratch, 0
	.set _ZN9rocsolver6v33100L17syevj_cycle_pairsIfEEviPiS2_.has_dyn_sized_stack, 0
	.set _ZN9rocsolver6v33100L17syevj_cycle_pairsIfEEviPiS2_.has_recursion, 0
	.set _ZN9rocsolver6v33100L17syevj_cycle_pairsIfEEviPiS2_.has_indirect_call, 0
	.section	.AMDGPU.csdata,"",@progbits
; Kernel info:
; codeLenInByte = 684
; TotalNumSgprs: 20
; NumVgprs: 11
; ScratchSize: 0
; MemoryBound: 0
; FloatMode: 240
; IeeeMode: 1
; LDSByteSize: 0 bytes/workgroup (compile time only)
; SGPRBlocks: 2
; VGPRBlocks: 2
; NumSGPRsForWavesPerEU: 20
; NumVGPRsForWavesPerEU: 11
; Occupancy: 10
; WaveLimiterHint : 0
; COMPUTE_PGM_RSRC2:SCRATCH_EN: 0
; COMPUTE_PGM_RSRC2:USER_SGPR: 6
; COMPUTE_PGM_RSRC2:TRAP_HANDLER: 0
; COMPUTE_PGM_RSRC2:TGID_X_EN: 1
; COMPUTE_PGM_RSRC2:TGID_Y_EN: 0
; COMPUTE_PGM_RSRC2:TGID_Z_EN: 0
; COMPUTE_PGM_RSRC2:TIDIG_COMP_CNT: 0
	.section	.text._ZN9rocsolver6v33100L15syevj_calc_normIffEEviiPT0_PT_S3_Pi,"axG",@progbits,_ZN9rocsolver6v33100L15syevj_calc_normIffEEviiPT0_PT_S3_Pi,comdat
	.globl	_ZN9rocsolver6v33100L15syevj_calc_normIffEEviiPT0_PT_S3_Pi ; -- Begin function _ZN9rocsolver6v33100L15syevj_calc_normIffEEviiPT0_PT_S3_Pi
	.p2align	8
	.type	_ZN9rocsolver6v33100L15syevj_calc_normIffEEviiPT0_PT_S3_Pi,@function
_ZN9rocsolver6v33100L15syevj_calc_normIffEEviiPT0_PT_S3_Pi: ; @_ZN9rocsolver6v33100L15syevj_calc_normIffEEviiPT0_PT_S3_Pi
; %bb.0:
	s_load_dwordx8 s[8:15], s[4:5], 0x8
	s_mov_b32 s16, s7
	s_ashr_i32 s17, s7, 31
	s_lshl_b64 s[6:7], s[16:17], 2
	s_waitcnt lgkmcnt(0)
	s_add_u32 s0, s14, s6
	s_addc_u32 s1, s15, s7
	s_load_dword s2, s[0:1], 0x4
	s_waitcnt lgkmcnt(0)
	s_cmp_lg_u32 s2, 0
	s_cbranch_scc0 .LBB20_2
.LBB20_1:
	s_endpgm
.LBB20_2:
	s_load_dword s17, s[4:5], 0x34
	s_load_dwordx2 s[2:3], s[4:5], 0x0
	v_mov_b32_e32 v5, 0
	s_waitcnt lgkmcnt(0)
	s_and_b32 s22, s17, 0xffff
	v_cmp_gt_i32_e32 vcc, s2, v0
	s_and_saveexec_b64 s[4:5], vcc
	s_cbranch_execz .LBB20_10
; %bb.3:
	s_mul_i32 s16, s2, s16
	s_mul_i32 s16, s16, s2
	s_ashr_i32 s17, s16, 31
	s_lshl_b64 s[16:17], s[16:17], 2
	s_add_u32 s10, s10, s16
	v_lshlrev_b32_e32 v1, 2, v0
	s_addc_u32 s11, s11, s17
	v_mov_b32_e32 v2, s11
	v_add_co_u32_e32 v1, vcc, s10, v1
	s_ashr_i32 s11, s2, 31
	s_mov_b32 s10, s2
	v_mov_b32_e32 v5, 0
	v_addc_co_u32_e32 v2, vcc, 0, v2, vcc
	s_lshl_b32 s23, s22, 2
	s_lshl_b64 s[16:17], s[10:11], 2
	s_mov_b64 s[10:11], 0
	v_mov_b32_e32 v6, v0
	s_branch .LBB20_6
.LBB20_4:                               ;   in Loop: Header=BB20_6 Depth=1
	s_or_b64 exec, exec, s[20:21]
.LBB20_5:                               ;   in Loop: Header=BB20_6 Depth=1
	s_or_b64 exec, exec, s[18:19]
	v_add_u32_e32 v6, s22, v6
	v_cmp_le_i32_e32 vcc, s2, v6
	s_or_b64 s[10:11], vcc, s[10:11]
	v_add_co_u32_e32 v1, vcc, s23, v1
	v_addc_co_u32_e32 v2, vcc, 0, v2, vcc
	s_andn2_b64 exec, exec, s[10:11]
	s_cbranch_execz .LBB20_9
.LBB20_6:                               ; =>This Loop Header: Depth=1
                                        ;     Child Loop BB20_8 Depth 2
	v_cmp_ne_u32_e32 vcc, 0, v6
	s_and_saveexec_b64 s[18:19], vcc
	s_cbranch_execz .LBB20_5
; %bb.7:                                ;   in Loop: Header=BB20_6 Depth=1
	v_mov_b32_e32 v4, v2
	s_mov_b64 s[20:21], 0
	v_mov_b32_e32 v3, v1
	v_mov_b32_e32 v7, v6
.LBB20_8:                               ;   Parent Loop BB20_6 Depth=1
                                        ; =>  This Inner Loop Header: Depth=2
	global_load_dword v8, v[3:4], off
	v_mov_b32_e32 v9, s17
	v_add_co_u32_e32 v3, vcc, s16, v3
	v_add_u32_e32 v7, -1, v7
	v_addc_co_u32_e32 v4, vcc, v4, v9, vcc
	v_cmp_eq_u32_e32 vcc, 0, v7
	s_or_b64 s[20:21], vcc, s[20:21]
	s_waitcnt vmcnt(0)
	v_mul_f32_e32 v8, v8, v8
	v_fmac_f32_e32 v5, 2.0, v8
	s_andn2_b64 exec, exec, s[20:21]
	s_cbranch_execnz .LBB20_8
	s_branch .LBB20_4
.LBB20_9:
	s_or_b64 exec, exec, s[10:11]
.LBB20_10:
	s_or_b64 exec, exec, s[4:5]
	v_lshl_add_u32 v1, v0, 2, 0
	v_cmp_eq_u32_e32 vcc, 0, v0
	ds_write_b32 v1, v5
	s_waitcnt lgkmcnt(0)
	s_barrier
	s_and_saveexec_b64 s[4:5], vcc
	s_cbranch_execz .LBB20_1
; %bb.11:
	s_min_i32 s4, s2, s22
	s_cmp_lt_i32 s4, 2
	s_cbranch_scc1 .LBB20_20
; %bb.12:
	s_add_i32 s2, s4, -1
	s_add_i32 s4, s4, -2
	s_cmp_lt_u32 s4, 7
	s_cbranch_scc1 .LBB20_16
; %bb.13:
	s_mov_b32 s10, 0
	s_add_i32 s4, 0, 4
	s_and_b32 s5, s2, -8
.LBB20_14:                              ; =>This Inner Loop Header: Depth=1
	v_mov_b32_e32 v4, s4
	ds_read2_b32 v[0:1], v4 offset1:1
	ds_read2_b32 v[2:3], v4 offset0:2 offset1:3
	ds_read2_b32 v[6:7], v4 offset0:4 offset1:5
	;; [unrolled: 1-line block ×3, first 2 shown]
	s_mov_b32 s11, s10
	s_waitcnt lgkmcnt(3)
	v_add_f32_e32 v0, v5, v0
	v_add_f32_e32 v0, v0, v1
	s_waitcnt lgkmcnt(2)
	v_add_f32_e32 v0, v0, v2
	v_add_f32_e32 v0, v0, v3
	;; [unrolled: 3-line block ×3, first 2 shown]
	s_add_i32 s4, s4, 32
	s_add_i32 s10, s10, 8
	s_waitcnt lgkmcnt(0)
	v_add_f32_e32 v0, v0, v8
	s_cmp_lg_u32 s5, s10
	v_add_f32_e32 v5, v0, v9
	s_cbranch_scc1 .LBB20_14
; %bb.15:
	s_add_i32 s4, s11, 9
	s_branch .LBB20_17
.LBB20_16:
	s_mov_b32 s4, 1
.LBB20_17:
	s_and_b32 s2, s2, 7
	s_cmp_eq_u32 s2, 0
	s_cbranch_scc1 .LBB20_20
; %bb.18:
	s_lshl_b32 s4, s4, 2
	s_add_i32 s4, s4, 0
.LBB20_19:                              ; =>This Inner Loop Header: Depth=1
	v_mov_b32_e32 v0, s4
	ds_read_b32 v0, v0
	s_add_i32 s4, s4, 4
	s_add_i32 s2, s2, -1
	s_cmp_lg_u32 s2, 0
	s_waitcnt lgkmcnt(0)
	v_add_f32_e32 v5, v5, v0
	s_cbranch_scc1 .LBB20_19
.LBB20_20:
	s_add_u32 s4, s8, s6
	s_addc_u32 s5, s9, s7
	v_mov_b32_e32 v0, 0
	global_store_dword v0, v5, s[4:5]
	s_add_u32 s4, s12, s6
	s_addc_u32 s5, s13, s7
	global_load_dword v1, v0, s[4:5]
	s_waitcnt vmcnt(0)
	v_cmp_lt_f32_e32 vcc, v5, v1
	s_and_b64 exec, exec, vcc
	s_cbranch_execz .LBB20_1
; %bb.21:
	s_add_i32 s2, s3, 1
	s_mov_b64 s[4:5], exec
	v_mov_b32_e32 v1, s2
	global_store_dword v0, v1, s[0:1] offset:4
	v_mbcnt_lo_u32_b32 v0, s4, 0
	v_mbcnt_hi_u32_b32 v0, s5, v0
	v_cmp_eq_u32_e32 vcc, 0, v0
	s_and_b64 s[0:1], exec, vcc
	s_mov_b64 exec, s[0:1]
	s_cbranch_execz .LBB20_1
; %bb.22:
	s_bcnt1_i32_b64 s0, s[4:5]
	v_mov_b32_e32 v0, 0
	v_mov_b32_e32 v1, s0
	global_atomic_add v0, v1, s[14:15]
	s_endpgm
	.section	.rodata,"a",@progbits
	.p2align	6, 0x0
	.amdhsa_kernel _ZN9rocsolver6v33100L15syevj_calc_normIffEEviiPT0_PT_S3_Pi
		.amdhsa_group_segment_fixed_size 0
		.amdhsa_private_segment_fixed_size 0
		.amdhsa_kernarg_size 296
		.amdhsa_user_sgpr_count 6
		.amdhsa_user_sgpr_private_segment_buffer 1
		.amdhsa_user_sgpr_dispatch_ptr 0
		.amdhsa_user_sgpr_queue_ptr 0
		.amdhsa_user_sgpr_kernarg_segment_ptr 1
		.amdhsa_user_sgpr_dispatch_id 0
		.amdhsa_user_sgpr_flat_scratch_init 0
		.amdhsa_user_sgpr_private_segment_size 0
		.amdhsa_uses_dynamic_stack 0
		.amdhsa_system_sgpr_private_segment_wavefront_offset 0
		.amdhsa_system_sgpr_workgroup_id_x 1
		.amdhsa_system_sgpr_workgroup_id_y 1
		.amdhsa_system_sgpr_workgroup_id_z 0
		.amdhsa_system_sgpr_workgroup_info 0
		.amdhsa_system_vgpr_workitem_id 0
		.amdhsa_next_free_vgpr 10
		.amdhsa_next_free_sgpr 24
		.amdhsa_reserve_vcc 1
		.amdhsa_reserve_flat_scratch 0
		.amdhsa_float_round_mode_32 0
		.amdhsa_float_round_mode_16_64 0
		.amdhsa_float_denorm_mode_32 3
		.amdhsa_float_denorm_mode_16_64 3
		.amdhsa_dx10_clamp 1
		.amdhsa_ieee_mode 1
		.amdhsa_fp16_overflow 0
		.amdhsa_exception_fp_ieee_invalid_op 0
		.amdhsa_exception_fp_denorm_src 0
		.amdhsa_exception_fp_ieee_div_zero 0
		.amdhsa_exception_fp_ieee_overflow 0
		.amdhsa_exception_fp_ieee_underflow 0
		.amdhsa_exception_fp_ieee_inexact 0
		.amdhsa_exception_int_div_zero 0
	.end_amdhsa_kernel
	.section	.text._ZN9rocsolver6v33100L15syevj_calc_normIffEEviiPT0_PT_S3_Pi,"axG",@progbits,_ZN9rocsolver6v33100L15syevj_calc_normIffEEviiPT0_PT_S3_Pi,comdat
.Lfunc_end20:
	.size	_ZN9rocsolver6v33100L15syevj_calc_normIffEEviiPT0_PT_S3_Pi, .Lfunc_end20-_ZN9rocsolver6v33100L15syevj_calc_normIffEEviiPT0_PT_S3_Pi
                                        ; -- End function
	.set _ZN9rocsolver6v33100L15syevj_calc_normIffEEviiPT0_PT_S3_Pi.num_vgpr, 10
	.set _ZN9rocsolver6v33100L15syevj_calc_normIffEEviiPT0_PT_S3_Pi.num_agpr, 0
	.set _ZN9rocsolver6v33100L15syevj_calc_normIffEEviiPT0_PT_S3_Pi.numbered_sgpr, 24
	.set _ZN9rocsolver6v33100L15syevj_calc_normIffEEviiPT0_PT_S3_Pi.num_named_barrier, 0
	.set _ZN9rocsolver6v33100L15syevj_calc_normIffEEviiPT0_PT_S3_Pi.private_seg_size, 0
	.set _ZN9rocsolver6v33100L15syevj_calc_normIffEEviiPT0_PT_S3_Pi.uses_vcc, 1
	.set _ZN9rocsolver6v33100L15syevj_calc_normIffEEviiPT0_PT_S3_Pi.uses_flat_scratch, 0
	.set _ZN9rocsolver6v33100L15syevj_calc_normIffEEviiPT0_PT_S3_Pi.has_dyn_sized_stack, 0
	.set _ZN9rocsolver6v33100L15syevj_calc_normIffEEviiPT0_PT_S3_Pi.has_recursion, 0
	.set _ZN9rocsolver6v33100L15syevj_calc_normIffEEviiPT0_PT_S3_Pi.has_indirect_call, 0
	.section	.AMDGPU.csdata,"",@progbits
; Kernel info:
; codeLenInByte = 676
; TotalNumSgprs: 28
; NumVgprs: 10
; ScratchSize: 0
; MemoryBound: 0
; FloatMode: 240
; IeeeMode: 1
; LDSByteSize: 0 bytes/workgroup (compile time only)
; SGPRBlocks: 3
; VGPRBlocks: 2
; NumSGPRsForWavesPerEU: 28
; NumVGPRsForWavesPerEU: 10
; Occupancy: 10
; WaveLimiterHint : 0
; COMPUTE_PGM_RSRC2:SCRATCH_EN: 0
; COMPUTE_PGM_RSRC2:USER_SGPR: 6
; COMPUTE_PGM_RSRC2:TRAP_HANDLER: 0
; COMPUTE_PGM_RSRC2:TGID_X_EN: 1
; COMPUTE_PGM_RSRC2:TGID_Y_EN: 1
; COMPUTE_PGM_RSRC2:TGID_Z_EN: 0
; COMPUTE_PGM_RSRC2:TIDIG_COMP_CNT: 0
	.section	.text._ZN9rocsolver6v33100L14syevj_finalizeIffPfEEv14rocblas_esort_14rocblas_evect_iT1_iilPT0_iPiS7_lS8_PT_S8_,"axG",@progbits,_ZN9rocsolver6v33100L14syevj_finalizeIffPfEEv14rocblas_esort_14rocblas_evect_iT1_iilPT0_iPiS7_lS8_PT_S8_,comdat
	.globl	_ZN9rocsolver6v33100L14syevj_finalizeIffPfEEv14rocblas_esort_14rocblas_evect_iT1_iilPT0_iPiS7_lS8_PT_S8_ ; -- Begin function _ZN9rocsolver6v33100L14syevj_finalizeIffPfEEv14rocblas_esort_14rocblas_evect_iT1_iilPT0_iPiS7_lS8_PT_S8_
	.p2align	8
	.type	_ZN9rocsolver6v33100L14syevj_finalizeIffPfEEv14rocblas_esort_14rocblas_evect_iT1_iilPT0_iPiS7_lS8_PT_S8_,@function
_ZN9rocsolver6v33100L14syevj_finalizeIffPfEEv14rocblas_esort_14rocblas_evect_iT1_iilPT0_iPiS7_lS8_PT_S8_: ; @_ZN9rocsolver6v33100L14syevj_finalizeIffPfEEv14rocblas_esort_14rocblas_evect_iT1_iilPT0_iPiS7_lS8_PT_S8_
; %bb.0:
	s_load_dwordx4 s[20:23], s[4:5], 0x20
	s_load_dwordx8 s[8:15], s[4:5], 0x38
	s_load_dwordx4 s[24:27], s[4:5], 0x58
	s_mov_b32 s28, s7
	s_ashr_i32 s29, s7, 31
	v_cmp_eq_u32_e64 s[0:1], 0, v0
	s_and_saveexec_b64 s[6:7], s[0:1]
	s_cbranch_execz .LBB21_2
; %bb.1:
	s_lshl_b64 s[16:17], s[28:29], 2
	s_waitcnt lgkmcnt(0)
	s_add_u32 s2, s26, s16
	s_addc_u32 s3, s27, s17
	s_add_u32 s18, s22, s16
	s_addc_u32 s19, s23, s17
	s_load_dword s22, s[18:19], 0x0
	v_mov_b32_e32 v1, 0xf800000
	v_mov_b32_e32 v2, 0x4f800000
	s_load_dword s23, s[2:3], 0x4
	s_waitcnt lgkmcnt(0)
	v_mul_f32_e32 v2, s22, v2
	v_mov_b32_e32 v3, s22
	v_cmp_lt_f32_e32 vcc, s22, v1
	v_cndmask_b32_e32 v1, v3, v2, vcc
	v_sqrt_f32_e32 v2, v1
	s_load_dword s22, s[4:5], 0x30
	v_mov_b32_e32 v3, 0
	v_add_u32_e32 v4, -1, v2
	v_fma_f32 v5, -v4, v2, v1
	v_cmp_ge_f32_e64 s[2:3], 0, v5
	v_add_u32_e32 v5, 1, v2
	v_cndmask_b32_e64 v4, v2, v4, s[2:3]
	v_fma_f32 v2, -v5, v2, v1
	v_cmp_lt_f32_e64 s[2:3], 0, v2
	v_cndmask_b32_e64 v2, v4, v5, s[2:3]
	v_mul_f32_e32 v4, 0x37800000, v2
	v_cndmask_b32_e32 v2, v2, v4, vcc
	v_mov_b32_e32 v4, 0x260
	v_cmp_class_f32_e32 vcc, v1, v4
	v_cndmask_b32_e32 v1, v2, v1, vcc
	s_waitcnt lgkmcnt(0)
	global_store_dword v3, v1, s[18:19]
	s_add_i32 s18, s23, -1
	s_cmp_lt_i32 s23, 1
	s_cselect_b64 s[2:3], -1, 0
	v_cndmask_b32_e64 v1, 0, 1, s[2:3]
	s_and_b64 s[2:3], s[2:3], exec
	s_cselect_b32 s18, s22, s18
	s_add_u32 s2, s8, s16
	s_addc_u32 s3, s9, s17
	v_mov_b32_e32 v2, s18
	global_store_dword v3, v2, s[2:3]
	s_add_u32 s2, s14, s16
	s_addc_u32 s3, s15, s17
	global_store_dword v3, v1, s[2:3]
.LBB21_2:
	s_or_b64 exec, exec, s[6:7]
	s_load_dwordx4 s[16:19], s[4:5], 0x0
	s_waitcnt lgkmcnt(0)
	s_mul_i32 s2, s12, s29
	s_mul_hi_u32 s3, s12, s28
	s_add_i32 s2, s3, s2
	s_mul_i32 s3, s13, s28
	s_add_i32 s3, s2, s3
	s_mul_i32 s2, s12, s28
	s_lshl_b64 s[22:23], s[2:3], 2
	s_add_u32 s19, s10, s22
	s_addc_u32 s26, s11, s23
	v_cmp_gt_i32_e64 s[2:3], s18, v0
	s_and_saveexec_b64 s[8:9], s[2:3]
	s_cbranch_execz .LBB21_5
; %bb.3:
	s_mul_i32 s6, s18, s28
	s_mul_i32 s6, s6, s18
	s_ashr_i32 s7, s6, 31
	s_load_dword s12, s[4:5], 0x74
	s_lshl_b64 s[6:7], s[6:7], 2
	s_add_u32 s14, s24, s6
	s_addc_u32 s25, s25, s7
	v_mad_u64_u32 v[1:2], s[6:7], v0, s18, v[0:1]
	s_add_i32 s24, s18, 1
	s_waitcnt lgkmcnt(0)
	s_and_b32 s15, s12, 0xffff
	s_mul_i32 s24, s24, s15
	s_mov_b64 s[12:13], 0
	v_mov_b32_e32 v5, s25
	v_mov_b32_e32 v6, s26
	v_mov_b32_e32 v3, v0
.LBB21_4:                               ; =>This Inner Loop Header: Depth=1
	v_ashrrev_i32_e32 v2, 31, v1
	v_lshlrev_b64 v[7:8], 2, v[1:2]
	v_ashrrev_i32_e32 v4, 31, v3
	v_add_co_u32_e32 v7, vcc, s14, v7
	v_addc_co_u32_e32 v8, vcc, v5, v8, vcc
	global_load_dword v2, v[7:8], off
	v_lshlrev_b64 v[7:8], 2, v[3:4]
	v_add_u32_e32 v3, s15, v3
	v_cmp_le_i32_e32 vcc, s18, v3
	v_add_co_u32_e64 v7, s[6:7], s19, v7
	v_addc_co_u32_e64 v8, s[6:7], v6, v8, s[6:7]
	s_or_b64 s[12:13], vcc, s[12:13]
	v_add_u32_e32 v1, s24, v1
	s_waitcnt vmcnt(0)
	global_store_dword v[7:8], v2, off
	s_andn2_b64 exec, exec, s[12:13]
	s_cbranch_execnz .LBB21_4
.LBB21_5:
	s_or_b64 exec, exec, s[8:9]
	s_cmpk_lg_i32 s17, 0xd5
	s_cselect_b64 s[24:25], -1, 0
	v_cmp_eq_u32_e32 vcc, 0, v0
	s_or_b64 s[8:9], vcc, s[24:25]
	s_cmpk_lg_i32 s16, 0xfb
	s_cselect_b64 s[12:13], -1, 0
	s_and_b64 s[8:9], s[12:13], s[8:9]
	s_cmp_gt_i32 s18, 1
	s_cselect_b64 s[12:13], -1, 0
	s_mov_b32 s7, 0
	s_and_b64 s[8:9], s[12:13], s[8:9]
	s_waitcnt vmcnt(0)
	s_barrier
	s_and_saveexec_b64 s[12:13], s[8:9]
	s_cbranch_execz .LBB21_18
; %bb.6:
	s_load_dwordx4 s[12:15], s[4:5], 0x10
	s_mul_i32 s6, s20, s29
	s_mul_hi_u32 s8, s20, s28
	s_add_i32 s6, s8, s6
	s_mul_i32 s16, s20, s28
	s_waitcnt lgkmcnt(0)
	s_ashr_i32 s9, s14, 31
	s_mov_b32 s8, s14
	s_mul_i32 s14, s21, s28
	s_add_i32 s17, s6, s14
	s_lshl_b64 s[16:17], s[16:17], 2
	s_add_u32 s6, s12, s16
	s_addc_u32 s12, s13, s17
	s_lshl_b64 s[8:9], s[8:9], 2
	s_add_u32 s14, s6, s8
	s_addc_u32 s27, s12, s9
	s_add_u32 s8, s4, 0x68
	s_addc_u32 s9, s5, 0
	s_add_i32 s28, s18, -2
	s_add_u32 s4, s10, s22
	s_addc_u32 s5, s11, s23
	s_add_u32 s10, s4, 4
	v_cndmask_b32_e64 v2, 0, 1, s[24:25]
	s_addc_u32 s11, s5, 0
	v_mov_b32_e32 v1, 0
	v_cmp_ne_u32_e64 s[4:5], 1, v2
	s_mov_b32 s22, 0
	s_mov_b32 s23, 0
	s_branch .LBB21_9
.LBB21_7:                               ;   in Loop: Header=BB21_9 Depth=1
	s_or_b64 exec, exec, s[16:17]
	s_waitcnt vmcnt(0)
	s_barrier
.LBB21_8:                               ;   in Loop: Header=BB21_9 Depth=1
	s_add_u32 s10, s10, 4
	s_addc_u32 s11, s11, 0
	s_add_i32 s22, s22, s15
	s_cmp_lg_u32 s6, s28
	s_cbranch_scc0 .LBB21_18
.LBB21_9:                               ; =>This Loop Header: Depth=1
                                        ;     Child Loop BB21_10 Depth 2
                                        ;     Child Loop BB21_17 Depth 2
	s_mov_b32 s6, s23
	s_lshl_b64 s[12:13], s[6:7], 2
	s_add_u32 s16, s19, s12
	s_addc_u32 s17, s26, s13
	global_load_dword v2, v1, s[16:17]
	s_add_i32 s23, s23, 1
	s_mov_b64 s[20:21], s[10:11]
	s_mov_b32 s13, s23
	s_mov_b32 s12, s6
.LBB21_10:                              ;   Parent Loop BB21_9 Depth=1
                                        ; =>  This Inner Loop Header: Depth=2
	global_load_dword v3, v1, s[20:21]
	s_waitcnt vmcnt(0)
	v_cmp_lt_f32_e32 vcc, v3, v2
	s_and_b64 s[24:25], vcc, exec
	s_cselect_b32 s12, s13, s12
	s_add_i32 s13, s13, 1
	s_add_u32 s20, s20, 4
	s_addc_u32 s21, s21, 0
	v_cndmask_b32_e32 v2, v2, v3, vcc
	s_cmp_lg_u32 s18, s13
	s_cbranch_scc1 .LBB21_10
; %bb.11:                               ;   in Loop: Header=BB21_9 Depth=1
	s_cmp_eq_u32 s12, s6
	s_barrier
	s_cbranch_scc1 .LBB21_8
; %bb.12:                               ;   in Loop: Header=BB21_9 Depth=1
	s_and_saveexec_b64 s[20:21], s[0:1]
	s_cbranch_execz .LBB21_14
; %bb.13:                               ;   in Loop: Header=BB21_9 Depth=1
	global_load_dword v3, v1, s[16:17]
	s_ashr_i32 s13, s12, 31
	s_lshl_b64 s[24:25], s[12:13], 2
	s_add_u32 s24, s19, s24
	s_addc_u32 s25, s26, s25
	s_waitcnt vmcnt(0)
	global_store_dword v1, v3, s[24:25]
	global_store_dword v1, v2, s[16:17]
.LBB21_14:                              ;   in Loop: Header=BB21_9 Depth=1
	s_or_b64 exec, exec, s[20:21]
	s_and_b64 vcc, exec, s[4:5]
	s_cbranch_vccnz .LBB21_8
; %bb.15:                               ;   in Loop: Header=BB21_9 Depth=1
	s_and_saveexec_b64 s[16:17], s[2:3]
	s_cbranch_execz .LBB21_7
; %bb.16:                               ;   in Loop: Header=BB21_9 Depth=1
	s_load_dword s21, s[8:9], 0xc
	s_mul_i32 s20, s12, s15
	s_mov_b64 s[12:13], 0
	v_mov_b32_e32 v2, v0
	s_waitcnt lgkmcnt(0)
	s_and_b32 s21, s21, 0xffff
.LBB21_17:                              ;   Parent Loop BB21_9 Depth=1
                                        ; =>  This Inner Loop Header: Depth=2
	v_add_u32_e32 v3, s20, v2
	v_ashrrev_i32_e32 v4, 31, v3
	v_add_u32_e32 v5, s22, v2
	v_lshlrev_b64 v[3:4], 2, v[3:4]
	v_ashrrev_i32_e32 v6, 31, v5
	v_mov_b32_e32 v7, s27
	v_lshlrev_b64 v[5:6], 2, v[5:6]
	v_add_co_u32_e32 v3, vcc, s14, v3
	v_addc_co_u32_e32 v4, vcc, v7, v4, vcc
	v_mov_b32_e32 v8, s27
	v_add_co_u32_e32 v5, vcc, s14, v5
	v_addc_co_u32_e32 v6, vcc, v8, v6, vcc
	global_load_dword v7, v[5:6], off
	global_load_dword v8, v[3:4], off
	v_add_u32_e32 v2, s21, v2
	v_cmp_le_i32_e32 vcc, s18, v2
	s_or_b64 s[12:13], vcc, s[12:13]
	s_waitcnt vmcnt(1)
	global_store_dword v[3:4], v7, off
	s_waitcnt vmcnt(1)
	global_store_dword v[5:6], v8, off
	s_andn2_b64 exec, exec, s[12:13]
	s_cbranch_execnz .LBB21_17
	s_branch .LBB21_7
.LBB21_18:
	s_endpgm
	.section	.rodata,"a",@progbits
	.p2align	6, 0x0
	.amdhsa_kernel _ZN9rocsolver6v33100L14syevj_finalizeIffPfEEv14rocblas_esort_14rocblas_evect_iT1_iilPT0_iPiS7_lS8_PT_S8_
		.amdhsa_group_segment_fixed_size 0
		.amdhsa_private_segment_fixed_size 0
		.amdhsa_kernarg_size 360
		.amdhsa_user_sgpr_count 6
		.amdhsa_user_sgpr_private_segment_buffer 1
		.amdhsa_user_sgpr_dispatch_ptr 0
		.amdhsa_user_sgpr_queue_ptr 0
		.amdhsa_user_sgpr_kernarg_segment_ptr 1
		.amdhsa_user_sgpr_dispatch_id 0
		.amdhsa_user_sgpr_flat_scratch_init 0
		.amdhsa_user_sgpr_private_segment_size 0
		.amdhsa_uses_dynamic_stack 0
		.amdhsa_system_sgpr_private_segment_wavefront_offset 0
		.amdhsa_system_sgpr_workgroup_id_x 1
		.amdhsa_system_sgpr_workgroup_id_y 1
		.amdhsa_system_sgpr_workgroup_id_z 0
		.amdhsa_system_sgpr_workgroup_info 0
		.amdhsa_system_vgpr_workitem_id 0
		.amdhsa_next_free_vgpr 9
		.amdhsa_next_free_sgpr 30
		.amdhsa_reserve_vcc 1
		.amdhsa_reserve_flat_scratch 0
		.amdhsa_float_round_mode_32 0
		.amdhsa_float_round_mode_16_64 0
		.amdhsa_float_denorm_mode_32 3
		.amdhsa_float_denorm_mode_16_64 3
		.amdhsa_dx10_clamp 1
		.amdhsa_ieee_mode 1
		.amdhsa_fp16_overflow 0
		.amdhsa_exception_fp_ieee_invalid_op 0
		.amdhsa_exception_fp_denorm_src 0
		.amdhsa_exception_fp_ieee_div_zero 0
		.amdhsa_exception_fp_ieee_overflow 0
		.amdhsa_exception_fp_ieee_underflow 0
		.amdhsa_exception_fp_ieee_inexact 0
		.amdhsa_exception_int_div_zero 0
	.end_amdhsa_kernel
	.section	.text._ZN9rocsolver6v33100L14syevj_finalizeIffPfEEv14rocblas_esort_14rocblas_evect_iT1_iilPT0_iPiS7_lS8_PT_S8_,"axG",@progbits,_ZN9rocsolver6v33100L14syevj_finalizeIffPfEEv14rocblas_esort_14rocblas_evect_iT1_iilPT0_iPiS7_lS8_PT_S8_,comdat
.Lfunc_end21:
	.size	_ZN9rocsolver6v33100L14syevj_finalizeIffPfEEv14rocblas_esort_14rocblas_evect_iT1_iilPT0_iPiS7_lS8_PT_S8_, .Lfunc_end21-_ZN9rocsolver6v33100L14syevj_finalizeIffPfEEv14rocblas_esort_14rocblas_evect_iT1_iilPT0_iPiS7_lS8_PT_S8_
                                        ; -- End function
	.set _ZN9rocsolver6v33100L14syevj_finalizeIffPfEEv14rocblas_esort_14rocblas_evect_iT1_iilPT0_iPiS7_lS8_PT_S8_.num_vgpr, 9
	.set _ZN9rocsolver6v33100L14syevj_finalizeIffPfEEv14rocblas_esort_14rocblas_evect_iT1_iilPT0_iPiS7_lS8_PT_S8_.num_agpr, 0
	.set _ZN9rocsolver6v33100L14syevj_finalizeIffPfEEv14rocblas_esort_14rocblas_evect_iT1_iilPT0_iPiS7_lS8_PT_S8_.numbered_sgpr, 30
	.set _ZN9rocsolver6v33100L14syevj_finalizeIffPfEEv14rocblas_esort_14rocblas_evect_iT1_iilPT0_iPiS7_lS8_PT_S8_.num_named_barrier, 0
	.set _ZN9rocsolver6v33100L14syevj_finalizeIffPfEEv14rocblas_esort_14rocblas_evect_iT1_iilPT0_iPiS7_lS8_PT_S8_.private_seg_size, 0
	.set _ZN9rocsolver6v33100L14syevj_finalizeIffPfEEv14rocblas_esort_14rocblas_evect_iT1_iilPT0_iPiS7_lS8_PT_S8_.uses_vcc, 1
	.set _ZN9rocsolver6v33100L14syevj_finalizeIffPfEEv14rocblas_esort_14rocblas_evect_iT1_iilPT0_iPiS7_lS8_PT_S8_.uses_flat_scratch, 0
	.set _ZN9rocsolver6v33100L14syevj_finalizeIffPfEEv14rocblas_esort_14rocblas_evect_iT1_iilPT0_iPiS7_lS8_PT_S8_.has_dyn_sized_stack, 0
	.set _ZN9rocsolver6v33100L14syevj_finalizeIffPfEEv14rocblas_esort_14rocblas_evect_iT1_iilPT0_iPiS7_lS8_PT_S8_.has_recursion, 0
	.set _ZN9rocsolver6v33100L14syevj_finalizeIffPfEEv14rocblas_esort_14rocblas_evect_iT1_iilPT0_iPiS7_lS8_PT_S8_.has_indirect_call, 0
	.section	.AMDGPU.csdata,"",@progbits
; Kernel info:
; codeLenInByte = 1092
; TotalNumSgprs: 34
; NumVgprs: 9
; ScratchSize: 0
; MemoryBound: 0
; FloatMode: 240
; IeeeMode: 1
; LDSByteSize: 0 bytes/workgroup (compile time only)
; SGPRBlocks: 4
; VGPRBlocks: 2
; NumSGPRsForWavesPerEU: 34
; NumVGPRsForWavesPerEU: 9
; Occupancy: 10
; WaveLimiterHint : 0
; COMPUTE_PGM_RSRC2:SCRATCH_EN: 0
; COMPUTE_PGM_RSRC2:USER_SGPR: 6
; COMPUTE_PGM_RSRC2:TRAP_HANDLER: 0
; COMPUTE_PGM_RSRC2:TGID_X_EN: 1
; COMPUTE_PGM_RSRC2:TGID_Y_EN: 1
; COMPUTE_PGM_RSRC2:TGID_Z_EN: 0
; COMPUTE_PGM_RSRC2:TIDIG_COMP_CNT: 0
	.section	.text._ZN9rocsolver6v33100L18geqr2_kernel_smallILi256EfifPfEEvT1_S3_T3_lS3_lPT2_lPT0_l,"axG",@progbits,_ZN9rocsolver6v33100L18geqr2_kernel_smallILi256EfifPfEEvT1_S3_T3_lS3_lPT2_lPT0_l,comdat
	.globl	_ZN9rocsolver6v33100L18geqr2_kernel_smallILi256EfifPfEEvT1_S3_T3_lS3_lPT2_lPT0_l ; -- Begin function _ZN9rocsolver6v33100L18geqr2_kernel_smallILi256EfifPfEEvT1_S3_T3_lS3_lPT2_lPT0_l
	.p2align	8
	.type	_ZN9rocsolver6v33100L18geqr2_kernel_smallILi256EfifPfEEvT1_S3_T3_lS3_lPT2_lPT0_l,@function
_ZN9rocsolver6v33100L18geqr2_kernel_smallILi256EfifPfEEvT1_S3_T3_lS3_lPT2_lPT0_l: ; @_ZN9rocsolver6v33100L18geqr2_kernel_smallILi256EfifPfEEvT1_S3_T3_lS3_lPT2_lPT0_l
; %bb.0:
	s_load_dwordx8 s[8:15], s[4:5], 0x20
	s_load_dwordx2 s[16:17], s[4:5], 0x0
	s_load_dwordx4 s[0:3], s[4:5], 0x8
	s_load_dword s26, s[4:5], 0x18
	s_load_dwordx2 s[18:19], s[4:5], 0x40
	s_ashr_i32 s6, s7, 31
	s_waitcnt lgkmcnt(0)
	s_mul_hi_u32 s4, s8, s7
	s_mul_i32 s5, s8, s6
	s_add_i32 s4, s4, s5
	s_mul_i32 s5, s9, s7
	s_add_i32 s5, s4, s5
	s_mul_i32 s4, s8, s7
	s_lshl_b64 s[4:5], s[4:5], 2
	s_add_u32 s4, s0, s4
	s_addc_u32 s5, s1, s5
	s_lshl_b64 s[0:1], s[2:3], 2
	s_add_u32 s24, s4, s0
	v_and_b32_e32 v1, 0x7f, v0
	s_addc_u32 s25, s5, s1
	v_cmp_gt_i32_e64 s[0:1], s16, v1
	v_lshrrev_b32_e32 v5, 7, v0
	v_lshlrev_b32_e32 v6, 2, v1
	s_and_saveexec_b64 s[4:5], s[0:1]
	s_cbranch_execz .LBB22_6
; %bb.1:
	v_lshrrev_b32_e32 v7, 7, v0
	v_mul_lo_u32 v2, s16, v7
	s_lshl_b32 s27, s16, 3
	v_cmp_gt_i32_e32 vcc, s17, v7
	s_lshl_b32 s28, s26, 1
	v_lshlrev_b32_e32 v2, 2, v2
	v_add3_u32 v8, v2, v6, 0
	v_mad_u64_u32 v[2:3], s[2:3], s26, v7, v[1:2]
	s_mov_b64 s[8:9], 0
	v_mov_b32_e32 v9, v1
	s_branch .LBB22_3
.LBB22_2:                               ;   in Loop: Header=BB22_3 Depth=1
	s_or_b64 exec, exec, s[20:21]
	v_add_u32_e32 v9, 0x80, v9
	v_cmp_le_i32_e64 s[2:3], s16, v9
	v_add_u32_e32 v8, 0x200, v8
	s_or_b64 s[8:9], s[2:3], s[8:9]
	v_add_u32_e32 v2, 0x80, v2
	s_andn2_b64 exec, exec, s[8:9]
	s_cbranch_execz .LBB22_6
.LBB22_3:                               ; =>This Loop Header: Depth=1
                                        ;     Child Loop BB22_5 Depth 2
	s_and_saveexec_b64 s[20:21], vcc
	s_cbranch_execz .LBB22_2
; %bb.4:                                ;   in Loop: Header=BB22_3 Depth=1
	s_mov_b64 s[22:23], 0
	v_mov_b32_e32 v3, v2
	v_mov_b32_e32 v10, v8
	;; [unrolled: 1-line block ×3, first 2 shown]
.LBB22_5:                               ;   Parent Loop BB22_3 Depth=1
                                        ; =>  This Inner Loop Header: Depth=2
	v_ashrrev_i32_e32 v4, 31, v3
	v_lshlrev_b64 v[12:13], 2, v[3:4]
	v_mov_b32_e32 v14, s25
	v_add_co_u32_e64 v12, s[2:3], s24, v12
	v_addc_co_u32_e64 v13, s[2:3], v14, v13, s[2:3]
	global_load_dword v4, v[12:13], off
	v_add_u32_e32 v11, 2, v11
	v_cmp_le_i32_e64 s[2:3], s17, v11
	v_add_u32_e32 v3, s28, v3
	s_or_b64 s[22:23], s[2:3], s[22:23]
	s_waitcnt vmcnt(0)
	ds_write_b32 v10, v4
	v_add_u32_e32 v10, s27, v10
	s_andn2_b64 exec, exec, s[22:23]
	s_cbranch_execnz .LBB22_5
	s_branch .LBB22_2
.LBB22_6:
	s_or_b64 exec, exec, s[4:5]
	s_min_i32 s27, s17, s16
	s_cmp_lt_i32 s27, 1
	s_waitcnt lgkmcnt(0)
	s_barrier
	s_cbranch_scc1 .LBB22_43
; %bb.7:
	s_mul_i32 s2, s12, s6
	s_mul_hi_u32 s3, s12, s7
	s_add_i32 s2, s3, s2
	s_mul_i32 s3, s13, s7
	s_add_i32 s3, s2, s3
	s_mul_i32 s2, s12, s7
	s_lshl_b64 s[2:3], s[2:3], 2
	s_add_u32 s28, s10, s2
	s_addc_u32 s29, s11, s3
	s_mul_i32 s2, s18, s6
	s_mul_hi_u32 s3, s18, s7
	s_add_i32 s2, s3, s2
	s_mul_i32 s3, s19, s7
	v_mbcnt_lo_u32_b32 v2, -1, 0
	s_add_i32 s3, s2, s3
	s_mul_i32 s2, s18, s7
	v_mbcnt_hi_u32_b32 v9, -1, v2
	s_lshl_b64 s[2:3], s[2:3], 2
	v_and_b32_e32 v8, 63, v9
	s_add_u32 s30, s14, s2
	s_mul_i32 s2, s17, s16
	v_cmp_ne_u32_e32 vcc, 63, v8
	s_addc_u32 s31, s15, s3
	s_lshl_b32 s2, s2, 2
	v_addc_co_u32_e32 v2, vcc, 0, v9, vcc
	s_add_i32 s33, s2, 0
	s_lshl_b32 s2, s17, 2
	v_cmp_gt_u32_e32 vcc, 62, v8
	s_add_i32 s34, s33, s2
	v_cndmask_b32_e64 v3, 0, 2, vcc
	v_cmp_gt_u32_e32 vcc, 60, v8
	v_mul_lo_u32 v11, s16, v0
	v_cndmask_b32_e64 v4, 0, 4, vcc
	v_cmp_gt_u32_e32 vcc, 56, v8
	s_cmp_eq_u64 s[10:11], 0
	v_cndmask_b32_e64 v7, 0, 8, vcc
	v_cmp_gt_u32_e32 vcc, 48, v8
	s_cselect_b64 s[14:15], -1, 0
	s_cmp_lg_u64 s[10:11], 0
	v_cndmask_b32_e64 v8, 0, 16, vcc
	v_mov_b32_e32 v10, 0x80
	s_cselect_b64 s[10:11], -1, 0
	s_lshl_b32 s35, s16, 2
	s_mov_b32 s13, 0
	v_add_lshl_u32 v3, v3, v9, 2
	v_add_lshl_u32 v4, v4, v9, 2
	;; [unrolled: 1-line block ×4, first 2 shown]
	v_lshl_or_b32 v9, v9, 2, v10
	v_and_b32_e32 v10, 63, v0
	v_lshrrev_b32_e32 v13, 4, v0
	v_lshlrev_b32_e32 v12, 2, v0
	v_add_u32_e32 v11, s16, v11
	s_add_i32 s6, s35, 0
	v_lshlrev_b32_e32 v2, 2, v2
	v_cmp_eq_u32_e64 s[2:3], 0, v10
	v_cmp_eq_u32_e64 s[4:5], 0, v0
	v_add3_u32 v10, v12, 0, 4
	s_add_i32 s36, s35, 4
	v_lshl_add_u32 v11, v11, 2, 0
	s_lshl_b32 s37, s16, 10
	v_add_u32_e32 v12, s6, v12
	v_add_u32_e32 v13, s34, v13
	v_mov_b32_e32 v14, 0
	s_mov_b32 s38, 0xf800000
	v_mov_b32_e32 v15, 0x260
	s_mov_b32 s39, 0
	s_mov_b32 s40, s17
	s_mov_b32 s41, s16
	s_mov_b32 s12, s13
	s_branch .LBB22_9
.LBB22_8:                               ;   in Loop: Header=BB22_9 Depth=1
	s_or_b64 exec, exec, s[6:7]
	s_add_i32 s40, s40, -1
	s_add_i32 s12, s12, 1
	s_add_i32 s41, s41, -1
	s_add_i32 s39, s39, s36
	v_add_u32_e32 v10, s36, v10
	v_add_u32_e32 v11, s36, v11
	s_cmp_eq_u32 s12, s27
	v_add_u32_e32 v12, s36, v12
	s_waitcnt lgkmcnt(0)
	s_barrier
	s_cbranch_scc1 .LBB22_43
.LBB22_9:                               ; =>This Loop Header: Depth=1
                                        ;     Child Loop BB22_11 Depth 2
                                        ;     Child Loop BB22_24 Depth 2
	;; [unrolled: 1-line block ×3, first 2 shown]
                                        ;       Child Loop BB22_30 Depth 3
                                        ;     Child Loop BB22_34 Depth 2
                                        ;       Child Loop BB22_36 Depth 3
	s_sub_i32 s42, s16, s12
	s_add_i32 s44, s42, -1
	v_cmp_gt_i32_e64 s[6:7], s44, v0
	v_mov_b32_e32 v16, 0
	s_and_saveexec_b64 s[8:9], s[6:7]
	s_cbranch_execz .LBB22_13
; %bb.10:                               ;   in Loop: Header=BB22_9 Depth=1
	v_mov_b32_e32 v16, 0
	s_mov_b64 s[18:19], 0
	v_mov_b32_e32 v17, v10
	v_mov_b32_e32 v18, v0
.LBB22_11:                              ;   Parent Loop BB22_9 Depth=1
                                        ; =>  This Inner Loop Header: Depth=2
	ds_read_b32 v19, v17
	v_add_u32_e32 v18, 0x100, v18
	v_cmp_le_i32_e32 vcc, s44, v18
	v_add_u32_e32 v17, 0x400, v17
	s_or_b64 s[18:19], vcc, s[18:19]
	s_waitcnt lgkmcnt(0)
	v_fmac_f32_e32 v16, v19, v19
	s_andn2_b64 exec, exec, s[18:19]
	s_cbranch_execnz .LBB22_11
; %bb.12:                               ;   in Loop: Header=BB22_9 Depth=1
	s_or_b64 exec, exec, s[18:19]
.LBB22_13:                              ;   in Loop: Header=BB22_9 Depth=1
	s_or_b64 exec, exec, s[8:9]
	ds_bpermute_b32 v17, v2, v16
	s_waitcnt lgkmcnt(0)
	v_add_f32_e32 v16, v16, v17
	ds_bpermute_b32 v17, v3, v16
	s_waitcnt lgkmcnt(0)
	v_add_f32_e32 v16, v16, v17
	;; [unrolled: 3-line block ×6, first 2 shown]
	s_and_saveexec_b64 s[8:9], s[2:3]
; %bb.14:                               ;   in Loop: Header=BB22_9 Depth=1
	ds_write_b32 v13, v16 offset:4
; %bb.15:                               ;   in Loop: Header=BB22_9 Depth=1
	s_or_b64 exec, exec, s[8:9]
	s_lshl_b32 s8, s12, 2
	s_add_i32 s43, s8, 0
	s_mul_i32 s8, s12, s16
	s_lshl_b32 s8, s8, 2
	s_add_i32 s43, s43, s8
	s_waitcnt lgkmcnt(0)
	s_barrier
	s_and_saveexec_b64 s[18:19], s[4:5]
	s_cbranch_execz .LBB22_22
; %bb.16:                               ;   in Loop: Header=BB22_9 Depth=1
	v_mov_b32_e32 v19, s34
	ds_read2_b32 v[17:18], v19 offset0:2 offset1:3
	ds_read_b32 v19, v19 offset:16
	s_mov_b64 s[8:9], 0
	s_mov_b64 s[20:21], 0
	s_waitcnt lgkmcnt(1)
	v_add_f32_e32 v16, v16, v17
	v_add_f32_e32 v16, v16, v18
	s_waitcnt lgkmcnt(0)
	v_add_f32_e32 v18, v16, v19
	v_cmp_nlt_f32_e32 vcc, 0, v18
                                        ; implicit-def: $vgpr16
	s_and_saveexec_b64 s[22:23], vcc
	s_xor_b64 s[22:23], exec, s[22:23]
	s_cbranch_execnz .LBB22_37
; %bb.17:                               ;   in Loop: Header=BB22_9 Depth=1
	s_or_saveexec_b64 s[22:23], s[22:23]
	v_mov_b32_e32 v17, 1.0
	s_xor_b64 exec, exec, s[22:23]
	s_cbranch_execnz .LBB22_41
.LBB22_18:                              ;   in Loop: Header=BB22_9 Depth=1
	s_or_b64 exec, exec, s[22:23]
	s_and_saveexec_b64 s[22:23], s[20:21]
	s_cbranch_execnz .LBB22_42
.LBB22_19:                              ;   in Loop: Header=BB22_9 Depth=1
	s_or_b64 exec, exec, s[22:23]
	v_mov_b32_e32 v18, 0
	s_and_saveexec_b64 s[20:21], s[8:9]
	s_cbranch_execz .LBB22_21
.LBB22_20:                              ;   in Loop: Header=BB22_9 Depth=1
	v_mov_b32_e32 v18, s43
	s_waitcnt lgkmcnt(0)
	ds_write_b32 v18, v16
	v_mov_b32_e32 v16, s34
	ds_read_b32 v18, v16
.LBB22_21:                              ;   in Loop: Header=BB22_9 Depth=1
	s_or_b64 exec, exec, s[20:21]
	s_lshl_b64 s[8:9], s[12:13], 2
	s_add_u32 s8, s30, s8
	s_addc_u32 s9, s31, s9
	s_waitcnt lgkmcnt(0)
	v_mov_b32_e32 v16, s34
	global_store_dword v14, v18, s[8:9]
	ds_write_b32 v16, v17 offset:4
.LBB22_22:                              ;   in Loop: Header=BB22_9 Depth=1
	s_or_b64 exec, exec, s[18:19]
	s_waitcnt vmcnt(0) lgkmcnt(0)
	s_barrier
	s_and_saveexec_b64 s[8:9], s[6:7]
	s_cbranch_execz .LBB22_25
; %bb.23:                               ;   in Loop: Header=BB22_9 Depth=1
	s_mov_b32 s18, 0
	s_mov_b64 s[6:7], 0
	v_mov_b32_e32 v16, v0
.LBB22_24:                              ;   Parent Loop BB22_9 Depth=1
                                        ; =>  This Inner Loop Header: Depth=2
	v_mov_b32_e32 v17, s34
	v_add_u32_e32 v18, s18, v10
	ds_read_b32 v17, v17 offset:4
	ds_read_b32 v19, v18
	v_add_u32_e32 v16, 0x100, v16
	s_addk_i32 s18, 0x400
	v_cmp_le_i32_e32 vcc, s44, v16
	s_or_b64 s[6:7], vcc, s[6:7]
	s_waitcnt lgkmcnt(0)
	v_mul_f32_e32 v17, v17, v19
	ds_write_b32 v18, v17
	s_andn2_b64 exec, exec, s[6:7]
	s_cbranch_execnz .LBB22_24
.LBB22_25:                              ;   in Loop: Header=BB22_9 Depth=1
	s_or_b64 exec, exec, s[8:9]
	s_not_b32 s6, s12
	s_add_i32 s20, s17, s6
	v_cmp_gt_i32_e32 vcc, s20, v0
	s_waitcnt lgkmcnt(0)
	s_barrier
	s_and_saveexec_b64 s[6:7], vcc
	s_cbranch_execz .LBB22_31
; %bb.26:                               ;   in Loop: Header=BB22_9 Depth=1
	s_cmp_gt_i32 s42, 0
	s_mov_b64 s[8:9], 0
	s_cselect_b64 s[18:19], -1, 0
	v_mov_b32_e32 v16, v11
	v_mov_b32_e32 v17, v0
	s_branch .LBB22_28
.LBB22_27:                              ;   in Loop: Header=BB22_28 Depth=2
	v_mov_b32_e32 v19, s34
	ds_read_b32 v19, v19
	v_lshl_add_u32 v20, v17, 2, s33
	v_add_u32_e32 v17, 0x100, v17
	v_cmp_le_i32_e32 vcc, s20, v17
	s_or_b64 s[8:9], vcc, s[8:9]
	s_waitcnt lgkmcnt(0)
	v_mul_f32_e32 v18, v18, v19
	v_add_u32_e32 v16, s37, v16
	ds_write_b32 v20, v18
	s_andn2_b64 exec, exec, s[8:9]
	s_cbranch_execz .LBB22_31
.LBB22_28:                              ;   Parent Loop BB22_9 Depth=1
                                        ; =>  This Loop Header: Depth=2
                                        ;       Child Loop BB22_30 Depth 3
	v_mov_b32_e32 v18, 0
	s_andn2_b64 vcc, exec, s[18:19]
	s_cbranch_vccnz .LBB22_27
; %bb.29:                               ;   in Loop: Header=BB22_28 Depth=2
	s_mov_b32 s21, s39
	s_mov_b32 s22, s41
	v_mov_b32_e32 v19, v16
.LBB22_30:                              ;   Parent Loop BB22_9 Depth=1
                                        ;     Parent Loop BB22_28 Depth=2
                                        ; =>    This Inner Loop Header: Depth=3
	v_mov_b32_e32 v21, s21
	ds_read_b32 v20, v19
	ds_read_b32 v21, v21
	s_add_i32 s22, s22, -1
	s_add_i32 s21, s21, 4
	v_add_u32_e32 v19, 4, v19
	s_cmp_eq_u32 s22, 0
	s_waitcnt lgkmcnt(0)
	v_fmac_f32_e32 v18, v20, v21
	s_cbranch_scc0 .LBB22_30
	s_branch .LBB22_27
.LBB22_31:                              ;   in Loop: Header=BB22_9 Depth=1
	s_or_b64 exec, exec, s[6:7]
	v_cmp_gt_i32_e32 vcc, s42, v0
	s_waitcnt lgkmcnt(0)
	s_barrier
	s_and_saveexec_b64 s[6:7], vcc
	s_cbranch_execz .LBB22_8
; %bb.32:                               ;   in Loop: Header=BB22_9 Depth=1
	s_cmp_gt_i32 s20, 0
	s_mov_b64 s[8:9], 0
	s_cselect_b64 s[18:19], -1, 0
	v_mov_b32_e32 v16, v12
	v_mov_b32_e32 v17, v0
	s_branch .LBB22_34
.LBB22_33:                              ;   in Loop: Header=BB22_34 Depth=2
	v_add_u32_e32 v17, 0x100, v17
	v_cmp_le_i32_e32 vcc, s42, v17
	s_or_b64 s[8:9], vcc, s[8:9]
	v_add_u32_e32 v16, 0x400, v16
	s_andn2_b64 exec, exec, s[8:9]
	s_cbranch_execz .LBB22_8
.LBB22_34:                              ;   Parent Loop BB22_9 Depth=1
                                        ; =>  This Loop Header: Depth=2
                                        ;       Child Loop BB22_36 Depth 3
	s_andn2_b64 vcc, exec, s[18:19]
	s_cbranch_vccnz .LBB22_33
; %bb.35:                               ;   in Loop: Header=BB22_34 Depth=2
	v_lshl_add_u32 v18, v17, 2, s43
	s_mov_b32 s20, 1
	s_mov_b32 s21, s33
	v_mov_b32_e32 v19, v16
.LBB22_36:                              ;   Parent Loop BB22_9 Depth=1
                                        ;     Parent Loop BB22_34 Depth=2
                                        ; =>    This Inner Loop Header: Depth=3
	v_mov_b32_e32 v22, s21
	ds_read_b32 v20, v19
	ds_read_b32 v21, v18
	;; [unrolled: 1-line block ×3, first 2 shown]
	s_add_i32 s20, s20, 1
	s_add_i32 s21, s21, 4
	s_cmp_eq_u32 s40, s20
	s_waitcnt lgkmcnt(0)
	v_fma_f32 v20, -v21, v22, v20
	ds_write_b32 v19, v20
	v_add_u32_e32 v19, s35, v19
	s_cbranch_scc0 .LBB22_36
	s_branch .LBB22_33
.LBB22_37:                              ;   in Loop: Header=BB22_9 Depth=1
	v_mov_b32_e32 v16, s34
	s_and_b64 vcc, exec, s[10:11]
	ds_write_b32 v16, v14
	s_cbranch_vccz .LBB22_39
; %bb.38:                               ;   in Loop: Header=BB22_9 Depth=1
	v_mov_b32_e32 v16, s43
	ds_read_b32 v16, v16
	s_mov_b64 s[20:21], -1
	s_branch .LBB22_40
.LBB22_39:                              ;   in Loop: Header=BB22_9 Depth=1
                                        ; implicit-def: $vgpr16
.LBB22_40:                              ;   in Loop: Header=BB22_9 Depth=1
	s_and_b64 s[20:21], s[20:21], exec
                                        ; implicit-def: $vgpr18
	s_or_saveexec_b64 s[22:23], s[22:23]
	v_mov_b32_e32 v17, 1.0
	s_xor_b64 exec, exec, s[22:23]
	s_cbranch_execz .LBB22_18
.LBB22_41:                              ;   in Loop: Header=BB22_9 Depth=1
	s_waitcnt lgkmcnt(0)
	v_mov_b32_e32 v16, s43
	ds_read_b32 v19, v16
	s_andn2_b64 s[20:21], s[20:21], exec
	s_and_b64 s[46:47], s[10:11], exec
	s_or_b64 s[20:21], s[20:21], s[46:47]
	s_waitcnt lgkmcnt(0)
	v_fmac_f32_e32 v18, v19, v19
	v_cmp_gt_f32_e32 vcc, s38, v18
	v_mul_f32_e32 v16, 0x4f800000, v18
	v_cndmask_b32_e32 v16, v18, v16, vcc
	v_sqrt_f32_e32 v17, v16
	v_add_u32_e32 v18, -1, v17
	v_fma_f32 v20, -v18, v17, v16
	v_cmp_ge_f32_e64 s[8:9], 0, v20
	v_add_u32_e32 v20, 1, v17
	v_cndmask_b32_e64 v18, v17, v18, s[8:9]
	v_fma_f32 v17, -v20, v17, v16
	v_cmp_lt_f32_e64 s[8:9], 0, v17
	v_cndmask_b32_e64 v17, v18, v20, s[8:9]
	v_mul_f32_e32 v18, 0x37800000, v17
	v_cndmask_b32_e32 v17, v17, v18, vcc
	v_cmp_class_f32_e32 vcc, v16, v15
	v_cndmask_b32_e32 v16, v17, v16, vcc
	v_cmp_le_f32_e32 vcc, 0, v19
	v_cndmask_b32_e64 v16, v16, -v16, vcc
	v_sub_f32_e32 v17, v19, v16
	v_div_scale_f32 v18, s[8:9], v17, v17, 1.0
	v_rcp_f32_e32 v20, v18
	v_fma_f32 v21, -v18, v20, 1.0
	v_fmac_f32_e32 v20, v21, v20
	v_div_scale_f32 v21, vcc, 1.0, v17, 1.0
	v_mul_f32_e32 v22, v21, v20
	v_fma_f32 v23, -v18, v22, v21
	v_fmac_f32_e32 v22, v23, v20
	v_fma_f32 v18, -v18, v22, v21
	v_div_fmas_f32 v18, v18, v20, v22
	v_div_fixup_f32 v17, v18, v17, 1.0
	v_sub_f32_e32 v18, v16, v19
	v_div_scale_f32 v19, s[8:9], v16, v16, v18
	s_and_b64 s[8:9], s[14:15], exec
	v_rcp_f32_e32 v20, v19
	v_fma_f32 v21, -v19, v20, 1.0
	v_fmac_f32_e32 v20, v21, v20
	v_div_scale_f32 v21, vcc, v18, v16, v18
	v_mul_f32_e32 v22, v21, v20
	v_fma_f32 v23, -v19, v22, v21
	v_fmac_f32_e32 v22, v23, v20
	v_fma_f32 v19, -v19, v22, v21
	v_div_fmas_f32 v19, v19, v20, v22
	v_div_fixup_f32 v18, v19, v16, v18
	v_mov_b32_e32 v19, s34
	ds_write_b32 v19, v18
	s_or_b64 exec, exec, s[22:23]
	s_and_saveexec_b64 s[22:23], s[20:21]
	s_cbranch_execz .LBB22_19
.LBB22_42:                              ;   in Loop: Header=BB22_9 Depth=1
	s_lshl_b64 s[20:21], s[12:13], 2
	s_add_u32 s20, s28, s20
	s_addc_u32 s21, s29, s21
	s_waitcnt lgkmcnt(0)
	global_store_dword v14, v16, s[20:21]
	v_mov_b32_e32 v16, 1.0
	s_or_b64 s[8:9], s[8:9], exec
	s_or_b64 exec, exec, s[22:23]
	v_mov_b32_e32 v18, 0
	s_and_saveexec_b64 s[20:21], s[8:9]
	s_cbranch_execnz .LBB22_20
	s_branch .LBB22_21
.LBB22_43:
	s_and_saveexec_b64 s[2:3], s[0:1]
	s_cbranch_execz .LBB22_49
; %bb.44:
	v_mul_lo_u32 v0, s16, v5
	v_mad_u64_u32 v[2:3], s[0:1], s26, v5, v[1:2]
	v_cmp_gt_i32_e32 vcc, s17, v5
	v_lshlrev_b32_e32 v0, 2, v0
	s_lshl_b32 s8, s26, 1
	v_add3_u32 v0, v0, v6, 0
	s_lshl_b32 s9, s16, 3
	s_mov_b64 s[2:3], 0
	s_branch .LBB22_46
.LBB22_45:                              ;   in Loop: Header=BB22_46 Depth=1
	s_or_b64 exec, exec, s[4:5]
	v_add_u32_e32 v1, 0x80, v1
	v_cmp_le_i32_e64 s[0:1], s16, v1
	v_add_u32_e32 v2, 0x80, v2
	s_or_b64 s[2:3], s[0:1], s[2:3]
	v_add_u32_e32 v0, 0x200, v0
	s_andn2_b64 exec, exec, s[2:3]
	s_cbranch_execz .LBB22_49
.LBB22_46:                              ; =>This Loop Header: Depth=1
                                        ;     Child Loop BB22_48 Depth 2
	s_and_saveexec_b64 s[4:5], vcc
	s_cbranch_execz .LBB22_45
; %bb.47:                               ;   in Loop: Header=BB22_46 Depth=1
	s_mov_b64 s[6:7], 0
	v_mov_b32_e32 v6, v0
	v_mov_b32_e32 v3, v2
	v_mov_b32_e32 v7, v5
.LBB22_48:                              ;   Parent Loop BB22_46 Depth=1
                                        ; =>  This Inner Loop Header: Depth=2
	ds_read_b32 v10, v6
	v_ashrrev_i32_e32 v4, 31, v3
	v_add_u32_e32 v7, 2, v7
	v_lshlrev_b64 v[8:9], 2, v[3:4]
	v_cmp_le_i32_e64 s[0:1], s17, v7
	v_mov_b32_e32 v11, s25
	s_or_b64 s[6:7], s[0:1], s[6:7]
	v_add_co_u32_e64 v8, s[0:1], s24, v8
	v_add_u32_e32 v6, s9, v6
	v_add_u32_e32 v3, s8, v3
	v_addc_co_u32_e64 v9, s[0:1], v11, v9, s[0:1]
	s_waitcnt lgkmcnt(0)
	global_store_dword v[8:9], v10, off
	s_andn2_b64 exec, exec, s[6:7]
	s_cbranch_execnz .LBB22_48
	s_branch .LBB22_45
.LBB22_49:
	s_endpgm
	.section	.rodata,"a",@progbits
	.p2align	6, 0x0
	.amdhsa_kernel _ZN9rocsolver6v33100L18geqr2_kernel_smallILi256EfifPfEEvT1_S3_T3_lS3_lPT2_lPT0_l
		.amdhsa_group_segment_fixed_size 0
		.amdhsa_private_segment_fixed_size 0
		.amdhsa_kernarg_size 72
		.amdhsa_user_sgpr_count 6
		.amdhsa_user_sgpr_private_segment_buffer 1
		.amdhsa_user_sgpr_dispatch_ptr 0
		.amdhsa_user_sgpr_queue_ptr 0
		.amdhsa_user_sgpr_kernarg_segment_ptr 1
		.amdhsa_user_sgpr_dispatch_id 0
		.amdhsa_user_sgpr_flat_scratch_init 0
		.amdhsa_user_sgpr_private_segment_size 0
		.amdhsa_uses_dynamic_stack 0
		.amdhsa_system_sgpr_private_segment_wavefront_offset 0
		.amdhsa_system_sgpr_workgroup_id_x 1
		.amdhsa_system_sgpr_workgroup_id_y 0
		.amdhsa_system_sgpr_workgroup_id_z 1
		.amdhsa_system_sgpr_workgroup_info 0
		.amdhsa_system_vgpr_workitem_id 0
		.amdhsa_next_free_vgpr 24
		.amdhsa_next_free_sgpr 48
		.amdhsa_reserve_vcc 1
		.amdhsa_reserve_flat_scratch 0
		.amdhsa_float_round_mode_32 0
		.amdhsa_float_round_mode_16_64 0
		.amdhsa_float_denorm_mode_32 3
		.amdhsa_float_denorm_mode_16_64 3
		.amdhsa_dx10_clamp 1
		.amdhsa_ieee_mode 1
		.amdhsa_fp16_overflow 0
		.amdhsa_exception_fp_ieee_invalid_op 0
		.amdhsa_exception_fp_denorm_src 0
		.amdhsa_exception_fp_ieee_div_zero 0
		.amdhsa_exception_fp_ieee_overflow 0
		.amdhsa_exception_fp_ieee_underflow 0
		.amdhsa_exception_fp_ieee_inexact 0
		.amdhsa_exception_int_div_zero 0
	.end_amdhsa_kernel
	.section	.text._ZN9rocsolver6v33100L18geqr2_kernel_smallILi256EfifPfEEvT1_S3_T3_lS3_lPT2_lPT0_l,"axG",@progbits,_ZN9rocsolver6v33100L18geqr2_kernel_smallILi256EfifPfEEvT1_S3_T3_lS3_lPT2_lPT0_l,comdat
.Lfunc_end22:
	.size	_ZN9rocsolver6v33100L18geqr2_kernel_smallILi256EfifPfEEvT1_S3_T3_lS3_lPT2_lPT0_l, .Lfunc_end22-_ZN9rocsolver6v33100L18geqr2_kernel_smallILi256EfifPfEEvT1_S3_T3_lS3_lPT2_lPT0_l
                                        ; -- End function
	.set _ZN9rocsolver6v33100L18geqr2_kernel_smallILi256EfifPfEEvT1_S3_T3_lS3_lPT2_lPT0_l.num_vgpr, 24
	.set _ZN9rocsolver6v33100L18geqr2_kernel_smallILi256EfifPfEEvT1_S3_T3_lS3_lPT2_lPT0_l.num_agpr, 0
	.set _ZN9rocsolver6v33100L18geqr2_kernel_smallILi256EfifPfEEvT1_S3_T3_lS3_lPT2_lPT0_l.numbered_sgpr, 48
	.set _ZN9rocsolver6v33100L18geqr2_kernel_smallILi256EfifPfEEvT1_S3_T3_lS3_lPT2_lPT0_l.num_named_barrier, 0
	.set _ZN9rocsolver6v33100L18geqr2_kernel_smallILi256EfifPfEEvT1_S3_T3_lS3_lPT2_lPT0_l.private_seg_size, 0
	.set _ZN9rocsolver6v33100L18geqr2_kernel_smallILi256EfifPfEEvT1_S3_T3_lS3_lPT2_lPT0_l.uses_vcc, 1
	.set _ZN9rocsolver6v33100L18geqr2_kernel_smallILi256EfifPfEEvT1_S3_T3_lS3_lPT2_lPT0_l.uses_flat_scratch, 0
	.set _ZN9rocsolver6v33100L18geqr2_kernel_smallILi256EfifPfEEvT1_S3_T3_lS3_lPT2_lPT0_l.has_dyn_sized_stack, 0
	.set _ZN9rocsolver6v33100L18geqr2_kernel_smallILi256EfifPfEEvT1_S3_T3_lS3_lPT2_lPT0_l.has_recursion, 0
	.set _ZN9rocsolver6v33100L18geqr2_kernel_smallILi256EfifPfEEvT1_S3_T3_lS3_lPT2_lPT0_l.has_indirect_call, 0
	.section	.AMDGPU.csdata,"",@progbits
; Kernel info:
; codeLenInByte = 2332
; TotalNumSgprs: 52
; NumVgprs: 24
; ScratchSize: 0
; MemoryBound: 0
; FloatMode: 240
; IeeeMode: 1
; LDSByteSize: 0 bytes/workgroup (compile time only)
; SGPRBlocks: 6
; VGPRBlocks: 5
; NumSGPRsForWavesPerEU: 52
; NumVGPRsForWavesPerEU: 24
; Occupancy: 10
; WaveLimiterHint : 0
; COMPUTE_PGM_RSRC2:SCRATCH_EN: 0
; COMPUTE_PGM_RSRC2:USER_SGPR: 6
; COMPUTE_PGM_RSRC2:TRAP_HANDLER: 0
; COMPUTE_PGM_RSRC2:TGID_X_EN: 1
; COMPUTE_PGM_RSRC2:TGID_Y_EN: 0
; COMPUTE_PGM_RSRC2:TGID_Z_EN: 1
; COMPUTE_PGM_RSRC2:TIDIG_COMP_CNT: 0
	.section	.text._ZN9rocsolver6v33100L16reset_batch_infoIfiiPfEEvT2_lT0_T1_,"axG",@progbits,_ZN9rocsolver6v33100L16reset_batch_infoIfiiPfEEvT2_lT0_T1_,comdat
	.globl	_ZN9rocsolver6v33100L16reset_batch_infoIfiiPfEEvT2_lT0_T1_ ; -- Begin function _ZN9rocsolver6v33100L16reset_batch_infoIfiiPfEEvT2_lT0_T1_
	.p2align	8
	.type	_ZN9rocsolver6v33100L16reset_batch_infoIfiiPfEEvT2_lT0_T1_,@function
_ZN9rocsolver6v33100L16reset_batch_infoIfiiPfEEvT2_lT0_T1_: ; @_ZN9rocsolver6v33100L16reset_batch_infoIfiiPfEEvT2_lT0_T1_
; %bb.0:
	s_load_dword s2, s[4:5], 0x24
	s_load_dwordx2 s[0:1], s[4:5], 0x10
	s_waitcnt lgkmcnt(0)
	s_and_b32 s2, s2, 0xffff
	s_mul_i32 s6, s6, s2
	v_add_u32_e32 v0, s6, v0
	v_cmp_gt_i32_e32 vcc, s0, v0
	s_and_saveexec_b64 s[2:3], vcc
	s_cbranch_execz .LBB23_2
; %bb.1:
	s_load_dwordx4 s[8:11], s[4:5], 0x0
	s_ashr_i32 s0, s7, 31
	v_ashrrev_i32_e32 v1, 31, v0
	v_lshlrev_b64 v[0:1], 2, v[0:1]
	v_cvt_f32_i32_e32 v3, s1
	s_waitcnt lgkmcnt(0)
	s_mul_hi_u32 s3, s10, s7
	s_mul_i32 s0, s10, s0
	s_mul_i32 s4, s11, s7
	s_add_i32 s0, s3, s0
	s_mul_i32 s2, s10, s7
	s_add_i32 s3, s0, s4
	s_lshl_b64 s[2:3], s[2:3], 2
	s_add_u32 s0, s8, s2
	s_addc_u32 s2, s9, s3
	v_mov_b32_e32 v2, s2
	v_add_co_u32_e32 v0, vcc, s0, v0
	v_addc_co_u32_e32 v1, vcc, v2, v1, vcc
	global_store_dword v[0:1], v3, off
.LBB23_2:
	s_endpgm
	.section	.rodata,"a",@progbits
	.p2align	6, 0x0
	.amdhsa_kernel _ZN9rocsolver6v33100L16reset_batch_infoIfiiPfEEvT2_lT0_T1_
		.amdhsa_group_segment_fixed_size 0
		.amdhsa_private_segment_fixed_size 0
		.amdhsa_kernarg_size 280
		.amdhsa_user_sgpr_count 6
		.amdhsa_user_sgpr_private_segment_buffer 1
		.amdhsa_user_sgpr_dispatch_ptr 0
		.amdhsa_user_sgpr_queue_ptr 0
		.amdhsa_user_sgpr_kernarg_segment_ptr 1
		.amdhsa_user_sgpr_dispatch_id 0
		.amdhsa_user_sgpr_flat_scratch_init 0
		.amdhsa_user_sgpr_private_segment_size 0
		.amdhsa_uses_dynamic_stack 0
		.amdhsa_system_sgpr_private_segment_wavefront_offset 0
		.amdhsa_system_sgpr_workgroup_id_x 1
		.amdhsa_system_sgpr_workgroup_id_y 1
		.amdhsa_system_sgpr_workgroup_id_z 0
		.amdhsa_system_sgpr_workgroup_info 0
		.amdhsa_system_vgpr_workitem_id 0
		.amdhsa_next_free_vgpr 4
		.amdhsa_next_free_sgpr 12
		.amdhsa_reserve_vcc 1
		.amdhsa_reserve_flat_scratch 0
		.amdhsa_float_round_mode_32 0
		.amdhsa_float_round_mode_16_64 0
		.amdhsa_float_denorm_mode_32 3
		.amdhsa_float_denorm_mode_16_64 3
		.amdhsa_dx10_clamp 1
		.amdhsa_ieee_mode 1
		.amdhsa_fp16_overflow 0
		.amdhsa_exception_fp_ieee_invalid_op 0
		.amdhsa_exception_fp_denorm_src 0
		.amdhsa_exception_fp_ieee_div_zero 0
		.amdhsa_exception_fp_ieee_overflow 0
		.amdhsa_exception_fp_ieee_underflow 0
		.amdhsa_exception_fp_ieee_inexact 0
		.amdhsa_exception_int_div_zero 0
	.end_amdhsa_kernel
	.section	.text._ZN9rocsolver6v33100L16reset_batch_infoIfiiPfEEvT2_lT0_T1_,"axG",@progbits,_ZN9rocsolver6v33100L16reset_batch_infoIfiiPfEEvT2_lT0_T1_,comdat
.Lfunc_end23:
	.size	_ZN9rocsolver6v33100L16reset_batch_infoIfiiPfEEvT2_lT0_T1_, .Lfunc_end23-_ZN9rocsolver6v33100L16reset_batch_infoIfiiPfEEvT2_lT0_T1_
                                        ; -- End function
	.set _ZN9rocsolver6v33100L16reset_batch_infoIfiiPfEEvT2_lT0_T1_.num_vgpr, 4
	.set _ZN9rocsolver6v33100L16reset_batch_infoIfiiPfEEvT2_lT0_T1_.num_agpr, 0
	.set _ZN9rocsolver6v33100L16reset_batch_infoIfiiPfEEvT2_lT0_T1_.numbered_sgpr, 12
	.set _ZN9rocsolver6v33100L16reset_batch_infoIfiiPfEEvT2_lT0_T1_.num_named_barrier, 0
	.set _ZN9rocsolver6v33100L16reset_batch_infoIfiiPfEEvT2_lT0_T1_.private_seg_size, 0
	.set _ZN9rocsolver6v33100L16reset_batch_infoIfiiPfEEvT2_lT0_T1_.uses_vcc, 1
	.set _ZN9rocsolver6v33100L16reset_batch_infoIfiiPfEEvT2_lT0_T1_.uses_flat_scratch, 0
	.set _ZN9rocsolver6v33100L16reset_batch_infoIfiiPfEEvT2_lT0_T1_.has_dyn_sized_stack, 0
	.set _ZN9rocsolver6v33100L16reset_batch_infoIfiiPfEEvT2_lT0_T1_.has_recursion, 0
	.set _ZN9rocsolver6v33100L16reset_batch_infoIfiiPfEEvT2_lT0_T1_.has_indirect_call, 0
	.section	.AMDGPU.csdata,"",@progbits
; Kernel info:
; codeLenInByte = 140
; TotalNumSgprs: 16
; NumVgprs: 4
; ScratchSize: 0
; MemoryBound: 0
; FloatMode: 240
; IeeeMode: 1
; LDSByteSize: 0 bytes/workgroup (compile time only)
; SGPRBlocks: 1
; VGPRBlocks: 0
; NumSGPRsForWavesPerEU: 16
; NumVGPRsForWavesPerEU: 4
; Occupancy: 10
; WaveLimiterHint : 0
; COMPUTE_PGM_RSRC2:SCRATCH_EN: 0
; COMPUTE_PGM_RSRC2:USER_SGPR: 6
; COMPUTE_PGM_RSRC2:TRAP_HANDLER: 0
; COMPUTE_PGM_RSRC2:TGID_X_EN: 1
; COMPUTE_PGM_RSRC2:TGID_Y_EN: 1
; COMPUTE_PGM_RSRC2:TGID_Z_EN: 0
; COMPUTE_PGM_RSRC2:TIDIG_COMP_CNT: 0
	.section	.text._ZN9rocsolver6v33100L8set_diagIfifPfTnNSt9enable_ifIXoont18rocblas_is_complexIT_E18rocblas_is_complexIT1_EEiE4typeELi0EEEvPS5_llT2_lT0_lSA_b,"axG",@progbits,_ZN9rocsolver6v33100L8set_diagIfifPfTnNSt9enable_ifIXoont18rocblas_is_complexIT_E18rocblas_is_complexIT1_EEiE4typeELi0EEEvPS5_llT2_lT0_lSA_b,comdat
	.globl	_ZN9rocsolver6v33100L8set_diagIfifPfTnNSt9enable_ifIXoont18rocblas_is_complexIT_E18rocblas_is_complexIT1_EEiE4typeELi0EEEvPS5_llT2_lT0_lSA_b ; -- Begin function _ZN9rocsolver6v33100L8set_diagIfifPfTnNSt9enable_ifIXoont18rocblas_is_complexIT_E18rocblas_is_complexIT1_EEiE4typeELi0EEEvPS5_llT2_lT0_lSA_b
	.p2align	8
	.type	_ZN9rocsolver6v33100L8set_diagIfifPfTnNSt9enable_ifIXoont18rocblas_is_complexIT_E18rocblas_is_complexIT1_EEiE4typeELi0EEEvPS5_llT2_lT0_lSA_b,@function
_ZN9rocsolver6v33100L8set_diagIfifPfTnNSt9enable_ifIXoont18rocblas_is_complexIT_E18rocblas_is_complexIT1_EEiE4typeELi0EEEvPS5_llT2_lT0_lSA_b: ; @_ZN9rocsolver6v33100L8set_diagIfifPfTnNSt9enable_ifIXoont18rocblas_is_complexIT_E18rocblas_is_complexIT1_EEiE4typeELi0EEEvPS5_llT2_lT0_lSA_b
; %bb.0:
	s_load_dword s2, s[4:5], 0x4c
	s_load_dwordx2 s[0:1], s[4:5], 0x38
	s_waitcnt lgkmcnt(0)
	s_lshr_b32 s2, s2, 16
	s_mul_i32 s7, s7, s2
	v_add_u32_e32 v0, s7, v1
	v_cmp_gt_i32_e32 vcc, s0, v0
	s_and_saveexec_b64 s[2:3], vcc
	s_cbranch_execz .LBB24_2
; %bb.1:
	s_load_dwordx2 s[2:3], s[4:5], 0x20
	s_load_dword s7, s[4:5], 0x28
	s_load_dwordx2 s[16:17], s[4:5], 0x30
	s_load_dwordx8 s[8:15], s[4:5], 0x0
	s_bitcmp1_b32 s1, 0
	s_cselect_b64 s[0:1], -1, 0
	s_ashr_i32 s18, s6, 31
	s_waitcnt lgkmcnt(0)
	s_mul_hi_u32 s4, s16, s6
	s_mul_i32 s5, s16, s18
	s_add_i32 s4, s4, s5
	s_mul_i32 s5, s17, s6
	s_add_i32 s5, s4, s5
	s_mul_i32 s4, s16, s6
	s_lshl_b64 s[4:5], s[4:5], 2
	s_add_u32 s14, s14, s4
	s_addc_u32 s15, s15, s5
	v_mad_u64_u32 v[1:2], s[4:5], v0, s7, v[0:1]
	s_lshl_b64 s[2:3], s[2:3], 2
	s_add_u32 s2, s14, s2
	v_ashrrev_i32_e32 v2, 31, v1
	v_lshlrev_b64 v[1:2], 2, v[1:2]
	s_addc_u32 s3, s15, s3
	v_mov_b32_e32 v4, s3
	v_add_co_u32_e32 v3, vcc, s2, v1
	v_addc_co_u32_e32 v4, vcc, v4, v2, vcc
	global_load_dword v2, v[3:4], off
	s_mul_hi_u32 s3, s12, s6
	s_mul_i32 s4, s12, s18
	s_mul_i32 s5, s13, s6
	s_add_i32 s3, s3, s4
	s_mul_i32 s2, s12, s6
	s_add_i32 s3, s3, s5
	s_lshl_b64 s[2:3], s[2:3], 2
	s_add_u32 s4, s8, s2
	v_ashrrev_i32_e32 v1, 31, v0
	s_addc_u32 s5, s9, s3
	s_lshl_b64 s[2:3], s[10:11], 2
	v_lshlrev_b64 v[0:1], 2, v[0:1]
	s_add_u32 s2, s4, s2
	s_addc_u32 s3, s5, s3
	v_mov_b32_e32 v5, s3
	v_add_co_u32_e32 v0, vcc, s2, v0
	v_addc_co_u32_e32 v1, vcc, v5, v1, vcc
	s_waitcnt vmcnt(0)
	global_store_dword v[0:1], v2, off
	v_cndmask_b32_e64 v0, v2, 1.0, s[0:1]
	global_store_dword v[3:4], v0, off
.LBB24_2:
	s_endpgm
	.section	.rodata,"a",@progbits
	.p2align	6, 0x0
	.amdhsa_kernel _ZN9rocsolver6v33100L8set_diagIfifPfTnNSt9enable_ifIXoont18rocblas_is_complexIT_E18rocblas_is_complexIT1_EEiE4typeELi0EEEvPS5_llT2_lT0_lSA_b
		.amdhsa_group_segment_fixed_size 0
		.amdhsa_private_segment_fixed_size 0
		.amdhsa_kernarg_size 320
		.amdhsa_user_sgpr_count 6
		.amdhsa_user_sgpr_private_segment_buffer 1
		.amdhsa_user_sgpr_dispatch_ptr 0
		.amdhsa_user_sgpr_queue_ptr 0
		.amdhsa_user_sgpr_kernarg_segment_ptr 1
		.amdhsa_user_sgpr_dispatch_id 0
		.amdhsa_user_sgpr_flat_scratch_init 0
		.amdhsa_user_sgpr_private_segment_size 0
		.amdhsa_uses_dynamic_stack 0
		.amdhsa_system_sgpr_private_segment_wavefront_offset 0
		.amdhsa_system_sgpr_workgroup_id_x 1
		.amdhsa_system_sgpr_workgroup_id_y 1
		.amdhsa_system_sgpr_workgroup_id_z 0
		.amdhsa_system_sgpr_workgroup_info 0
		.amdhsa_system_vgpr_workitem_id 1
		.amdhsa_next_free_vgpr 6
		.amdhsa_next_free_sgpr 19
		.amdhsa_reserve_vcc 1
		.amdhsa_reserve_flat_scratch 0
		.amdhsa_float_round_mode_32 0
		.amdhsa_float_round_mode_16_64 0
		.amdhsa_float_denorm_mode_32 3
		.amdhsa_float_denorm_mode_16_64 3
		.amdhsa_dx10_clamp 1
		.amdhsa_ieee_mode 1
		.amdhsa_fp16_overflow 0
		.amdhsa_exception_fp_ieee_invalid_op 0
		.amdhsa_exception_fp_denorm_src 0
		.amdhsa_exception_fp_ieee_div_zero 0
		.amdhsa_exception_fp_ieee_overflow 0
		.amdhsa_exception_fp_ieee_underflow 0
		.amdhsa_exception_fp_ieee_inexact 0
		.amdhsa_exception_int_div_zero 0
	.end_amdhsa_kernel
	.section	.text._ZN9rocsolver6v33100L8set_diagIfifPfTnNSt9enable_ifIXoont18rocblas_is_complexIT_E18rocblas_is_complexIT1_EEiE4typeELi0EEEvPS5_llT2_lT0_lSA_b,"axG",@progbits,_ZN9rocsolver6v33100L8set_diagIfifPfTnNSt9enable_ifIXoont18rocblas_is_complexIT_E18rocblas_is_complexIT1_EEiE4typeELi0EEEvPS5_llT2_lT0_lSA_b,comdat
.Lfunc_end24:
	.size	_ZN9rocsolver6v33100L8set_diagIfifPfTnNSt9enable_ifIXoont18rocblas_is_complexIT_E18rocblas_is_complexIT1_EEiE4typeELi0EEEvPS5_llT2_lT0_lSA_b, .Lfunc_end24-_ZN9rocsolver6v33100L8set_diagIfifPfTnNSt9enable_ifIXoont18rocblas_is_complexIT_E18rocblas_is_complexIT1_EEiE4typeELi0EEEvPS5_llT2_lT0_lSA_b
                                        ; -- End function
	.set _ZN9rocsolver6v33100L8set_diagIfifPfTnNSt9enable_ifIXoont18rocblas_is_complexIT_E18rocblas_is_complexIT1_EEiE4typeELi0EEEvPS5_llT2_lT0_lSA_b.num_vgpr, 6
	.set _ZN9rocsolver6v33100L8set_diagIfifPfTnNSt9enable_ifIXoont18rocblas_is_complexIT_E18rocblas_is_complexIT1_EEiE4typeELi0EEEvPS5_llT2_lT0_lSA_b.num_agpr, 0
	.set _ZN9rocsolver6v33100L8set_diagIfifPfTnNSt9enable_ifIXoont18rocblas_is_complexIT_E18rocblas_is_complexIT1_EEiE4typeELi0EEEvPS5_llT2_lT0_lSA_b.numbered_sgpr, 19
	.set _ZN9rocsolver6v33100L8set_diagIfifPfTnNSt9enable_ifIXoont18rocblas_is_complexIT_E18rocblas_is_complexIT1_EEiE4typeELi0EEEvPS5_llT2_lT0_lSA_b.num_named_barrier, 0
	.set _ZN9rocsolver6v33100L8set_diagIfifPfTnNSt9enable_ifIXoont18rocblas_is_complexIT_E18rocblas_is_complexIT1_EEiE4typeELi0EEEvPS5_llT2_lT0_lSA_b.private_seg_size, 0
	.set _ZN9rocsolver6v33100L8set_diagIfifPfTnNSt9enable_ifIXoont18rocblas_is_complexIT_E18rocblas_is_complexIT1_EEiE4typeELi0EEEvPS5_llT2_lT0_lSA_b.uses_vcc, 1
	.set _ZN9rocsolver6v33100L8set_diagIfifPfTnNSt9enable_ifIXoont18rocblas_is_complexIT_E18rocblas_is_complexIT1_EEiE4typeELi0EEEvPS5_llT2_lT0_lSA_b.uses_flat_scratch, 0
	.set _ZN9rocsolver6v33100L8set_diagIfifPfTnNSt9enable_ifIXoont18rocblas_is_complexIT_E18rocblas_is_complexIT1_EEiE4typeELi0EEEvPS5_llT2_lT0_lSA_b.has_dyn_sized_stack, 0
	.set _ZN9rocsolver6v33100L8set_diagIfifPfTnNSt9enable_ifIXoont18rocblas_is_complexIT_E18rocblas_is_complexIT1_EEiE4typeELi0EEEvPS5_llT2_lT0_lSA_b.has_recursion, 0
	.set _ZN9rocsolver6v33100L8set_diagIfifPfTnNSt9enable_ifIXoont18rocblas_is_complexIT_E18rocblas_is_complexIT1_EEiE4typeELi0EEEvPS5_llT2_lT0_lSA_b.has_indirect_call, 0
	.section	.AMDGPU.csdata,"",@progbits
; Kernel info:
; codeLenInByte = 284
; TotalNumSgprs: 23
; NumVgprs: 6
; ScratchSize: 0
; MemoryBound: 0
; FloatMode: 240
; IeeeMode: 1
; LDSByteSize: 0 bytes/workgroup (compile time only)
; SGPRBlocks: 2
; VGPRBlocks: 1
; NumSGPRsForWavesPerEU: 23
; NumVGPRsForWavesPerEU: 6
; Occupancy: 10
; WaveLimiterHint : 0
; COMPUTE_PGM_RSRC2:SCRATCH_EN: 0
; COMPUTE_PGM_RSRC2:USER_SGPR: 6
; COMPUTE_PGM_RSRC2:TRAP_HANDLER: 0
; COMPUTE_PGM_RSRC2:TGID_X_EN: 1
; COMPUTE_PGM_RSRC2:TGID_Y_EN: 1
; COMPUTE_PGM_RSRC2:TGID_Z_EN: 0
; COMPUTE_PGM_RSRC2:TIDIG_COMP_CNT: 1
	.section	.text._ZN9rocsolver6v33100L11set_taubetaIfifPfEEvPT_lS4_T2_llPT1_ll,"axG",@progbits,_ZN9rocsolver6v33100L11set_taubetaIfifPfEEvPT_lS4_T2_llPT1_ll,comdat
	.globl	_ZN9rocsolver6v33100L11set_taubetaIfifPfEEvPT_lS4_T2_llPT1_ll ; -- Begin function _ZN9rocsolver6v33100L11set_taubetaIfifPfEEvPT_lS4_T2_llPT1_ll
	.p2align	8
	.type	_ZN9rocsolver6v33100L11set_taubetaIfifPfEEvPT_lS4_T2_llPT1_ll,@function
_ZN9rocsolver6v33100L11set_taubetaIfifPfEEvPT_lS4_T2_llPT1_ll: ; @_ZN9rocsolver6v33100L11set_taubetaIfifPfEEvPT_lS4_T2_llPT1_ll
; %bb.0:
	s_load_dwordx16 s[8:23], s[4:5], 0x0
	s_ashr_i32 s7, s6, 31
	s_mov_b64 s[0:1], 0
	s_mov_b64 s[2:3], 0
	s_waitcnt lgkmcnt(0)
	s_cmp_eq_u64 s[20:21], 0
	s_cbranch_scc1 .LBB25_2
; %bb.1:
	s_load_dwordx2 s[2:3], s[4:5], 0x40
	s_waitcnt lgkmcnt(0)
	s_mul_i32 s4, s2, s7
	s_mul_hi_u32 s5, s2, s6
	s_mul_i32 s3, s3, s6
	s_add_i32 s4, s5, s4
	s_mul_i32 s2, s2, s6
	s_add_i32 s3, s4, s3
	s_lshl_b64 s[2:3], s[2:3], 2
	s_add_u32 s4, s20, s2
	s_addc_u32 s5, s21, s3
	s_lshl_b64 s[2:3], s[22:23], 2
	s_add_u32 s2, s4, s2
	s_addc_u32 s3, s5, s3
.LBB25_2:
	s_mul_i32 s4, s18, s7
	s_mul_hi_u32 s5, s18, s6
	s_add_i32 s4, s5, s4
	s_mul_i32 s5, s19, s6
	s_add_i32 s5, s4, s5
	s_mul_i32 s4, s18, s6
	s_lshl_b64 s[4:5], s[4:5], 2
	s_add_u32 s14, s14, s4
	s_addc_u32 s15, s15, s5
	s_lshl_b64 s[4:5], s[16:17], 2
	s_add_u32 s4, s14, s4
	s_addc_u32 s5, s15, s5
	s_mul_i32 s14, s10, s7
	s_mul_hi_u32 s15, s10, s6
	s_add_i32 s14, s15, s14
	s_mul_i32 s11, s11, s6
	s_add_i32 s11, s14, s11
	s_mul_i32 s10, s10, s6
	s_lshl_b64 s[10:11], s[10:11], 2
	s_add_u32 s8, s8, s10
	s_addc_u32 s9, s9, s11
	s_lshl_b64 s[6:7], s[6:7], 2
	s_add_u32 s12, s12, s6
	s_addc_u32 s13, s13, s7
	s_load_dword s16, s[12:13], 0x0
	s_cmp_eq_u64 s[2:3], 0
	s_cselect_b64 s[6:7], -1, 0
	s_cmp_lg_u64 s[2:3], 0
	s_cselect_b64 s[10:11], -1, 0
	s_waitcnt lgkmcnt(0)
	v_cmp_ngt_f32_e64 s[14:15], s16, 0
	s_and_b64 vcc, exec, s[14:15]
	s_cbranch_vccz .LBB25_6
; %bb.3:
	v_mov_b32_e32 v1, 1.0
	v_mov_b32_e32 v0, 0
	s_mov_b64 s[14:15], 0
	s_and_b64 vcc, exec, s[10:11]
	global_store_dword v0, v1, s[12:13]
	global_store_dword v0, v0, s[8:9]
	s_cbranch_vccz .LBB25_7
; %bb.4:
	global_load_dword v0, v0, s[4:5]
	s_mov_b64 s[0:1], -1
	s_and_b64 vcc, exec, s[14:15]
	s_cbranch_vccnz .LBB25_8
.LBB25_5:
	s_mov_b64 s[6:7], 0
	s_andn2_b64 vcc, exec, s[0:1]
	s_cbranch_vccz .LBB25_9
	s_branch .LBB25_10
.LBB25_6:
	s_mov_b64 s[14:15], -1
.LBB25_7:
                                        ; implicit-def: $vgpr0
	s_and_b64 vcc, exec, s[14:15]
	s_cbranch_vccz .LBB25_5
.LBB25_8:
	v_mov_b32_e32 v1, 0
	global_load_dword v2, v1, s[4:5]
	s_mov_b32 s0, 0xf800000
	v_mov_b32_e32 v4, 0x260
	s_waitcnt vmcnt(0)
	v_fma_f32 v0, v2, v2, s16
	v_mul_f32_e32 v3, 0x4f800000, v0
	v_cmp_gt_f32_e32 vcc, s0, v0
	v_cndmask_b32_e32 v0, v0, v3, vcc
	v_sqrt_f32_e32 v3, v0
	v_add_u32_e32 v5, -1, v3
	v_add_u32_e32 v6, 1, v3
	v_fma_f32 v7, -v5, v3, v0
	v_fma_f32 v8, -v6, v3, v0
	v_cmp_ge_f32_e64 s[0:1], 0, v7
	v_cndmask_b32_e64 v3, v3, v5, s[0:1]
	v_cmp_lt_f32_e64 s[0:1], 0, v8
	v_cndmask_b32_e64 v3, v3, v6, s[0:1]
	v_mul_f32_e32 v5, 0x37800000, v3
	v_cndmask_b32_e32 v3, v3, v5, vcc
	v_cmp_class_f32_e32 vcc, v0, v4
	v_cndmask_b32_e32 v0, v3, v0, vcc
	v_cmp_le_f32_e32 vcc, 0, v2
	v_cndmask_b32_e64 v0, v0, -v0, vcc
	v_sub_f32_e32 v2, v2, v0
	v_div_scale_f32 v3, s[0:1], v2, v2, 1.0
	v_div_scale_f32 v4, vcc, 1.0, v2, 1.0
	v_rcp_f32_e32 v5, v3
	v_fma_f32 v6, -v3, v5, 1.0
	v_fmac_f32_e32 v5, v6, v5
	v_mul_f32_e32 v6, v4, v5
	v_fma_f32 v7, -v3, v6, v4
	v_fmac_f32_e32 v6, v7, v5
	v_fma_f32 v3, -v3, v6, v4
	v_div_fmas_f32 v3, v3, v5, v6
	v_div_fixup_f32 v2, v3, v2, 1.0
	global_store_dword v1, v2, s[12:13]
	global_load_dword v2, v1, s[4:5]
	s_waitcnt vmcnt(0)
	v_sub_f32_e32 v2, v0, v2
	v_div_scale_f32 v3, s[0:1], v0, v0, v2
	v_div_scale_f32 v4, vcc, v2, v0, v2
	s_mov_b64 s[0:1], s[10:11]
	v_rcp_f32_e32 v5, v3
	v_fma_f32 v6, -v3, v5, 1.0
	v_fmac_f32_e32 v5, v6, v5
	v_mul_f32_e32 v6, v4, v5
	v_fma_f32 v7, -v3, v6, v4
	v_fmac_f32_e32 v6, v7, v5
	v_fma_f32 v3, -v3, v6, v4
	v_div_fmas_f32 v3, v3, v5, v6
	v_div_fixup_f32 v2, v3, v0, v2
	global_store_dword v1, v2, s[8:9]
	s_andn2_b64 vcc, exec, s[0:1]
	s_cbranch_vccnz .LBB25_10
.LBB25_9:
	v_mov_b32_e32 v1, 0
	s_waitcnt vmcnt(0)
	global_store_dword v1, v0, s[2:3]
	s_mov_b64 s[6:7], -1
	v_mov_b32_e32 v0, 1.0
.LBB25_10:
	s_andn2_b64 vcc, exec, s[6:7]
	s_cbranch_vccz .LBB25_12
; %bb.11:
	s_endpgm
.LBB25_12:
	v_mov_b32_e32 v1, 0
	s_waitcnt vmcnt(0)
	global_store_dword v1, v0, s[4:5]
	s_endpgm
	.section	.rodata,"a",@progbits
	.p2align	6, 0x0
	.amdhsa_kernel _ZN9rocsolver6v33100L11set_taubetaIfifPfEEvPT_lS4_T2_llPT1_ll
		.amdhsa_group_segment_fixed_size 0
		.amdhsa_private_segment_fixed_size 0
		.amdhsa_kernarg_size 72
		.amdhsa_user_sgpr_count 6
		.amdhsa_user_sgpr_private_segment_buffer 1
		.amdhsa_user_sgpr_dispatch_ptr 0
		.amdhsa_user_sgpr_queue_ptr 0
		.amdhsa_user_sgpr_kernarg_segment_ptr 1
		.amdhsa_user_sgpr_dispatch_id 0
		.amdhsa_user_sgpr_flat_scratch_init 0
		.amdhsa_user_sgpr_private_segment_size 0
		.amdhsa_uses_dynamic_stack 0
		.amdhsa_system_sgpr_private_segment_wavefront_offset 0
		.amdhsa_system_sgpr_workgroup_id_x 1
		.amdhsa_system_sgpr_workgroup_id_y 0
		.amdhsa_system_sgpr_workgroup_id_z 0
		.amdhsa_system_sgpr_workgroup_info 0
		.amdhsa_system_vgpr_workitem_id 0
		.amdhsa_next_free_vgpr 9
		.amdhsa_next_free_sgpr 24
		.amdhsa_reserve_vcc 1
		.amdhsa_reserve_flat_scratch 0
		.amdhsa_float_round_mode_32 0
		.amdhsa_float_round_mode_16_64 0
		.amdhsa_float_denorm_mode_32 3
		.amdhsa_float_denorm_mode_16_64 3
		.amdhsa_dx10_clamp 1
		.amdhsa_ieee_mode 1
		.amdhsa_fp16_overflow 0
		.amdhsa_exception_fp_ieee_invalid_op 0
		.amdhsa_exception_fp_denorm_src 0
		.amdhsa_exception_fp_ieee_div_zero 0
		.amdhsa_exception_fp_ieee_overflow 0
		.amdhsa_exception_fp_ieee_underflow 0
		.amdhsa_exception_fp_ieee_inexact 0
		.amdhsa_exception_int_div_zero 0
	.end_amdhsa_kernel
	.section	.text._ZN9rocsolver6v33100L11set_taubetaIfifPfEEvPT_lS4_T2_llPT1_ll,"axG",@progbits,_ZN9rocsolver6v33100L11set_taubetaIfifPfEEvPT_lS4_T2_llPT1_ll,comdat
.Lfunc_end25:
	.size	_ZN9rocsolver6v33100L11set_taubetaIfifPfEEvPT_lS4_T2_llPT1_ll, .Lfunc_end25-_ZN9rocsolver6v33100L11set_taubetaIfifPfEEvPT_lS4_T2_llPT1_ll
                                        ; -- End function
	.set _ZN9rocsolver6v33100L11set_taubetaIfifPfEEvPT_lS4_T2_llPT1_ll.num_vgpr, 9
	.set _ZN9rocsolver6v33100L11set_taubetaIfifPfEEvPT_lS4_T2_llPT1_ll.num_agpr, 0
	.set _ZN9rocsolver6v33100L11set_taubetaIfifPfEEvPT_lS4_T2_llPT1_ll.numbered_sgpr, 24
	.set _ZN9rocsolver6v33100L11set_taubetaIfifPfEEvPT_lS4_T2_llPT1_ll.num_named_barrier, 0
	.set _ZN9rocsolver6v33100L11set_taubetaIfifPfEEvPT_lS4_T2_llPT1_ll.private_seg_size, 0
	.set _ZN9rocsolver6v33100L11set_taubetaIfifPfEEvPT_lS4_T2_llPT1_ll.uses_vcc, 1
	.set _ZN9rocsolver6v33100L11set_taubetaIfifPfEEvPT_lS4_T2_llPT1_ll.uses_flat_scratch, 0
	.set _ZN9rocsolver6v33100L11set_taubetaIfifPfEEvPT_lS4_T2_llPT1_ll.has_dyn_sized_stack, 0
	.set _ZN9rocsolver6v33100L11set_taubetaIfifPfEEvPT_lS4_T2_llPT1_ll.has_recursion, 0
	.set _ZN9rocsolver6v33100L11set_taubetaIfifPfEEvPT_lS4_T2_llPT1_ll.has_indirect_call, 0
	.section	.AMDGPU.csdata,"",@progbits
; Kernel info:
; codeLenInByte = 712
; TotalNumSgprs: 28
; NumVgprs: 9
; ScratchSize: 0
; MemoryBound: 0
; FloatMode: 240
; IeeeMode: 1
; LDSByteSize: 0 bytes/workgroup (compile time only)
; SGPRBlocks: 3
; VGPRBlocks: 2
; NumSGPRsForWavesPerEU: 28
; NumVGPRsForWavesPerEU: 9
; Occupancy: 10
; WaveLimiterHint : 0
; COMPUTE_PGM_RSRC2:SCRATCH_EN: 0
; COMPUTE_PGM_RSRC2:USER_SGPR: 6
; COMPUTE_PGM_RSRC2:TRAP_HANDLER: 0
; COMPUTE_PGM_RSRC2:TGID_X_EN: 1
; COMPUTE_PGM_RSRC2:TGID_Y_EN: 0
; COMPUTE_PGM_RSRC2:TGID_Z_EN: 0
; COMPUTE_PGM_RSRC2:TIDIG_COMP_CNT: 0
	.section	.text._ZN9rocsolver6v33100L13conj_in_placeIfiPfTnNSt9enable_ifIXnt18rocblas_is_complexIT_EEiE4typeELi0EEEvT0_S7_T1_lS7_l,"axG",@progbits,_ZN9rocsolver6v33100L13conj_in_placeIfiPfTnNSt9enable_ifIXnt18rocblas_is_complexIT_EEiE4typeELi0EEEvT0_S7_T1_lS7_l,comdat
	.globl	_ZN9rocsolver6v33100L13conj_in_placeIfiPfTnNSt9enable_ifIXnt18rocblas_is_complexIT_EEiE4typeELi0EEEvT0_S7_T1_lS7_l ; -- Begin function _ZN9rocsolver6v33100L13conj_in_placeIfiPfTnNSt9enable_ifIXnt18rocblas_is_complexIT_EEiE4typeELi0EEEvT0_S7_T1_lS7_l
	.p2align	8
	.type	_ZN9rocsolver6v33100L13conj_in_placeIfiPfTnNSt9enable_ifIXnt18rocblas_is_complexIT_EEiE4typeELi0EEEvT0_S7_T1_lS7_l,@function
_ZN9rocsolver6v33100L13conj_in_placeIfiPfTnNSt9enable_ifIXnt18rocblas_is_complexIT_EEiE4typeELi0EEEvT0_S7_T1_lS7_l: ; @_ZN9rocsolver6v33100L13conj_in_placeIfiPfTnNSt9enable_ifIXnt18rocblas_is_complexIT_EEiE4typeELi0EEEvT0_S7_T1_lS7_l
; %bb.0:
	s_endpgm
	.section	.rodata,"a",@progbits
	.p2align	6, 0x0
	.amdhsa_kernel _ZN9rocsolver6v33100L13conj_in_placeIfiPfTnNSt9enable_ifIXnt18rocblas_is_complexIT_EEiE4typeELi0EEEvT0_S7_T1_lS7_l
		.amdhsa_group_segment_fixed_size 0
		.amdhsa_private_segment_fixed_size 0
		.amdhsa_kernarg_size 40
		.amdhsa_user_sgpr_count 6
		.amdhsa_user_sgpr_private_segment_buffer 1
		.amdhsa_user_sgpr_dispatch_ptr 0
		.amdhsa_user_sgpr_queue_ptr 0
		.amdhsa_user_sgpr_kernarg_segment_ptr 1
		.amdhsa_user_sgpr_dispatch_id 0
		.amdhsa_user_sgpr_flat_scratch_init 0
		.amdhsa_user_sgpr_private_segment_size 0
		.amdhsa_uses_dynamic_stack 0
		.amdhsa_system_sgpr_private_segment_wavefront_offset 0
		.amdhsa_system_sgpr_workgroup_id_x 1
		.amdhsa_system_sgpr_workgroup_id_y 0
		.amdhsa_system_sgpr_workgroup_id_z 0
		.amdhsa_system_sgpr_workgroup_info 0
		.amdhsa_system_vgpr_workitem_id 0
		.amdhsa_next_free_vgpr 1
		.amdhsa_next_free_sgpr 0
		.amdhsa_reserve_vcc 0
		.amdhsa_reserve_flat_scratch 0
		.amdhsa_float_round_mode_32 0
		.amdhsa_float_round_mode_16_64 0
		.amdhsa_float_denorm_mode_32 3
		.amdhsa_float_denorm_mode_16_64 3
		.amdhsa_dx10_clamp 1
		.amdhsa_ieee_mode 1
		.amdhsa_fp16_overflow 0
		.amdhsa_exception_fp_ieee_invalid_op 0
		.amdhsa_exception_fp_denorm_src 0
		.amdhsa_exception_fp_ieee_div_zero 0
		.amdhsa_exception_fp_ieee_overflow 0
		.amdhsa_exception_fp_ieee_underflow 0
		.amdhsa_exception_fp_ieee_inexact 0
		.amdhsa_exception_int_div_zero 0
	.end_amdhsa_kernel
	.section	.text._ZN9rocsolver6v33100L13conj_in_placeIfiPfTnNSt9enable_ifIXnt18rocblas_is_complexIT_EEiE4typeELi0EEEvT0_S7_T1_lS7_l,"axG",@progbits,_ZN9rocsolver6v33100L13conj_in_placeIfiPfTnNSt9enable_ifIXnt18rocblas_is_complexIT_EEiE4typeELi0EEEvT0_S7_T1_lS7_l,comdat
.Lfunc_end26:
	.size	_ZN9rocsolver6v33100L13conj_in_placeIfiPfTnNSt9enable_ifIXnt18rocblas_is_complexIT_EEiE4typeELi0EEEvT0_S7_T1_lS7_l, .Lfunc_end26-_ZN9rocsolver6v33100L13conj_in_placeIfiPfTnNSt9enable_ifIXnt18rocblas_is_complexIT_EEiE4typeELi0EEEvT0_S7_T1_lS7_l
                                        ; -- End function
	.set _ZN9rocsolver6v33100L13conj_in_placeIfiPfTnNSt9enable_ifIXnt18rocblas_is_complexIT_EEiE4typeELi0EEEvT0_S7_T1_lS7_l.num_vgpr, 0
	.set _ZN9rocsolver6v33100L13conj_in_placeIfiPfTnNSt9enable_ifIXnt18rocblas_is_complexIT_EEiE4typeELi0EEEvT0_S7_T1_lS7_l.num_agpr, 0
	.set _ZN9rocsolver6v33100L13conj_in_placeIfiPfTnNSt9enable_ifIXnt18rocblas_is_complexIT_EEiE4typeELi0EEEvT0_S7_T1_lS7_l.numbered_sgpr, 0
	.set _ZN9rocsolver6v33100L13conj_in_placeIfiPfTnNSt9enable_ifIXnt18rocblas_is_complexIT_EEiE4typeELi0EEEvT0_S7_T1_lS7_l.num_named_barrier, 0
	.set _ZN9rocsolver6v33100L13conj_in_placeIfiPfTnNSt9enable_ifIXnt18rocblas_is_complexIT_EEiE4typeELi0EEEvT0_S7_T1_lS7_l.private_seg_size, 0
	.set _ZN9rocsolver6v33100L13conj_in_placeIfiPfTnNSt9enable_ifIXnt18rocblas_is_complexIT_EEiE4typeELi0EEEvT0_S7_T1_lS7_l.uses_vcc, 0
	.set _ZN9rocsolver6v33100L13conj_in_placeIfiPfTnNSt9enable_ifIXnt18rocblas_is_complexIT_EEiE4typeELi0EEEvT0_S7_T1_lS7_l.uses_flat_scratch, 0
	.set _ZN9rocsolver6v33100L13conj_in_placeIfiPfTnNSt9enable_ifIXnt18rocblas_is_complexIT_EEiE4typeELi0EEEvT0_S7_T1_lS7_l.has_dyn_sized_stack, 0
	.set _ZN9rocsolver6v33100L13conj_in_placeIfiPfTnNSt9enable_ifIXnt18rocblas_is_complexIT_EEiE4typeELi0EEEvT0_S7_T1_lS7_l.has_recursion, 0
	.set _ZN9rocsolver6v33100L13conj_in_placeIfiPfTnNSt9enable_ifIXnt18rocblas_is_complexIT_EEiE4typeELi0EEEvT0_S7_T1_lS7_l.has_indirect_call, 0
	.section	.AMDGPU.csdata,"",@progbits
; Kernel info:
; codeLenInByte = 4
; TotalNumSgprs: 4
; NumVgprs: 0
; ScratchSize: 0
; MemoryBound: 0
; FloatMode: 240
; IeeeMode: 1
; LDSByteSize: 0 bytes/workgroup (compile time only)
; SGPRBlocks: 0
; VGPRBlocks: 0
; NumSGPRsForWavesPerEU: 4
; NumVGPRsForWavesPerEU: 1
; Occupancy: 10
; WaveLimiterHint : 0
; COMPUTE_PGM_RSRC2:SCRATCH_EN: 0
; COMPUTE_PGM_RSRC2:USER_SGPR: 6
; COMPUTE_PGM_RSRC2:TRAP_HANDLER: 0
; COMPUTE_PGM_RSRC2:TGID_X_EN: 1
; COMPUTE_PGM_RSRC2:TGID_Y_EN: 0
; COMPUTE_PGM_RSRC2:TGID_Z_EN: 0
; COMPUTE_PGM_RSRC2:TIDIG_COMP_CNT: 0
	.section	.text._ZN9rocsolver6v33100L16larf_left_kernelILi1024EfiPfEEvT1_S3_T2_lS3_lPKT0_lS4_lS3_l,"axG",@progbits,_ZN9rocsolver6v33100L16larf_left_kernelILi1024EfiPfEEvT1_S3_T2_lS3_lPKT0_lS4_lS3_l,comdat
	.globl	_ZN9rocsolver6v33100L16larf_left_kernelILi1024EfiPfEEvT1_S3_T2_lS3_lPKT0_lS4_lS3_l ; -- Begin function _ZN9rocsolver6v33100L16larf_left_kernelILi1024EfiPfEEvT1_S3_T2_lS3_lPKT0_lS4_lS3_l
	.p2align	8
	.type	_ZN9rocsolver6v33100L16larf_left_kernelILi1024EfiPfEEvT1_S3_T2_lS3_lPKT0_lS4_lS3_l,@function
_ZN9rocsolver6v33100L16larf_left_kernelILi1024EfiPfEEvT1_S3_T2_lS3_lPKT0_lS4_lS3_l: ; @_ZN9rocsolver6v33100L16larf_left_kernelILi1024EfiPfEEvT1_S3_T2_lS3_lPKT0_lS4_lS3_l
; %bb.0:
	s_load_dword s9, s[4:5], 0x0
	s_load_dwordx8 s[12:19], s[4:5], 0x20
	s_load_dwordx2 s[2:3], s[4:5], 0x40
	s_load_dword s20, s[4:5], 0x48
	s_load_dwordx2 s[10:11], s[4:5], 0x50
	s_ashr_i32 s25, s8, 31
	s_waitcnt lgkmcnt(0)
	v_cmp_gt_i32_e64 s[0:1], s9, v0
	v_mov_b32_e32 v5, 0
	v_lshlrev_b32_e32 v3, 2, v0
	s_mul_i32 s22, s10, s25
	s_mul_hi_u32 s23, s10, s8
	s_mul_i32 s24, s11, s8
	s_mul_i32 s6, s10, s8
	s_mul_hi_i32 s11, s7, s20
	s_mul_i32 s10, s7, s20
	s_and_saveexec_b64 s[20:21], s[0:1]
	s_cbranch_execz .LBB27_6
; %bb.1:
	s_load_dword s26, s[4:5], 0x18
	s_load_dwordx4 s[28:31], s[4:5], 0x8
	s_sub_i32 s7, 1, s9
	s_mul_i32 s33, s12, s25
	s_mul_i32 s13, s13, s8
	s_waitcnt lgkmcnt(0)
	s_ashr_i32 s27, s26, 31
	v_cmp_lt_i64_e64 s[4:5], s[26:27], 1
	s_mul_i32 s7, s26, s7
	s_and_b64 s[4:5], s[4:5], exec
	s_cselect_b32 s4, s7, 0
	s_mul_hi_u32 s7, s12, s8
	s_add_i32 s7, s7, s33
	s_ashr_i32 s5, s4, 31
	s_add_i32 s13, s7, s13
	s_mul_i32 s12, s12, s8
	s_lshl_b64 s[12:13], s[12:13], 2
	s_lshl_b64 s[30:31], s[30:31], 2
	;; [unrolled: 1-line block ×3, first 2 shown]
	v_mad_i64_i32 v[1:2], s[34:35], s26, v0, 0
	s_add_u32 s4, s28, s4
	s_addc_u32 s5, s29, s5
	s_add_u32 s4, s4, s30
	s_addc_u32 s5, s5, s31
	v_lshlrev_b64 v[1:2], 2, v[1:2]
	s_add_u32 s4, s4, s12
	s_addc_u32 s5, s5, s13
	v_add3_u32 v4, v3, 0, 64
	v_mov_b32_e32 v5, s5
	v_add_co_u32_e32 v1, vcc, s4, v1
	s_lshl_b64 s[12:13], s[26:27], 12
	v_addc_co_u32_e32 v2, vcc, v5, v2, vcc
	s_mov_b64 s[4:5], 0
	v_mov_b32_e32 v5, s13
	v_mov_b32_e32 v6, v4
	;; [unrolled: 1-line block ×3, first 2 shown]
.LBB27_2:                               ; =>This Inner Loop Header: Depth=1
	global_load_dword v8, v[1:2], off
	v_add_co_u32_e32 v1, vcc, s12, v1
	v_add_u32_e32 v7, 0x400, v7
	v_addc_co_u32_e32 v2, vcc, v2, v5, vcc
	v_cmp_le_i32_e32 vcc, s9, v7
	s_or_b64 s[4:5], vcc, s[4:5]
	s_waitcnt vmcnt(0)
	ds_write_b32 v6, v8
	v_add_u32_e32 v6, 0x1000, v6
	s_andn2_b64 exec, exec, s[4:5]
	s_cbranch_execnz .LBB27_2
; %bb.3:
	s_or_b64 exec, exec, s[4:5]
	s_add_i32 s4, s23, s22
	s_add_i32 s7, s4, s24
	s_lshl_b64 s[4:5], s[6:7], 2
	s_lshl_b64 s[12:13], s[10:11], 2
	s_add_u32 s7, s4, s12
	s_addc_u32 s12, s5, s13
	s_lshl_b64 s[4:5], s[2:3], 2
	s_add_u32 s4, s7, s4
	s_addc_u32 s5, s12, s5
	s_add_u32 s4, s18, s4
	v_lshlrev_b32_e32 v1, 2, v0
	s_addc_u32 s5, s19, s5
	v_mov_b32_e32 v2, s5
	v_add_co_u32_e32 v1, vcc, s4, v1
	v_mov_b32_e32 v5, 0
	v_addc_co_u32_e32 v2, vcc, 0, v2, vcc
	s_mov_b64 s[4:5], 0
	v_mov_b32_e32 v6, v0
.LBB27_4:                               ; =>This Inner Loop Header: Depth=1
	global_load_dword v7, v[1:2], off
	ds_read_b32 v8, v4
	v_add_co_u32_e32 v1, vcc, 0x1000, v1
	v_add_u32_e32 v6, 0x400, v6
	v_addc_co_u32_e32 v2, vcc, 0, v2, vcc
	v_cmp_le_i32_e32 vcc, s9, v6
	v_add_u32_e32 v4, 0x1000, v4
	s_or_b64 s[4:5], vcc, s[4:5]
	s_waitcnt vmcnt(0) lgkmcnt(0)
	v_fmac_f32_e32 v5, v7, v8
	s_andn2_b64 exec, exec, s[4:5]
	s_cbranch_execnz .LBB27_4
; %bb.5:
	s_or_b64 exec, exec, s[4:5]
.LBB27_6:
	s_or_b64 exec, exec, s[20:21]
	v_mbcnt_lo_u32_b32 v1, -1, 0
	v_mbcnt_hi_u32_b32 v1, -1, v1
	v_and_b32_e32 v2, 63, v1
	v_cmp_ne_u32_e32 vcc, 63, v2
	v_addc_co_u32_e32 v4, vcc, 0, v1, vcc
	v_lshlrev_b32_e32 v4, 2, v4
	ds_bpermute_b32 v4, v4, v5
	v_cmp_gt_u32_e32 vcc, 62, v2
	v_cndmask_b32_e64 v6, 0, 2, vcc
	v_cmp_gt_u32_e32 vcc, 60, v2
	s_waitcnt lgkmcnt(0)
	v_add_f32_e32 v4, v5, v4
	v_add_lshl_u32 v5, v6, v1, 2
	ds_bpermute_b32 v5, v5, v4
	v_cndmask_b32_e64 v6, 0, 4, vcc
	v_add_lshl_u32 v6, v6, v1, 2
	v_cmp_gt_u32_e32 vcc, 56, v2
	s_waitcnt lgkmcnt(0)
	v_add_f32_e32 v4, v4, v5
	ds_bpermute_b32 v5, v6, v4
	v_cndmask_b32_e64 v6, 0, 8, vcc
	v_add_lshl_u32 v6, v6, v1, 2
	v_cmp_gt_u32_e32 vcc, 48, v2
	v_cndmask_b32_e64 v2, 0, 16, vcc
	s_waitcnt lgkmcnt(0)
	v_add_f32_e32 v4, v4, v5
	ds_bpermute_b32 v5, v6, v4
	v_add_lshl_u32 v2, v2, v1, 2
	s_waitcnt lgkmcnt(0)
	v_add_f32_e32 v4, v4, v5
	ds_bpermute_b32 v2, v2, v4
	v_mov_b32_e32 v5, 0x80
	v_lshl_or_b32 v1, v1, 2, v5
	s_waitcnt lgkmcnt(0)
	v_add_f32_e32 v2, v4, v2
	ds_bpermute_b32 v1, v1, v2
	v_and_b32_e32 v4, 63, v0
	v_cmp_eq_u32_e32 vcc, 0, v4
	s_waitcnt lgkmcnt(0)
	v_add_f32_e32 v1, v2, v1
	s_and_saveexec_b64 s[4:5], vcc
; %bb.7:
	v_lshrrev_b32_e32 v2, 4, v0
	v_add_u32_e32 v2, 0, v2
	ds_write_b32 v2, v1
; %bb.8:
	s_or_b64 exec, exec, s[4:5]
	v_cmp_eq_u32_e32 vcc, 0, v0
	s_waitcnt lgkmcnt(0)
	s_barrier
	s_and_saveexec_b64 s[4:5], vcc
	s_cbranch_execz .LBB27_10
; %bb.9:
	v_mov_b32_e32 v14, 0
	ds_read2_b32 v[4:5], v14 offset0:1 offset1:2
	ds_read2_b32 v[6:7], v14 offset0:3 offset1:4
	;; [unrolled: 1-line block ×5, first 2 shown]
	s_waitcnt lgkmcnt(4)
	v_add_f32_e32 v1, v1, v4
	v_add_f32_e32 v1, v1, v5
	s_waitcnt lgkmcnt(3)
	v_add_f32_e32 v1, v1, v6
	v_add_f32_e32 v1, v1, v7
	;; [unrolled: 3-line block ×4, first 2 shown]
	ds_read2_b32 v[1:2], v14 offset0:11 offset1:12
	ds_read2_b32 v[4:5], v14 offset0:13 offset1:14
	ds_read_b32 v7, v14 offset:60
	s_waitcnt lgkmcnt(3)
	v_add_f32_e32 v6, v6, v12
	v_add_f32_e32 v6, v6, v13
	s_waitcnt lgkmcnt(2)
	v_add_f32_e32 v1, v6, v1
	v_add_f32_e32 v1, v1, v2
	;; [unrolled: 3-line block ×3, first 2 shown]
	s_waitcnt lgkmcnt(0)
	v_add_f32_e32 v1, v1, v7
	ds_write_b32 v14, v1
.LBB27_10:
	s_or_b64 exec, exec, s[4:5]
	s_waitcnt lgkmcnt(0)
	s_barrier
	s_and_saveexec_b64 s[4:5], s[0:1]
	s_cbranch_execz .LBB27_13
; %bb.11:
	s_mul_i32 s0, s16, s25
	s_mul_hi_u32 s1, s16, s8
	s_add_i32 s0, s1, s0
	s_mul_i32 s1, s17, s8
	s_add_i32 s1, s0, s1
	s_mul_i32 s0, s16, s8
	s_lshl_b64 s[0:1], s[0:1], 2
	s_add_u32 s0, s14, s0
	s_addc_u32 s1, s15, s1
	v_mov_b32_e32 v1, 0
	s_load_dword s0, s[0:1], 0x0
	ds_read_b32 v1, v1
	s_lshl_b64 s[4:5], s[10:11], 2
	v_add3_u32 v5, v3, 0, 64
	s_waitcnt lgkmcnt(0)
	v_mul_f32_e64 v4, v1, -s0
	s_add_i32 s0, s23, s22
	s_add_i32 s7, s0, s24
	s_lshl_b64 s[0:1], s[6:7], 2
	s_add_u32 s4, s0, s4
	s_addc_u32 s5, s1, s5
	s_lshl_b64 s[0:1], s[2:3], 2
	s_add_u32 s0, s4, s0
	s_addc_u32 s1, s5, s1
	s_add_u32 s0, s18, s0
	s_addc_u32 s1, s19, s1
	v_mov_b32_e32 v2, s1
	v_add_co_u32_e32 v1, vcc, s0, v3
	v_addc_co_u32_e32 v2, vcc, 0, v2, vcc
	s_mov_b64 s[0:1], 0
.LBB27_12:                              ; =>This Inner Loop Header: Depth=1
	global_load_dword v3, v[1:2], off
	ds_read_b32 v6, v5
	v_add_u32_e32 v0, 0x400, v0
	v_cmp_le_i32_e32 vcc, s9, v0
	s_or_b64 s[0:1], vcc, s[0:1]
	v_add_u32_e32 v5, 0x1000, v5
	s_waitcnt vmcnt(0) lgkmcnt(0)
	v_fmac_f32_e32 v3, v4, v6
	global_store_dword v[1:2], v3, off
	v_add_co_u32_e32 v1, vcc, 0x1000, v1
	v_addc_co_u32_e32 v2, vcc, 0, v2, vcc
	s_andn2_b64 exec, exec, s[0:1]
	s_cbranch_execnz .LBB27_12
.LBB27_13:
	s_endpgm
	.section	.rodata,"a",@progbits
	.p2align	6, 0x0
	.amdhsa_kernel _ZN9rocsolver6v33100L16larf_left_kernelILi1024EfiPfEEvT1_S3_T2_lS3_lPKT0_lS4_lS3_l
		.amdhsa_group_segment_fixed_size 0
		.amdhsa_private_segment_fixed_size 0
		.amdhsa_kernarg_size 88
		.amdhsa_user_sgpr_count 6
		.amdhsa_user_sgpr_private_segment_buffer 1
		.amdhsa_user_sgpr_dispatch_ptr 0
		.amdhsa_user_sgpr_queue_ptr 0
		.amdhsa_user_sgpr_kernarg_segment_ptr 1
		.amdhsa_user_sgpr_dispatch_id 0
		.amdhsa_user_sgpr_flat_scratch_init 0
		.amdhsa_user_sgpr_private_segment_size 0
		.amdhsa_uses_dynamic_stack 0
		.amdhsa_system_sgpr_private_segment_wavefront_offset 0
		.amdhsa_system_sgpr_workgroup_id_x 1
		.amdhsa_system_sgpr_workgroup_id_y 1
		.amdhsa_system_sgpr_workgroup_id_z 1
		.amdhsa_system_sgpr_workgroup_info 0
		.amdhsa_system_vgpr_workitem_id 0
		.amdhsa_next_free_vgpr 15
		.amdhsa_next_free_sgpr 36
		.amdhsa_reserve_vcc 1
		.amdhsa_reserve_flat_scratch 0
		.amdhsa_float_round_mode_32 0
		.amdhsa_float_round_mode_16_64 0
		.amdhsa_float_denorm_mode_32 3
		.amdhsa_float_denorm_mode_16_64 3
		.amdhsa_dx10_clamp 1
		.amdhsa_ieee_mode 1
		.amdhsa_fp16_overflow 0
		.amdhsa_exception_fp_ieee_invalid_op 0
		.amdhsa_exception_fp_denorm_src 0
		.amdhsa_exception_fp_ieee_div_zero 0
		.amdhsa_exception_fp_ieee_overflow 0
		.amdhsa_exception_fp_ieee_underflow 0
		.amdhsa_exception_fp_ieee_inexact 0
		.amdhsa_exception_int_div_zero 0
	.end_amdhsa_kernel
	.section	.text._ZN9rocsolver6v33100L16larf_left_kernelILi1024EfiPfEEvT1_S3_T2_lS3_lPKT0_lS4_lS3_l,"axG",@progbits,_ZN9rocsolver6v33100L16larf_left_kernelILi1024EfiPfEEvT1_S3_T2_lS3_lPKT0_lS4_lS3_l,comdat
.Lfunc_end27:
	.size	_ZN9rocsolver6v33100L16larf_left_kernelILi1024EfiPfEEvT1_S3_T2_lS3_lPKT0_lS4_lS3_l, .Lfunc_end27-_ZN9rocsolver6v33100L16larf_left_kernelILi1024EfiPfEEvT1_S3_T2_lS3_lPKT0_lS4_lS3_l
                                        ; -- End function
	.set _ZN9rocsolver6v33100L16larf_left_kernelILi1024EfiPfEEvT1_S3_T2_lS3_lPKT0_lS4_lS3_l.num_vgpr, 15
	.set _ZN9rocsolver6v33100L16larf_left_kernelILi1024EfiPfEEvT1_S3_T2_lS3_lPKT0_lS4_lS3_l.num_agpr, 0
	.set _ZN9rocsolver6v33100L16larf_left_kernelILi1024EfiPfEEvT1_S3_T2_lS3_lPKT0_lS4_lS3_l.numbered_sgpr, 36
	.set _ZN9rocsolver6v33100L16larf_left_kernelILi1024EfiPfEEvT1_S3_T2_lS3_lPKT0_lS4_lS3_l.num_named_barrier, 0
	.set _ZN9rocsolver6v33100L16larf_left_kernelILi1024EfiPfEEvT1_S3_T2_lS3_lPKT0_lS4_lS3_l.private_seg_size, 0
	.set _ZN9rocsolver6v33100L16larf_left_kernelILi1024EfiPfEEvT1_S3_T2_lS3_lPKT0_lS4_lS3_l.uses_vcc, 1
	.set _ZN9rocsolver6v33100L16larf_left_kernelILi1024EfiPfEEvT1_S3_T2_lS3_lPKT0_lS4_lS3_l.uses_flat_scratch, 0
	.set _ZN9rocsolver6v33100L16larf_left_kernelILi1024EfiPfEEvT1_S3_T2_lS3_lPKT0_lS4_lS3_l.has_dyn_sized_stack, 0
	.set _ZN9rocsolver6v33100L16larf_left_kernelILi1024EfiPfEEvT1_S3_T2_lS3_lPKT0_lS4_lS3_l.has_recursion, 0
	.set _ZN9rocsolver6v33100L16larf_left_kernelILi1024EfiPfEEvT1_S3_T2_lS3_lPKT0_lS4_lS3_l.has_indirect_call, 0
	.section	.AMDGPU.csdata,"",@progbits
; Kernel info:
; codeLenInByte = 1156
; TotalNumSgprs: 40
; NumVgprs: 15
; ScratchSize: 0
; MemoryBound: 0
; FloatMode: 240
; IeeeMode: 1
; LDSByteSize: 0 bytes/workgroup (compile time only)
; SGPRBlocks: 4
; VGPRBlocks: 3
; NumSGPRsForWavesPerEU: 40
; NumVGPRsForWavesPerEU: 15
; Occupancy: 10
; WaveLimiterHint : 0
; COMPUTE_PGM_RSRC2:SCRATCH_EN: 0
; COMPUTE_PGM_RSRC2:USER_SGPR: 6
; COMPUTE_PGM_RSRC2:TRAP_HANDLER: 0
; COMPUTE_PGM_RSRC2:TGID_X_EN: 1
; COMPUTE_PGM_RSRC2:TGID_Y_EN: 1
; COMPUTE_PGM_RSRC2:TGID_Z_EN: 1
; COMPUTE_PGM_RSRC2:TIDIG_COMP_CNT: 0
	.section	.text._ZN9rocsolver6v33100L17larf_right_kernelILi1024EfiPfEEvT1_S3_T2_lS3_lPKT0_lS4_lS3_l,"axG",@progbits,_ZN9rocsolver6v33100L17larf_right_kernelILi1024EfiPfEEvT1_S3_T2_lS3_lPKT0_lS4_lS3_l,comdat
	.globl	_ZN9rocsolver6v33100L17larf_right_kernelILi1024EfiPfEEvT1_S3_T2_lS3_lPKT0_lS4_lS3_l ; -- Begin function _ZN9rocsolver6v33100L17larf_right_kernelILi1024EfiPfEEvT1_S3_T2_lS3_lPKT0_lS4_lS3_l
	.p2align	8
	.type	_ZN9rocsolver6v33100L17larf_right_kernelILi1024EfiPfEEvT1_S3_T2_lS3_lPKT0_lS4_lS3_l,@function
_ZN9rocsolver6v33100L17larf_right_kernelILi1024EfiPfEEvT1_S3_T2_lS3_lPKT0_lS4_lS3_l: ; @_ZN9rocsolver6v33100L17larf_right_kernelILi1024EfiPfEEvT1_S3_T2_lS3_lPKT0_lS4_lS3_l
; %bb.0:
	s_load_dword s9, s[4:5], 0x4
	s_load_dwordx8 s[12:19], s[4:5], 0x20
	s_load_dwordx2 s[10:11], s[4:5], 0x40
	s_load_dword s2, s[4:5], 0x48
	s_load_dwordx2 s[0:1], s[4:5], 0x50
	s_ashr_i32 s27, s8, 31
	s_mov_b32 s6, s7
	s_ashr_i32 s7, s7, 31
	s_waitcnt lgkmcnt(0)
	v_cmp_gt_i32_e32 vcc, s9, v0
	v_mov_b32_e32 v5, 0
	v_lshlrev_b32_e32 v3, 2, v0
	s_mul_i32 s24, s0, s27
	s_mul_hi_u32 s25, s0, s8
	s_mul_i32 s26, s1, s8
	s_mul_i32 s20, s0, s8
	s_and_saveexec_b64 s[22:23], vcc
	s_cbranch_execz .LBB28_6
; %bb.1:
	s_load_dword s34, s[4:5], 0x18
	s_load_dwordx4 s[28:31], s[4:5], 0x8
	s_sub_i32 s3, 1, s9
	s_mul_i32 s4, s12, s27
	s_mul_i32 s13, s13, s8
	s_waitcnt lgkmcnt(0)
	s_ashr_i32 s35, s34, 31
	v_cmp_lt_i64_e64 s[0:1], s[34:35], 1
	s_mul_i32 s3, s34, s3
	s_and_b64 s[0:1], s[0:1], exec
	s_cselect_b32 s0, s3, 0
	s_mul_hi_u32 s3, s12, s8
	s_add_i32 s3, s3, s4
	v_mad_i64_i32 v[1:2], s[4:5], s34, v0, 0
	s_ashr_i32 s1, s0, 31
	s_add_i32 s5, s3, s13
	s_mul_i32 s4, s12, s8
	s_lshl_b64 s[4:5], s[4:5], 2
	s_lshl_b64 s[12:13], s[30:31], 2
	;; [unrolled: 1-line block ×3, first 2 shown]
	s_add_u32 s0, s28, s0
	s_addc_u32 s1, s29, s1
	s_add_u32 s0, s0, s12
	s_addc_u32 s1, s1, s13
	v_lshlrev_b64 v[1:2], 2, v[1:2]
	s_add_u32 s0, s0, s4
	s_addc_u32 s1, s1, s5
	v_add3_u32 v4, v3, 0, 64
	v_mov_b32_e32 v5, s1
	v_add_co_u32_e64 v1, s[0:1], s0, v1
	s_lshl_b64 s[12:13], s[34:35], 12
	v_addc_co_u32_e64 v2, s[0:1], v5, v2, s[0:1]
	s_mov_b64 s[4:5], 0
	v_mov_b32_e32 v5, s13
	v_mov_b32_e32 v6, v4
	;; [unrolled: 1-line block ×3, first 2 shown]
.LBB28_2:                               ; =>This Inner Loop Header: Depth=1
	global_load_dword v8, v[1:2], off
	v_add_co_u32_e64 v1, s[0:1], s12, v1
	v_add_u32_e32 v7, 0x400, v7
	v_addc_co_u32_e64 v2, s[0:1], v2, v5, s[0:1]
	v_cmp_le_i32_e64 s[0:1], s9, v7
	s_or_b64 s[4:5], s[0:1], s[4:5]
	s_waitcnt vmcnt(0)
	ds_write_b32 v6, v8
	v_add_u32_e32 v6, 0x1000, v6
	s_andn2_b64 exec, exec, s[4:5]
	s_cbranch_execnz .LBB28_2
; %bb.3:
	s_or_b64 exec, exec, s[4:5]
	v_mad_i64_i32 v[1:2], s[0:1], s2, v0, 0
	s_add_i32 s0, s25, s24
	s_add_i32 s21, s0, s26
	s_ashr_i32 s3, s2, 31
	s_lshl_b64 s[0:1], s[20:21], 2
	s_lshl_b64 s[4:5], s[10:11], 2
	;; [unrolled: 1-line block ×3, first 2 shown]
	s_add_u32 s12, s18, s12
	s_addc_u32 s13, s19, s13
	s_add_u32 s4, s12, s4
	s_addc_u32 s5, s13, s5
	v_lshlrev_b64 v[1:2], 2, v[1:2]
	s_add_u32 s0, s4, s0
	s_addc_u32 s1, s5, s1
	v_mov_b32_e32 v5, s1
	v_add_co_u32_e64 v1, s[0:1], s0, v1
	s_lshl_b64 s[4:5], s[2:3], 12
	v_addc_co_u32_e64 v2, s[0:1], v5, v2, s[0:1]
	v_mov_b32_e32 v5, 0
	s_mov_b64 s[12:13], 0
	v_mov_b32_e32 v6, s5
	v_mov_b32_e32 v7, v0
.LBB28_4:                               ; =>This Inner Loop Header: Depth=1
	global_load_dword v8, v[1:2], off
	ds_read_b32 v9, v4
	v_add_co_u32_e64 v1, s[0:1], s4, v1
	v_add_u32_e32 v7, 0x400, v7
	v_addc_co_u32_e64 v2, s[0:1], v2, v6, s[0:1]
	v_cmp_le_i32_e64 s[0:1], s9, v7
	v_add_u32_e32 v4, 0x1000, v4
	s_or_b64 s[12:13], s[0:1], s[12:13]
	s_waitcnt vmcnt(0) lgkmcnt(0)
	v_fmac_f32_e32 v5, v8, v9
	s_andn2_b64 exec, exec, s[12:13]
	s_cbranch_execnz .LBB28_4
; %bb.5:
	s_or_b64 exec, exec, s[12:13]
.LBB28_6:
	s_or_b64 exec, exec, s[22:23]
	v_mbcnt_lo_u32_b32 v1, -1, 0
	v_mbcnt_hi_u32_b32 v1, -1, v1
	v_and_b32_e32 v2, 63, v1
	v_cmp_ne_u32_e64 s[0:1], 63, v2
	v_addc_co_u32_e64 v4, s[0:1], 0, v1, s[0:1]
	v_lshlrev_b32_e32 v4, 2, v4
	ds_bpermute_b32 v4, v4, v5
	v_cmp_gt_u32_e64 s[0:1], 62, v2
	v_cndmask_b32_e64 v6, 0, 2, s[0:1]
	v_cmp_gt_u32_e64 s[0:1], 60, v2
	s_waitcnt lgkmcnt(0)
	v_add_f32_e32 v4, v5, v4
	v_add_lshl_u32 v5, v6, v1, 2
	ds_bpermute_b32 v5, v5, v4
	v_cndmask_b32_e64 v6, 0, 4, s[0:1]
	v_add_lshl_u32 v6, v6, v1, 2
	v_cmp_gt_u32_e64 s[0:1], 56, v2
	s_waitcnt lgkmcnt(0)
	v_add_f32_e32 v4, v4, v5
	ds_bpermute_b32 v5, v6, v4
	v_cndmask_b32_e64 v6, 0, 8, s[0:1]
	v_add_lshl_u32 v6, v6, v1, 2
	v_cmp_gt_u32_e64 s[0:1], 48, v2
	v_cndmask_b32_e64 v2, 0, 16, s[0:1]
	s_waitcnt lgkmcnt(0)
	v_add_f32_e32 v4, v4, v5
	ds_bpermute_b32 v5, v6, v4
	v_add_lshl_u32 v2, v2, v1, 2
	s_waitcnt lgkmcnt(0)
	v_add_f32_e32 v4, v4, v5
	ds_bpermute_b32 v2, v2, v4
	v_mov_b32_e32 v5, 0x80
	v_lshl_or_b32 v1, v1, 2, v5
	s_waitcnt lgkmcnt(0)
	v_add_f32_e32 v2, v4, v2
	ds_bpermute_b32 v1, v1, v2
	v_and_b32_e32 v4, 63, v0
	v_cmp_eq_u32_e64 s[0:1], 0, v4
	s_waitcnt lgkmcnt(0)
	v_add_f32_e32 v1, v2, v1
	s_and_saveexec_b64 s[4:5], s[0:1]
; %bb.7:
	v_lshrrev_b32_e32 v2, 4, v0
	v_add_u32_e32 v2, 0, v2
	ds_write_b32 v2, v1
; %bb.8:
	s_or_b64 exec, exec, s[4:5]
	v_cmp_eq_u32_e64 s[0:1], 0, v0
	s_waitcnt lgkmcnt(0)
	s_barrier
	s_and_saveexec_b64 s[4:5], s[0:1]
	s_cbranch_execz .LBB28_10
; %bb.9:
	v_mov_b32_e32 v14, 0
	ds_read2_b32 v[4:5], v14 offset0:1 offset1:2
	ds_read2_b32 v[6:7], v14 offset0:3 offset1:4
	;; [unrolled: 1-line block ×5, first 2 shown]
	s_waitcnt lgkmcnt(4)
	v_add_f32_e32 v1, v1, v4
	v_add_f32_e32 v1, v1, v5
	s_waitcnt lgkmcnt(3)
	v_add_f32_e32 v1, v1, v6
	v_add_f32_e32 v1, v1, v7
	s_waitcnt lgkmcnt(2)
	v_add_f32_e32 v1, v1, v8
	v_add_f32_e32 v1, v1, v9
	s_waitcnt lgkmcnt(1)
	v_add_f32_e32 v1, v1, v10
	v_add_f32_e32 v6, v1, v11
	ds_read2_b32 v[1:2], v14 offset0:11 offset1:12
	ds_read2_b32 v[4:5], v14 offset0:13 offset1:14
	ds_read_b32 v7, v14 offset:60
	s_waitcnt lgkmcnt(3)
	v_add_f32_e32 v6, v6, v12
	v_add_f32_e32 v6, v6, v13
	s_waitcnt lgkmcnt(2)
	v_add_f32_e32 v1, v6, v1
	v_add_f32_e32 v1, v1, v2
	;; [unrolled: 3-line block ×3, first 2 shown]
	s_waitcnt lgkmcnt(0)
	v_add_f32_e32 v1, v1, v7
	ds_write_b32 v14, v1
.LBB28_10:
	s_or_b64 exec, exec, s[4:5]
	s_waitcnt lgkmcnt(0)
	s_barrier
	s_and_saveexec_b64 s[0:1], vcc
	s_cbranch_execz .LBB28_13
; %bb.11:
	s_mul_i32 s0, s16, s27
	s_mul_hi_u32 s1, s16, s8
	s_add_i32 s0, s1, s0
	s_mul_i32 s1, s17, s8
	s_add_i32 s1, s0, s1
	s_mul_i32 s0, s16, s8
	s_lshl_b64 s[0:1], s[0:1], 2
	s_add_u32 s0, s14, s0
	s_addc_u32 s1, s15, s1
	v_mov_b32_e32 v1, 0
	s_load_dword s0, s[0:1], 0x0
	ds_read_b32 v1, v1
	s_ashr_i32 s3, s2, 31
	s_lshl_b64 s[4:5], s[10:11], 2
	s_lshl_b64 s[6:7], s[6:7], 2
	v_add3_u32 v3, v3, 0, 64
	s_waitcnt lgkmcnt(0)
	v_mul_f32_e64 v4, v1, -s0
	v_mad_i64_i32 v[1:2], s[0:1], s2, v0, 0
	s_add_i32 s0, s25, s24
	s_add_i32 s21, s0, s26
	s_lshl_b64 s[0:1], s[20:21], 2
	s_add_u32 s6, s18, s6
	s_addc_u32 s7, s19, s7
	s_add_u32 s4, s6, s4
	s_addc_u32 s5, s7, s5
	v_lshlrev_b64 v[1:2], 2, v[1:2]
	s_add_u32 s0, s4, s0
	s_addc_u32 s1, s5, s1
	v_mov_b32_e32 v5, s1
	v_add_co_u32_e32 v1, vcc, s0, v1
	s_lshl_b64 s[0:1], s[2:3], 12
	v_addc_co_u32_e32 v2, vcc, v5, v2, vcc
	s_mov_b64 s[2:3], 0
	v_mov_b32_e32 v5, s1
.LBB28_12:                              ; =>This Inner Loop Header: Depth=1
	global_load_dword v6, v[1:2], off
	ds_read_b32 v7, v3
	v_add_u32_e32 v0, 0x400, v0
	v_cmp_le_i32_e32 vcc, s9, v0
	s_or_b64 s[2:3], vcc, s[2:3]
	v_add_u32_e32 v3, 0x1000, v3
	s_waitcnt vmcnt(0) lgkmcnt(0)
	v_fmac_f32_e32 v6, v4, v7
	global_store_dword v[1:2], v6, off
	v_add_co_u32_e32 v1, vcc, s0, v1
	v_addc_co_u32_e32 v2, vcc, v2, v5, vcc
	s_andn2_b64 exec, exec, s[2:3]
	s_cbranch_execnz .LBB28_12
.LBB28_13:
	s_endpgm
	.section	.rodata,"a",@progbits
	.p2align	6, 0x0
	.amdhsa_kernel _ZN9rocsolver6v33100L17larf_right_kernelILi1024EfiPfEEvT1_S3_T2_lS3_lPKT0_lS4_lS3_l
		.amdhsa_group_segment_fixed_size 0
		.amdhsa_private_segment_fixed_size 0
		.amdhsa_kernarg_size 88
		.amdhsa_user_sgpr_count 6
		.amdhsa_user_sgpr_private_segment_buffer 1
		.amdhsa_user_sgpr_dispatch_ptr 0
		.amdhsa_user_sgpr_queue_ptr 0
		.amdhsa_user_sgpr_kernarg_segment_ptr 1
		.amdhsa_user_sgpr_dispatch_id 0
		.amdhsa_user_sgpr_flat_scratch_init 0
		.amdhsa_user_sgpr_private_segment_size 0
		.amdhsa_uses_dynamic_stack 0
		.amdhsa_system_sgpr_private_segment_wavefront_offset 0
		.amdhsa_system_sgpr_workgroup_id_x 1
		.amdhsa_system_sgpr_workgroup_id_y 1
		.amdhsa_system_sgpr_workgroup_id_z 1
		.amdhsa_system_sgpr_workgroup_info 0
		.amdhsa_system_vgpr_workitem_id 0
		.amdhsa_next_free_vgpr 15
		.amdhsa_next_free_sgpr 36
		.amdhsa_reserve_vcc 1
		.amdhsa_reserve_flat_scratch 0
		.amdhsa_float_round_mode_32 0
		.amdhsa_float_round_mode_16_64 0
		.amdhsa_float_denorm_mode_32 3
		.amdhsa_float_denorm_mode_16_64 3
		.amdhsa_dx10_clamp 1
		.amdhsa_ieee_mode 1
		.amdhsa_fp16_overflow 0
		.amdhsa_exception_fp_ieee_invalid_op 0
		.amdhsa_exception_fp_denorm_src 0
		.amdhsa_exception_fp_ieee_div_zero 0
		.amdhsa_exception_fp_ieee_overflow 0
		.amdhsa_exception_fp_ieee_underflow 0
		.amdhsa_exception_fp_ieee_inexact 0
		.amdhsa_exception_int_div_zero 0
	.end_amdhsa_kernel
	.section	.text._ZN9rocsolver6v33100L17larf_right_kernelILi1024EfiPfEEvT1_S3_T2_lS3_lPKT0_lS4_lS3_l,"axG",@progbits,_ZN9rocsolver6v33100L17larf_right_kernelILi1024EfiPfEEvT1_S3_T2_lS3_lPKT0_lS4_lS3_l,comdat
.Lfunc_end28:
	.size	_ZN9rocsolver6v33100L17larf_right_kernelILi1024EfiPfEEvT1_S3_T2_lS3_lPKT0_lS4_lS3_l, .Lfunc_end28-_ZN9rocsolver6v33100L17larf_right_kernelILi1024EfiPfEEvT1_S3_T2_lS3_lPKT0_lS4_lS3_l
                                        ; -- End function
	.set _ZN9rocsolver6v33100L17larf_right_kernelILi1024EfiPfEEvT1_S3_T2_lS3_lPKT0_lS4_lS3_l.num_vgpr, 15
	.set _ZN9rocsolver6v33100L17larf_right_kernelILi1024EfiPfEEvT1_S3_T2_lS3_lPKT0_lS4_lS3_l.num_agpr, 0
	.set _ZN9rocsolver6v33100L17larf_right_kernelILi1024EfiPfEEvT1_S3_T2_lS3_lPKT0_lS4_lS3_l.numbered_sgpr, 36
	.set _ZN9rocsolver6v33100L17larf_right_kernelILi1024EfiPfEEvT1_S3_T2_lS3_lPKT0_lS4_lS3_l.num_named_barrier, 0
	.set _ZN9rocsolver6v33100L17larf_right_kernelILi1024EfiPfEEvT1_S3_T2_lS3_lPKT0_lS4_lS3_l.private_seg_size, 0
	.set _ZN9rocsolver6v33100L17larf_right_kernelILi1024EfiPfEEvT1_S3_T2_lS3_lPKT0_lS4_lS3_l.uses_vcc, 1
	.set _ZN9rocsolver6v33100L17larf_right_kernelILi1024EfiPfEEvT1_S3_T2_lS3_lPKT0_lS4_lS3_l.uses_flat_scratch, 0
	.set _ZN9rocsolver6v33100L17larf_right_kernelILi1024EfiPfEEvT1_S3_T2_lS3_lPKT0_lS4_lS3_l.has_dyn_sized_stack, 0
	.set _ZN9rocsolver6v33100L17larf_right_kernelILi1024EfiPfEEvT1_S3_T2_lS3_lPKT0_lS4_lS3_l.has_recursion, 0
	.set _ZN9rocsolver6v33100L17larf_right_kernelILi1024EfiPfEEvT1_S3_T2_lS3_lPKT0_lS4_lS3_l.has_indirect_call, 0
	.section	.AMDGPU.csdata,"",@progbits
; Kernel info:
; codeLenInByte = 1268
; TotalNumSgprs: 40
; NumVgprs: 15
; ScratchSize: 0
; MemoryBound: 0
; FloatMode: 240
; IeeeMode: 1
; LDSByteSize: 0 bytes/workgroup (compile time only)
; SGPRBlocks: 4
; VGPRBlocks: 3
; NumSGPRsForWavesPerEU: 40
; NumVGPRsForWavesPerEU: 15
; Occupancy: 10
; WaveLimiterHint : 0
; COMPUTE_PGM_RSRC2:SCRATCH_EN: 0
; COMPUTE_PGM_RSRC2:USER_SGPR: 6
; COMPUTE_PGM_RSRC2:TRAP_HANDLER: 0
; COMPUTE_PGM_RSRC2:TGID_X_EN: 1
; COMPUTE_PGM_RSRC2:TGID_Y_EN: 1
; COMPUTE_PGM_RSRC2:TGID_Z_EN: 1
; COMPUTE_PGM_RSRC2:TIDIG_COMP_CNT: 0
	.section	.text._ZN9rocsolver6v33100L12restore_diagIfifPfEEvPT1_llT2_lT0_lS6_,"axG",@progbits,_ZN9rocsolver6v33100L12restore_diagIfifPfEEvPT1_llT2_lT0_lS6_,comdat
	.globl	_ZN9rocsolver6v33100L12restore_diagIfifPfEEvPT1_llT2_lT0_lS6_ ; -- Begin function _ZN9rocsolver6v33100L12restore_diagIfifPfEEvPT1_llT2_lT0_lS6_
	.p2align	8
	.type	_ZN9rocsolver6v33100L12restore_diagIfifPfEEvPT1_llT2_lT0_lS6_,@function
_ZN9rocsolver6v33100L12restore_diagIfifPfEEvPT1_llT2_lT0_lS6_: ; @_ZN9rocsolver6v33100L12restore_diagIfifPfEEvPT1_llT2_lT0_lS6_
; %bb.0:
	s_load_dword s0, s[4:5], 0x4c
	s_load_dword s1, s[4:5], 0x38
	s_waitcnt lgkmcnt(0)
	s_lshr_b32 s0, s0, 16
	s_mul_i32 s7, s7, s0
	v_add_u32_e32 v0, s7, v1
	v_cmp_gt_i32_e32 vcc, s1, v0
	s_and_saveexec_b64 s[0:1], vcc
	s_cbranch_execz .LBB29_2
; %bb.1:
	s_load_dwordx2 s[0:1], s[4:5], 0x30
	s_load_dwordx2 s[2:3], s[4:5], 0x20
	s_load_dword s7, s[4:5], 0x28
	s_load_dwordx8 s[8:15], s[4:5], 0x0
	s_ashr_i32 s4, s6, 31
	s_waitcnt lgkmcnt(0)
	s_mul_hi_u32 s5, s0, s6
	s_mul_i32 s16, s0, s4
	s_add_i32 s5, s5, s16
	s_mul_i32 s1, s1, s6
	s_add_i32 s1, s5, s1
	s_mul_i32 s0, s0, s6
	s_lshl_b64 s[0:1], s[0:1], 2
	s_add_u32 s5, s14, s0
	s_addc_u32 s14, s15, s1
	s_lshl_b64 s[0:1], s[2:3], 2
	s_add_u32 s2, s5, s0
	s_addc_u32 s3, s14, s1
	s_mul_hi_u32 s0, s12, s6
	s_mul_i32 s1, s12, s4
	s_add_i32 s0, s0, s1
	s_mul_i32 s1, s13, s6
	s_add_i32 s1, s0, s1
	s_mul_i32 s0, s12, s6
	s_lshl_b64 s[0:1], s[0:1], 2
	s_add_u32 s4, s8, s0
	s_addc_u32 s5, s9, s1
	s_lshl_b64 s[0:1], s[10:11], 2
	s_add_u32 s4, s4, s0
	s_addc_u32 s5, s5, s1
	v_mad_u64_u32 v[2:3], s[0:1], v0, s7, v[0:1]
	v_ashrrev_i32_e32 v1, 31, v0
	v_lshlrev_b64 v[0:1], 2, v[0:1]
	v_mov_b32_e32 v3, s5
	v_add_co_u32_e32 v0, vcc, s4, v0
	v_addc_co_u32_e32 v1, vcc, v3, v1, vcc
	global_load_dword v4, v[0:1], off
	v_ashrrev_i32_e32 v3, 31, v2
	v_lshlrev_b64 v[0:1], 2, v[2:3]
	v_mov_b32_e32 v2, s3
	v_add_co_u32_e32 v0, vcc, s2, v0
	v_addc_co_u32_e32 v1, vcc, v2, v1, vcc
	s_waitcnt vmcnt(0)
	global_store_dword v[0:1], v4, off
.LBB29_2:
	s_endpgm
	.section	.rodata,"a",@progbits
	.p2align	6, 0x0
	.amdhsa_kernel _ZN9rocsolver6v33100L12restore_diagIfifPfEEvPT1_llT2_lT0_lS6_
		.amdhsa_group_segment_fixed_size 0
		.amdhsa_private_segment_fixed_size 0
		.amdhsa_kernarg_size 320
		.amdhsa_user_sgpr_count 6
		.amdhsa_user_sgpr_private_segment_buffer 1
		.amdhsa_user_sgpr_dispatch_ptr 0
		.amdhsa_user_sgpr_queue_ptr 0
		.amdhsa_user_sgpr_kernarg_segment_ptr 1
		.amdhsa_user_sgpr_dispatch_id 0
		.amdhsa_user_sgpr_flat_scratch_init 0
		.amdhsa_user_sgpr_private_segment_size 0
		.amdhsa_uses_dynamic_stack 0
		.amdhsa_system_sgpr_private_segment_wavefront_offset 0
		.amdhsa_system_sgpr_workgroup_id_x 1
		.amdhsa_system_sgpr_workgroup_id_y 1
		.amdhsa_system_sgpr_workgroup_id_z 0
		.amdhsa_system_sgpr_workgroup_info 0
		.amdhsa_system_vgpr_workitem_id 1
		.amdhsa_next_free_vgpr 5
		.amdhsa_next_free_sgpr 17
		.amdhsa_reserve_vcc 1
		.amdhsa_reserve_flat_scratch 0
		.amdhsa_float_round_mode_32 0
		.amdhsa_float_round_mode_16_64 0
		.amdhsa_float_denorm_mode_32 3
		.amdhsa_float_denorm_mode_16_64 3
		.amdhsa_dx10_clamp 1
		.amdhsa_ieee_mode 1
		.amdhsa_fp16_overflow 0
		.amdhsa_exception_fp_ieee_invalid_op 0
		.amdhsa_exception_fp_denorm_src 0
		.amdhsa_exception_fp_ieee_div_zero 0
		.amdhsa_exception_fp_ieee_overflow 0
		.amdhsa_exception_fp_ieee_underflow 0
		.amdhsa_exception_fp_ieee_inexact 0
		.amdhsa_exception_int_div_zero 0
	.end_amdhsa_kernel
	.section	.text._ZN9rocsolver6v33100L12restore_diagIfifPfEEvPT1_llT2_lT0_lS6_,"axG",@progbits,_ZN9rocsolver6v33100L12restore_diagIfifPfEEvPT1_llT2_lT0_lS6_,comdat
.Lfunc_end29:
	.size	_ZN9rocsolver6v33100L12restore_diagIfifPfEEvPT1_llT2_lT0_lS6_, .Lfunc_end29-_ZN9rocsolver6v33100L12restore_diagIfifPfEEvPT1_llT2_lT0_lS6_
                                        ; -- End function
	.set _ZN9rocsolver6v33100L12restore_diagIfifPfEEvPT1_llT2_lT0_lS6_.num_vgpr, 5
	.set _ZN9rocsolver6v33100L12restore_diagIfifPfEEvPT1_llT2_lT0_lS6_.num_agpr, 0
	.set _ZN9rocsolver6v33100L12restore_diagIfifPfEEvPT1_llT2_lT0_lS6_.numbered_sgpr, 17
	.set _ZN9rocsolver6v33100L12restore_diagIfifPfEEvPT1_llT2_lT0_lS6_.num_named_barrier, 0
	.set _ZN9rocsolver6v33100L12restore_diagIfifPfEEvPT1_llT2_lT0_lS6_.private_seg_size, 0
	.set _ZN9rocsolver6v33100L12restore_diagIfifPfEEvPT1_llT2_lT0_lS6_.uses_vcc, 1
	.set _ZN9rocsolver6v33100L12restore_diagIfifPfEEvPT1_llT2_lT0_lS6_.uses_flat_scratch, 0
	.set _ZN9rocsolver6v33100L12restore_diagIfifPfEEvPT1_llT2_lT0_lS6_.has_dyn_sized_stack, 0
	.set _ZN9rocsolver6v33100L12restore_diagIfifPfEEvPT1_llT2_lT0_lS6_.has_recursion, 0
	.set _ZN9rocsolver6v33100L12restore_diagIfifPfEEvPT1_llT2_lT0_lS6_.has_indirect_call, 0
	.section	.AMDGPU.csdata,"",@progbits
; Kernel info:
; codeLenInByte = 260
; TotalNumSgprs: 21
; NumVgprs: 5
; ScratchSize: 0
; MemoryBound: 0
; FloatMode: 240
; IeeeMode: 1
; LDSByteSize: 0 bytes/workgroup (compile time only)
; SGPRBlocks: 2
; VGPRBlocks: 1
; NumSGPRsForWavesPerEU: 21
; NumVGPRsForWavesPerEU: 5
; Occupancy: 10
; WaveLimiterHint : 0
; COMPUTE_PGM_RSRC2:SCRATCH_EN: 0
; COMPUTE_PGM_RSRC2:USER_SGPR: 6
; COMPUTE_PGM_RSRC2:TRAP_HANDLER: 0
; COMPUTE_PGM_RSRC2:TGID_X_EN: 1
; COMPUTE_PGM_RSRC2:TGID_Y_EN: 1
; COMPUTE_PGM_RSRC2:TGID_Z_EN: 0
; COMPUTE_PGM_RSRC2:TIDIG_COMP_CNT: 1
	.section	.text._ZN9rocsolver6v33100L14set_triangularIfPfTnNSt9enable_ifIXnt18rocblas_is_complexIT_EEiE4typeELi0EEEviiT0_iilPS4_lS8_il15rocblas_direct_15rocblas_storev_b,"axG",@progbits,_ZN9rocsolver6v33100L14set_triangularIfPfTnNSt9enable_ifIXnt18rocblas_is_complexIT_EEiE4typeELi0EEEviiT0_iilPS4_lS8_il15rocblas_direct_15rocblas_storev_b,comdat
	.globl	_ZN9rocsolver6v33100L14set_triangularIfPfTnNSt9enable_ifIXnt18rocblas_is_complexIT_EEiE4typeELi0EEEviiT0_iilPS4_lS8_il15rocblas_direct_15rocblas_storev_b ; -- Begin function _ZN9rocsolver6v33100L14set_triangularIfPfTnNSt9enable_ifIXnt18rocblas_is_complexIT_EEiE4typeELi0EEEviiT0_iilPS4_lS8_il15rocblas_direct_15rocblas_storev_b
	.p2align	8
	.type	_ZN9rocsolver6v33100L14set_triangularIfPfTnNSt9enable_ifIXnt18rocblas_is_complexIT_EEiE4typeELi0EEEviiT0_iilPS4_lS8_il15rocblas_direct_15rocblas_storev_b,@function
_ZN9rocsolver6v33100L14set_triangularIfPfTnNSt9enable_ifIXnt18rocblas_is_complexIT_EEiE4typeELi0EEEviiT0_iilPS4_lS8_il15rocblas_direct_15rocblas_storev_b: ; @_ZN9rocsolver6v33100L14set_triangularIfPfTnNSt9enable_ifIXnt18rocblas_is_complexIT_EEiE4typeELi0EEEviiT0_iilPS4_lS8_il15rocblas_direct_15rocblas_storev_b
; %bb.0:
	s_load_dword s0, s[4:5], 0x64
	s_load_dwordx2 s[10:11], s[4:5], 0x0
	s_waitcnt lgkmcnt(0)
	s_lshr_b32 s1, s0, 16
	s_and_b32 s0, s0, 0xffff
	s_mul_i32 s6, s6, s0
	s_mul_i32 s7, s7, s1
	v_add_u32_e32 v2, s6, v0
	v_add_u32_e32 v0, s7, v1
	v_max_u32_e32 v1, v2, v0
	v_cmp_gt_u32_e32 vcc, s11, v1
	s_and_saveexec_b64 s[0:1], vcc
	s_cbranch_execz .LBB30_36
; %bb.1:
	s_load_dwordx8 s[12:19], s[4:5], 0x18
	s_load_dword s20, s[4:5], 0x38
	s_load_dwordx2 s[0:1], s[4:5], 0x40
	v_cmp_ne_u32_e32 vcc, v0, v2
	s_waitcnt lgkmcnt(0)
	s_mul_i32 s3, s17, s8
	s_mul_hi_u32 s6, s16, s8
	s_mul_i32 s2, s16, s8
	s_add_i32 s3, s6, s3
	s_lshl_b64 s[2:3], s[2:3], 2
	s_add_u32 s21, s14, s2
	s_mul_i32 s1, s1, s8
	s_mul_hi_u32 s2, s0, s8
	s_addc_u32 s22, s15, s3
	s_add_i32 s1, s2, s1
	s_mul_i32 s0, s0, s8
	s_lshl_b64 s[0:1], s[0:1], 2
	s_add_u32 s14, s18, s0
	s_addc_u32 s15, s19, s1
	s_and_saveexec_b64 s[0:1], vcc
	s_xor_b64 s[6:7], exec, s[0:1]
	s_cbranch_execz .LBB30_34
; %bb.2:
	s_load_dwordx4 s[0:3], s[4:5], 0x8
	s_load_dwordx4 s[16:19], s[4:5], 0x48
	s_mul_i32 s9, s13, s8
	s_mul_hi_u32 s13, s12, s8
	s_add_i32 s9, s13, s9
	s_mul_i32 s8, s12, s8
	s_waitcnt lgkmcnt(0)
	s_ashr_i32 s5, s2, 31
	s_lshl_b64 s[8:9], s[8:9], 2
	s_mov_b32 s4, s2
	s_add_u32 s2, s0, s8
	s_addc_u32 s8, s1, s9
	s_lshl_b64 s[0:1], s[4:5], 2
	s_add_u32 s2, s2, s0
	s_addc_u32 s12, s8, s1
	s_bitcmp1_b32 s18, 0
	s_cselect_b64 s[0:1], -1, 0
	s_xor_b64 s[0:1], s[0:1], -1
	s_mov_b64 s[4:5], -1
	s_cmpk_lg_i32 s16, 0xab
	v_mov_b32_e32 v3, 0
	s_cbranch_scc0 .LBB30_18
; %bb.3:
	v_cmp_le_u32_e32 vcc, v0, v2
	s_and_saveexec_b64 s[4:5], vcc
	s_xor_b64 s[4:5], exec, s[4:5]
	s_cbranch_execz .LBB30_5
; %bb.4:
	v_mad_u64_u32 v[4:5], s[8:9], v2, s20, 0
	s_ashr_i32 s8, s20, 31
	v_mov_b32_e32 v1, v5
	v_mad_u64_u32 v[5:6], s[8:9], v2, s8, v[1:2]
	v_mov_b32_e32 v1, 0
	v_mov_b32_e32 v6, s15
	v_lshlrev_b64 v[4:5], 2, v[4:5]
	v_add_co_u32_e32 v7, vcc, s14, v4
	v_addc_co_u32_e32 v6, vcc, v6, v5, vcc
	v_lshlrev_b64 v[4:5], 2, v[0:1]
	v_add_co_u32_e32 v4, vcc, v7, v4
	v_addc_co_u32_e32 v5, vcc, v6, v5, vcc
	global_store_dword v[4:5], v1, off
.LBB30_5:
	s_andn2_saveexec_b64 s[4:5], s[4:5]
	s_cbranch_execz .LBB30_17
; %bb.6:
	v_lshlrev_b64 v[4:5], 2, v[2:3]
	v_mov_b32_e32 v1, s22
	v_add_co_u32_e32 v4, vcc, s21, v4
	v_addc_co_u32_e32 v5, vcc, v1, v5, vcc
	global_load_dword v6, v[4:5], off
	s_cmpk_lg_i32 s17, 0xb5
	s_mov_b64 s[8:9], -1
	s_cbranch_scc0 .LBB30_12
; %bb.7:
	v_mov_b32_e32 v1, 0
	v_lshlrev_b64 v[4:5], 2, v[0:1]
	s_andn2_b64 vcc, exec, s[0:1]
	s_cbranch_vccnz .LBB30_9
; %bb.8:
	s_sub_i32 s8, s10, s11
	v_add_u32_e32 v9, s8, v2
	v_mad_u64_u32 v[7:8], s[8:9], v9, s3, 0
	s_ashr_i32 s8, s3, 31
	v_mov_b32_e32 v1, v8
	v_mad_u64_u32 v[8:9], s[8:9], v9, s8, v[1:2]
	v_mov_b32_e32 v1, s12
	v_lshlrev_b64 v[7:8], 2, v[7:8]
	v_add_co_u32_e32 v7, vcc, s2, v7
	v_addc_co_u32_e32 v1, vcc, v1, v8, vcc
	v_add_co_u32_e32 v7, vcc, v7, v4
	v_addc_co_u32_e32 v8, vcc, v1, v5, vcc
	global_load_dword v10, v[7:8], off
	v_mad_u64_u32 v[7:8], s[8:9], v2, s20, 0
	s_ashr_i32 s8, s20, 31
	v_mov_b32_e32 v1, v8
	v_mad_u64_u32 v[8:9], s[8:9], v2, s8, v[1:2]
	v_mov_b32_e32 v1, s15
	s_mov_b64 s[8:9], 0
	v_lshlrev_b64 v[7:8], 2, v[7:8]
	v_add_co_u32_e32 v7, vcc, s14, v7
	v_addc_co_u32_e32 v1, vcc, v1, v8, vcc
	v_add_co_u32_e32 v7, vcc, v7, v4
	v_addc_co_u32_e32 v8, vcc, v1, v5, vcc
	s_waitcnt vmcnt(0)
	v_mul_f32_e64 v1, v10, -v6
	global_store_dword v[7:8], v1, off
.LBB30_9:
	s_andn2_b64 vcc, exec, s[8:9]
	s_cbranch_vccnz .LBB30_11
; %bb.10:
	v_mad_u64_u32 v[7:8], s[8:9], v2, s20, 0
	s_ashr_i32 s8, s20, 31
	v_mov_b32_e32 v1, v8
	v_mad_u64_u32 v[8:9], s[8:9], v2, s8, v[1:2]
	s_sub_i32 s8, s10, s11
	v_add_u32_e32 v11, s8, v2
	v_mad_u64_u32 v[9:10], s[8:9], v11, s3, 0
	v_lshlrev_b64 v[7:8], 2, v[7:8]
	v_mov_b32_e32 v1, s15
	v_add_co_u32_e32 v12, vcc, s14, v7
	v_addc_co_u32_e32 v13, vcc, v1, v8, vcc
	s_ashr_i32 s8, s3, 31
	v_mov_b32_e32 v1, v10
	v_mad_u64_u32 v[7:8], s[8:9], v11, s8, v[1:2]
	v_add_co_u32_e32 v11, vcc, v12, v4
	v_mov_b32_e32 v10, v7
	v_lshlrev_b64 v[7:8], 2, v[9:10]
	v_addc_co_u32_e32 v12, vcc, v13, v5, vcc
	v_mov_b32_e32 v9, s12
	v_add_co_u32_e32 v7, vcc, s2, v7
	v_addc_co_u32_e32 v8, vcc, v9, v8, vcc
	v_add_co_u32_e32 v4, vcc, v7, v4
	v_addc_co_u32_e32 v5, vcc, v8, v5, vcc
	global_load_dword v1, v[11:12], off
	s_nop 0
	global_load_dword v4, v[4:5], off
	s_waitcnt vmcnt(0)
	v_add_f32_e32 v1, v1, v4
	v_mul_f32_e64 v1, v1, -v6
	global_store_dword v[11:12], v1, off
.LBB30_11:
	s_mov_b64 s[8:9], 0
.LBB30_12:
	s_andn2_b64 vcc, exec, s[8:9]
	s_cbranch_vccnz .LBB30_17
; %bb.13:
	s_andn2_b64 vcc, exec, s[0:1]
	s_mov_b64 s[8:9], -1
	s_cbranch_vccnz .LBB30_15
; %bb.14:
	v_mad_u64_u32 v[4:5], s[8:9], v0, s3, 0
	s_ashr_i32 s8, s3, 31
	v_mov_b32_e32 v9, 0
	v_mov_b32_e32 v1, v5
	v_mad_u64_u32 v[7:8], s[8:9], v0, s8, v[1:2]
	s_sub_i32 s8, s10, s11
	v_add_u32_e32 v8, s8, v2
	v_mov_b32_e32 v5, v7
	v_lshlrev_b64 v[4:5], 2, v[4:5]
	v_mov_b32_e32 v1, s12
	v_add_co_u32_e32 v7, vcc, s2, v4
	v_addc_co_u32_e32 v1, vcc, v1, v5, vcc
	v_lshlrev_b64 v[4:5], 2, v[8:9]
	v_mov_b32_e32 v11, s15
	v_add_co_u32_e32 v4, vcc, v7, v4
	v_addc_co_u32_e32 v5, vcc, v1, v5, vcc
	global_load_dword v10, v[4:5], off
	v_mad_u64_u32 v[4:5], s[8:9], v2, s20, 0
	s_ashr_i32 s8, s20, 31
	v_mov_b32_e32 v1, v5
	v_mad_u64_u32 v[7:8], s[8:9], v2, s8, v[1:2]
	v_mov_b32_e32 v1, v9
	v_lshlrev_b64 v[8:9], 2, v[0:1]
	v_mov_b32_e32 v5, v7
	v_lshlrev_b64 v[4:5], 2, v[4:5]
	s_mov_b64 s[8:9], 0
	v_add_co_u32_e32 v1, vcc, s14, v4
	v_addc_co_u32_e32 v5, vcc, v11, v5, vcc
	v_add_co_u32_e32 v4, vcc, v1, v8
	v_addc_co_u32_e32 v5, vcc, v5, v9, vcc
	s_waitcnt vmcnt(0)
	v_mul_f32_e64 v1, v10, -v6
	global_store_dword v[4:5], v1, off
.LBB30_15:
	s_andn2_b64 vcc, exec, s[8:9]
	s_cbranch_vccnz .LBB30_17
; %bb.16:
	v_mad_u64_u32 v[4:5], s[8:9], v2, s20, 0
	s_ashr_i32 s8, s20, 31
	v_mov_b32_e32 v1, v5
	v_mad_u64_u32 v[7:8], s[8:9], v2, s8, v[1:2]
	v_mov_b32_e32 v8, s15
	v_mov_b32_e32 v1, 0
	;; [unrolled: 1-line block ×3, first 2 shown]
	v_lshlrev_b64 v[4:5], 2, v[4:5]
	v_add_co_u32_e32 v9, vcc, s14, v4
	v_addc_co_u32_e32 v10, vcc, v8, v5, vcc
	v_mad_u64_u32 v[7:8], s[8:9], v0, s3, 0
	v_lshlrev_b64 v[4:5], 2, v[0:1]
	s_ashr_i32 s8, s3, 31
	v_add_co_u32_e32 v4, vcc, v9, v4
	v_mad_u64_u32 v[8:9], s[8:9], v0, s8, v[8:9]
	v_addc_co_u32_e32 v5, vcc, v10, v5, vcc
	v_lshlrev_b64 v[7:8], 2, v[7:8]
	s_sub_i32 s8, s10, s11
	v_add_u32_e32 v9, s8, v2
	v_mov_b32_e32 v10, v1
	v_mov_b32_e32 v1, s12
	v_add_co_u32_e32 v12, vcc, s2, v7
	v_addc_co_u32_e32 v1, vcc, v1, v8, vcc
	v_lshlrev_b64 v[7:8], 2, v[9:10]
	global_load_dword v11, v[4:5], off
	v_add_co_u32_e32 v7, vcc, v12, v7
	v_addc_co_u32_e32 v8, vcc, v1, v8, vcc
	global_load_dword v1, v[7:8], off
	s_waitcnt vmcnt(0)
	v_add_f32_e32 v1, v11, v1
	v_mul_f32_e64 v1, v1, -v6
	global_store_dword v[4:5], v1, off
.LBB30_17:
	s_or_b64 exec, exec, s[4:5]
	s_mov_b64 s[4:5], 0
.LBB30_18:
	s_andn2_b64 vcc, exec, s[4:5]
	s_cbranch_vccnz .LBB30_34
; %bb.19:
	v_cmp_ge_u32_e32 vcc, v0, v2
	s_and_saveexec_b64 s[4:5], vcc
	s_xor_b64 s[4:5], exec, s[4:5]
	s_cbranch_execz .LBB30_21
; %bb.20:
	v_mad_u64_u32 v[3:4], s[8:9], v2, s20, 0
	s_ashr_i32 s8, s20, 31
	v_mov_b32_e32 v1, v4
	v_mad_u64_u32 v[4:5], s[8:9], v2, s8, v[1:2]
	v_mov_b32_e32 v1, 0
	v_mov_b32_e32 v5, s15
	v_lshlrev_b64 v[2:3], 2, v[3:4]
	v_add_co_u32_e32 v4, vcc, s14, v2
	v_addc_co_u32_e32 v5, vcc, v5, v3, vcc
	v_lshlrev_b64 v[2:3], 2, v[0:1]
                                        ; implicit-def: $vgpr0
	v_add_co_u32_e32 v2, vcc, v4, v2
	v_addc_co_u32_e32 v3, vcc, v5, v3, vcc
	global_store_dword v[2:3], v1, off
                                        ; implicit-def: $vgpr2_vgpr3
.LBB30_21:
	s_andn2_saveexec_b64 s[4:5], s[4:5]
	s_cbranch_execz .LBB30_33
; %bb.22:
	v_lshlrev_b64 v[3:4], 2, v[2:3]
	v_mov_b32_e32 v1, s22
	v_add_co_u32_e32 v5, vcc, s21, v3
	s_waitcnt vmcnt(0)
	v_addc_co_u32_e32 v6, vcc, v1, v4, vcc
	global_load_dword v7, v[5:6], off
	v_cndmask_b32_e64 v5, 0, 1, s[0:1]
	s_cmpk_lg_i32 s17, 0xb5
	v_mov_b32_e32 v1, 0
	s_mov_b64 s[8:9], -1
	v_cmp_ne_u32_e64 s[0:1], 1, v5
	s_cbranch_scc0 .LBB30_28
; %bb.23:
	s_and_b64 vcc, exec, s[0:1]
	s_cbranch_vccnz .LBB30_25
; %bb.24:
	v_mad_u64_u32 v[5:6], s[8:9], v2, s3, 0
	s_ashr_i32 s8, s3, 31
	s_waitcnt vmcnt(0)
	v_mad_u64_u32 v[8:9], s[8:9], v2, s8, v[6:7]
	v_mov_b32_e32 v9, s12
	v_mov_b32_e32 v6, v8
	v_lshlrev_b64 v[5:6], 2, v[5:6]
	v_add_co_u32_e32 v8, vcc, s2, v5
	v_addc_co_u32_e32 v9, vcc, v9, v6, vcc
	v_lshlrev_b64 v[5:6], 2, v[0:1]
	v_add_co_u32_e32 v8, vcc, v8, v5
	v_addc_co_u32_e32 v9, vcc, v9, v6, vcc
	global_load_dword v11, v[8:9], off
	v_mad_u64_u32 v[8:9], s[8:9], v2, s20, 0
	s_ashr_i32 s8, s20, 31
	v_mad_u64_u32 v[9:10], s[8:9], v2, s8, v[9:10]
	v_mov_b32_e32 v10, s15
	s_mov_b64 s[8:9], 0
	v_lshlrev_b64 v[8:9], 2, v[8:9]
	v_add_co_u32_e32 v8, vcc, s14, v8
	v_addc_co_u32_e32 v9, vcc, v10, v9, vcc
	v_add_co_u32_e32 v5, vcc, v8, v5
	v_addc_co_u32_e32 v6, vcc, v9, v6, vcc
	s_waitcnt vmcnt(0)
	v_mul_f32_e64 v8, v11, -v7
	global_store_dword v[5:6], v8, off
.LBB30_25:
	s_andn2_b64 vcc, exec, s[8:9]
	s_cbranch_vccnz .LBB30_27
; %bb.26:
	v_mad_u64_u32 v[5:6], s[8:9], v2, s20, 0
	s_ashr_i32 s8, s20, 31
	v_mov_b32_e32 v11, s15
	s_waitcnt vmcnt(0)
	v_mad_u64_u32 v[8:9], s[8:9], v2, s8, v[6:7]
	v_mad_u64_u32 v[9:10], s[8:9], v2, s3, 0
	v_mov_b32_e32 v6, v8
	v_lshlrev_b64 v[5:6], 2, v[5:6]
	s_ashr_i32 s8, s3, 31
	v_add_co_u32_e32 v12, vcc, s14, v5
	v_mov_b32_e32 v8, v10
	v_addc_co_u32_e32 v13, vcc, v11, v6, vcc
	v_mad_u64_u32 v[10:11], s[8:9], v2, s8, v[8:9]
	v_lshlrev_b64 v[5:6], 2, v[0:1]
	v_add_co_u32_e32 v11, vcc, v12, v5
	v_lshlrev_b64 v[8:9], 2, v[9:10]
	v_addc_co_u32_e32 v12, vcc, v13, v6, vcc
	v_mov_b32_e32 v10, s12
	v_add_co_u32_e32 v8, vcc, s2, v8
	v_addc_co_u32_e32 v9, vcc, v10, v9, vcc
	v_add_co_u32_e32 v5, vcc, v8, v5
	v_addc_co_u32_e32 v6, vcc, v9, v6, vcc
	global_load_dword v13, v[11:12], off
	s_nop 0
	global_load_dword v5, v[5:6], off
	s_waitcnt vmcnt(0)
	v_add_f32_e32 v5, v13, v5
	v_mul_f32_e64 v5, v5, -v7
	global_store_dword v[11:12], v5, off
.LBB30_27:
	s_mov_b64 s[8:9], 0
.LBB30_28:
	s_andn2_b64 vcc, exec, s[8:9]
	s_cbranch_vccnz .LBB30_33
; %bb.29:
	v_lshlrev_b64 v[5:6], 2, v[0:1]
	s_and_b64 vcc, exec, s[0:1]
	s_mov_b64 s[0:1], -1
	s_cbranch_vccnz .LBB30_31
; %bb.30:
	v_mad_u64_u32 v[8:9], s[0:1], v0, s3, 0
	s_ashr_i32 s0, s3, 31
	v_mov_b32_e32 v1, v9
	v_mad_u64_u32 v[9:10], s[0:1], v0, s0, v[1:2]
	v_mov_b32_e32 v1, s12
	v_lshlrev_b64 v[8:9], 2, v[8:9]
	v_add_co_u32_e32 v8, vcc, s2, v8
	v_addc_co_u32_e32 v1, vcc, v1, v9, vcc
	v_add_co_u32_e32 v8, vcc, v8, v3
	v_addc_co_u32_e32 v9, vcc, v1, v4, vcc
	global_load_dword v11, v[8:9], off
	v_mad_u64_u32 v[8:9], s[0:1], v2, s20, 0
	s_ashr_i32 s0, s20, 31
	v_mov_b32_e32 v1, v9
	v_mad_u64_u32 v[9:10], s[0:1], v2, s0, v[1:2]
	v_mov_b32_e32 v1, s15
	s_mov_b64 s[0:1], 0
	v_lshlrev_b64 v[8:9], 2, v[8:9]
	v_add_co_u32_e32 v8, vcc, s14, v8
	v_addc_co_u32_e32 v1, vcc, v1, v9, vcc
	v_add_co_u32_e32 v8, vcc, v8, v5
	v_addc_co_u32_e32 v9, vcc, v1, v6, vcc
	s_waitcnt vmcnt(0)
	v_mul_f32_e64 v1, v11, -v7
	global_store_dword v[8:9], v1, off
.LBB30_31:
	s_andn2_b64 vcc, exec, s[0:1]
	s_cbranch_vccnz .LBB30_33
; %bb.32:
	v_mad_u64_u32 v[8:9], s[0:1], v2, s20, 0
	s_ashr_i32 s0, s20, 31
	v_mov_b32_e32 v12, s15
	v_mov_b32_e32 v1, v9
	v_mad_u64_u32 v[1:2], s[0:1], v2, s0, v[1:2]
	v_mad_u64_u32 v[10:11], s[0:1], v0, s3, 0
	v_mov_b32_e32 v9, v1
	v_lshlrev_b64 v[1:2], 2, v[8:9]
	s_ashr_i32 s0, s3, 31
	v_add_co_u32_e32 v8, vcc, s14, v1
	v_addc_co_u32_e32 v2, vcc, v12, v2, vcc
	v_mov_b32_e32 v1, v11
	v_mad_u64_u32 v[0:1], s[0:1], v0, s0, v[1:2]
	v_add_co_u32_e32 v1, vcc, v8, v5
	v_mov_b32_e32 v11, v0
	v_addc_co_u32_e32 v2, vcc, v2, v6, vcc
	v_lshlrev_b64 v[5:6], 2, v[10:11]
	v_mov_b32_e32 v0, s12
	v_add_co_u32_e32 v5, vcc, s2, v5
	v_addc_co_u32_e32 v0, vcc, v0, v6, vcc
	v_add_co_u32_e32 v3, vcc, v5, v3
	v_addc_co_u32_e32 v4, vcc, v0, v4, vcc
	global_load_dword v8, v[1:2], off
	global_load_dword v0, v[3:4], off
	s_waitcnt vmcnt(0)
	v_add_f32_e32 v0, v8, v0
	v_mul_f32_e64 v0, v0, -v7
	global_store_dword v[1:2], v0, off
.LBB30_33:
	s_or_b64 exec, exec, s[4:5]
                                        ; implicit-def: $vgpr2
.LBB30_34:
	s_andn2_saveexec_b64 s[0:1], s[6:7]
	s_cbranch_execz .LBB30_36
; %bb.35:
	v_mov_b32_e32 v3, 0
	v_lshlrev_b64 v[0:1], 2, v[2:3]
	v_mov_b32_e32 v4, s22
	v_add_co_u32_e32 v3, vcc, s21, v0
	v_addc_co_u32_e32 v4, vcc, v4, v1, vcc
	global_load_dword v6, v[3:4], off
	v_mad_u64_u32 v[3:4], s[0:1], v2, s20, 0
	s_ashr_i32 s0, s20, 31
	v_mad_u64_u32 v[4:5], s[0:1], v2, s0, v[4:5]
	v_lshlrev_b64 v[2:3], 2, v[3:4]
	v_mov_b32_e32 v4, s15
	v_add_co_u32_e32 v2, vcc, s14, v2
	v_addc_co_u32_e32 v3, vcc, v4, v3, vcc
	v_add_co_u32_e32 v0, vcc, v2, v0
	v_addc_co_u32_e32 v1, vcc, v3, v1, vcc
	s_waitcnt vmcnt(0)
	global_store_dword v[0:1], v6, off
.LBB30_36:
	s_endpgm
	.section	.rodata,"a",@progbits
	.p2align	6, 0x0
	.amdhsa_kernel _ZN9rocsolver6v33100L14set_triangularIfPfTnNSt9enable_ifIXnt18rocblas_is_complexIT_EEiE4typeELi0EEEviiT0_iilPS4_lS8_il15rocblas_direct_15rocblas_storev_b
		.amdhsa_group_segment_fixed_size 0
		.amdhsa_private_segment_fixed_size 0
		.amdhsa_kernarg_size 344
		.amdhsa_user_sgpr_count 6
		.amdhsa_user_sgpr_private_segment_buffer 1
		.amdhsa_user_sgpr_dispatch_ptr 0
		.amdhsa_user_sgpr_queue_ptr 0
		.amdhsa_user_sgpr_kernarg_segment_ptr 1
		.amdhsa_user_sgpr_dispatch_id 0
		.amdhsa_user_sgpr_flat_scratch_init 0
		.amdhsa_user_sgpr_private_segment_size 0
		.amdhsa_uses_dynamic_stack 0
		.amdhsa_system_sgpr_private_segment_wavefront_offset 0
		.amdhsa_system_sgpr_workgroup_id_x 1
		.amdhsa_system_sgpr_workgroup_id_y 1
		.amdhsa_system_sgpr_workgroup_id_z 1
		.amdhsa_system_sgpr_workgroup_info 0
		.amdhsa_system_vgpr_workitem_id 1
		.amdhsa_next_free_vgpr 14
		.amdhsa_next_free_sgpr 23
		.amdhsa_reserve_vcc 1
		.amdhsa_reserve_flat_scratch 0
		.amdhsa_float_round_mode_32 0
		.amdhsa_float_round_mode_16_64 0
		.amdhsa_float_denorm_mode_32 3
		.amdhsa_float_denorm_mode_16_64 3
		.amdhsa_dx10_clamp 1
		.amdhsa_ieee_mode 1
		.amdhsa_fp16_overflow 0
		.amdhsa_exception_fp_ieee_invalid_op 0
		.amdhsa_exception_fp_denorm_src 0
		.amdhsa_exception_fp_ieee_div_zero 0
		.amdhsa_exception_fp_ieee_overflow 0
		.amdhsa_exception_fp_ieee_underflow 0
		.amdhsa_exception_fp_ieee_inexact 0
		.amdhsa_exception_int_div_zero 0
	.end_amdhsa_kernel
	.section	.text._ZN9rocsolver6v33100L14set_triangularIfPfTnNSt9enable_ifIXnt18rocblas_is_complexIT_EEiE4typeELi0EEEviiT0_iilPS4_lS8_il15rocblas_direct_15rocblas_storev_b,"axG",@progbits,_ZN9rocsolver6v33100L14set_triangularIfPfTnNSt9enable_ifIXnt18rocblas_is_complexIT_EEiE4typeELi0EEEviiT0_iilPS4_lS8_il15rocblas_direct_15rocblas_storev_b,comdat
.Lfunc_end30:
	.size	_ZN9rocsolver6v33100L14set_triangularIfPfTnNSt9enable_ifIXnt18rocblas_is_complexIT_EEiE4typeELi0EEEviiT0_iilPS4_lS8_il15rocblas_direct_15rocblas_storev_b, .Lfunc_end30-_ZN9rocsolver6v33100L14set_triangularIfPfTnNSt9enable_ifIXnt18rocblas_is_complexIT_EEiE4typeELi0EEEviiT0_iilPS4_lS8_il15rocblas_direct_15rocblas_storev_b
                                        ; -- End function
	.set _ZN9rocsolver6v33100L14set_triangularIfPfTnNSt9enable_ifIXnt18rocblas_is_complexIT_EEiE4typeELi0EEEviiT0_iilPS4_lS8_il15rocblas_direct_15rocblas_storev_b.num_vgpr, 14
	.set _ZN9rocsolver6v33100L14set_triangularIfPfTnNSt9enable_ifIXnt18rocblas_is_complexIT_EEiE4typeELi0EEEviiT0_iilPS4_lS8_il15rocblas_direct_15rocblas_storev_b.num_agpr, 0
	.set _ZN9rocsolver6v33100L14set_triangularIfPfTnNSt9enable_ifIXnt18rocblas_is_complexIT_EEiE4typeELi0EEEviiT0_iilPS4_lS8_il15rocblas_direct_15rocblas_storev_b.numbered_sgpr, 23
	.set _ZN9rocsolver6v33100L14set_triangularIfPfTnNSt9enable_ifIXnt18rocblas_is_complexIT_EEiE4typeELi0EEEviiT0_iilPS4_lS8_il15rocblas_direct_15rocblas_storev_b.num_named_barrier, 0
	.set _ZN9rocsolver6v33100L14set_triangularIfPfTnNSt9enable_ifIXnt18rocblas_is_complexIT_EEiE4typeELi0EEEviiT0_iilPS4_lS8_il15rocblas_direct_15rocblas_storev_b.private_seg_size, 0
	.set _ZN9rocsolver6v33100L14set_triangularIfPfTnNSt9enable_ifIXnt18rocblas_is_complexIT_EEiE4typeELi0EEEviiT0_iilPS4_lS8_il15rocblas_direct_15rocblas_storev_b.uses_vcc, 1
	.set _ZN9rocsolver6v33100L14set_triangularIfPfTnNSt9enable_ifIXnt18rocblas_is_complexIT_EEiE4typeELi0EEEviiT0_iilPS4_lS8_il15rocblas_direct_15rocblas_storev_b.uses_flat_scratch, 0
	.set _ZN9rocsolver6v33100L14set_triangularIfPfTnNSt9enable_ifIXnt18rocblas_is_complexIT_EEiE4typeELi0EEEviiT0_iilPS4_lS8_il15rocblas_direct_15rocblas_storev_b.has_dyn_sized_stack, 0
	.set _ZN9rocsolver6v33100L14set_triangularIfPfTnNSt9enable_ifIXnt18rocblas_is_complexIT_EEiE4typeELi0EEEviiT0_iilPS4_lS8_il15rocblas_direct_15rocblas_storev_b.has_recursion, 0
	.set _ZN9rocsolver6v33100L14set_triangularIfPfTnNSt9enable_ifIXnt18rocblas_is_complexIT_EEiE4typeELi0EEEviiT0_iilPS4_lS8_il15rocblas_direct_15rocblas_storev_b.has_indirect_call, 0
	.section	.AMDGPU.csdata,"",@progbits
; Kernel info:
; codeLenInByte = 2044
; TotalNumSgprs: 27
; NumVgprs: 14
; ScratchSize: 0
; MemoryBound: 0
; FloatMode: 240
; IeeeMode: 1
; LDSByteSize: 0 bytes/workgroup (compile time only)
; SGPRBlocks: 3
; VGPRBlocks: 3
; NumSGPRsForWavesPerEU: 27
; NumVGPRsForWavesPerEU: 14
; Occupancy: 10
; WaveLimiterHint : 0
; COMPUTE_PGM_RSRC2:SCRATCH_EN: 0
; COMPUTE_PGM_RSRC2:USER_SGPR: 6
; COMPUTE_PGM_RSRC2:TRAP_HANDLER: 0
; COMPUTE_PGM_RSRC2:TGID_X_EN: 1
; COMPUTE_PGM_RSRC2:TGID_Y_EN: 1
; COMPUTE_PGM_RSRC2:TGID_Z_EN: 1
; COMPUTE_PGM_RSRC2:TIDIG_COMP_CNT: 1
	.section	.text._ZN9rocsolver6v33100L7set_tauIfEEviPT_l,"axG",@progbits,_ZN9rocsolver6v33100L7set_tauIfEEviPT_l,comdat
	.globl	_ZN9rocsolver6v33100L7set_tauIfEEviPT_l ; -- Begin function _ZN9rocsolver6v33100L7set_tauIfEEviPT_l
	.p2align	8
	.type	_ZN9rocsolver6v33100L7set_tauIfEEviPT_l,@function
_ZN9rocsolver6v33100L7set_tauIfEEviPT_l: ; @_ZN9rocsolver6v33100L7set_tauIfEEviPT_l
; %bb.0:
	s_load_dword s0, s[4:5], 0x24
	s_load_dword s1, s[4:5], 0x0
	s_waitcnt lgkmcnt(0)
	s_and_b32 s0, s0, 0xffff
	s_mul_i32 s6, s6, s0
	v_add_u32_e32 v0, s6, v0
	v_cmp_gt_u32_e32 vcc, s1, v0
	s_and_saveexec_b64 s[0:1], vcc
	s_cbranch_execz .LBB31_2
; %bb.1:
	s_load_dwordx4 s[0:3], s[4:5], 0x8
	v_mov_b32_e32 v1, 0
	v_lshlrev_b64 v[0:1], 2, v[0:1]
	s_waitcnt lgkmcnt(0)
	s_mul_i32 s3, s3, s7
	s_mul_hi_u32 s4, s2, s7
	s_mul_i32 s2, s2, s7
	s_add_i32 s3, s4, s3
	s_lshl_b64 s[2:3], s[2:3], 2
	s_add_u32 s0, s0, s2
	s_addc_u32 s1, s1, s3
	v_mov_b32_e32 v2, s1
	v_add_co_u32_e32 v0, vcc, s0, v0
	v_addc_co_u32_e32 v1, vcc, v2, v1, vcc
	global_load_dword v2, v[0:1], off
	s_waitcnt vmcnt(0)
	v_xor_b32_e32 v2, 0x80000000, v2
	global_store_dword v[0:1], v2, off
.LBB31_2:
	s_endpgm
	.section	.rodata,"a",@progbits
	.p2align	6, 0x0
	.amdhsa_kernel _ZN9rocsolver6v33100L7set_tauIfEEviPT_l
		.amdhsa_group_segment_fixed_size 0
		.amdhsa_private_segment_fixed_size 0
		.amdhsa_kernarg_size 280
		.amdhsa_user_sgpr_count 6
		.amdhsa_user_sgpr_private_segment_buffer 1
		.amdhsa_user_sgpr_dispatch_ptr 0
		.amdhsa_user_sgpr_queue_ptr 0
		.amdhsa_user_sgpr_kernarg_segment_ptr 1
		.amdhsa_user_sgpr_dispatch_id 0
		.amdhsa_user_sgpr_flat_scratch_init 0
		.amdhsa_user_sgpr_private_segment_size 0
		.amdhsa_uses_dynamic_stack 0
		.amdhsa_system_sgpr_private_segment_wavefront_offset 0
		.amdhsa_system_sgpr_workgroup_id_x 1
		.amdhsa_system_sgpr_workgroup_id_y 1
		.amdhsa_system_sgpr_workgroup_id_z 0
		.amdhsa_system_sgpr_workgroup_info 0
		.amdhsa_system_vgpr_workitem_id 0
		.amdhsa_next_free_vgpr 3
		.amdhsa_next_free_sgpr 8
		.amdhsa_reserve_vcc 1
		.amdhsa_reserve_flat_scratch 0
		.amdhsa_float_round_mode_32 0
		.amdhsa_float_round_mode_16_64 0
		.amdhsa_float_denorm_mode_32 3
		.amdhsa_float_denorm_mode_16_64 3
		.amdhsa_dx10_clamp 1
		.amdhsa_ieee_mode 1
		.amdhsa_fp16_overflow 0
		.amdhsa_exception_fp_ieee_invalid_op 0
		.amdhsa_exception_fp_denorm_src 0
		.amdhsa_exception_fp_ieee_div_zero 0
		.amdhsa_exception_fp_ieee_overflow 0
		.amdhsa_exception_fp_ieee_underflow 0
		.amdhsa_exception_fp_ieee_inexact 0
		.amdhsa_exception_int_div_zero 0
	.end_amdhsa_kernel
	.section	.text._ZN9rocsolver6v33100L7set_tauIfEEviPT_l,"axG",@progbits,_ZN9rocsolver6v33100L7set_tauIfEEviPT_l,comdat
.Lfunc_end31:
	.size	_ZN9rocsolver6v33100L7set_tauIfEEviPT_l, .Lfunc_end31-_ZN9rocsolver6v33100L7set_tauIfEEviPT_l
                                        ; -- End function
	.set _ZN9rocsolver6v33100L7set_tauIfEEviPT_l.num_vgpr, 3
	.set _ZN9rocsolver6v33100L7set_tauIfEEviPT_l.num_agpr, 0
	.set _ZN9rocsolver6v33100L7set_tauIfEEviPT_l.numbered_sgpr, 8
	.set _ZN9rocsolver6v33100L7set_tauIfEEviPT_l.num_named_barrier, 0
	.set _ZN9rocsolver6v33100L7set_tauIfEEviPT_l.private_seg_size, 0
	.set _ZN9rocsolver6v33100L7set_tauIfEEviPT_l.uses_vcc, 1
	.set _ZN9rocsolver6v33100L7set_tauIfEEviPT_l.uses_flat_scratch, 0
	.set _ZN9rocsolver6v33100L7set_tauIfEEviPT_l.has_dyn_sized_stack, 0
	.set _ZN9rocsolver6v33100L7set_tauIfEEviPT_l.has_recursion, 0
	.set _ZN9rocsolver6v33100L7set_tauIfEEviPT_l.has_indirect_call, 0
	.section	.AMDGPU.csdata,"",@progbits
; Kernel info:
; codeLenInByte = 144
; TotalNumSgprs: 12
; NumVgprs: 3
; ScratchSize: 0
; MemoryBound: 0
; FloatMode: 240
; IeeeMode: 1
; LDSByteSize: 0 bytes/workgroup (compile time only)
; SGPRBlocks: 1
; VGPRBlocks: 0
; NumSGPRsForWavesPerEU: 12
; NumVGPRsForWavesPerEU: 3
; Occupancy: 10
; WaveLimiterHint : 0
; COMPUTE_PGM_RSRC2:SCRATCH_EN: 0
; COMPUTE_PGM_RSRC2:USER_SGPR: 6
; COMPUTE_PGM_RSRC2:TRAP_HANDLER: 0
; COMPUTE_PGM_RSRC2:TGID_X_EN: 1
; COMPUTE_PGM_RSRC2:TGID_Y_EN: 1
; COMPUTE_PGM_RSRC2:TGID_Z_EN: 0
; COMPUTE_PGM_RSRC2:TIDIG_COMP_CNT: 0
	.section	.text._ZN9rocsolver6v33100L20larft_kernel_forwardIfPfEEv15rocblas_storev_iiT0_iilPT_lS6_il,"axG",@progbits,_ZN9rocsolver6v33100L20larft_kernel_forwardIfPfEEv15rocblas_storev_iiT0_iilPT_lS6_il,comdat
	.globl	_ZN9rocsolver6v33100L20larft_kernel_forwardIfPfEEv15rocblas_storev_iiT0_iilPT_lS6_il ; -- Begin function _ZN9rocsolver6v33100L20larft_kernel_forwardIfPfEEv15rocblas_storev_iiT0_iilPT_lS6_il
	.p2align	8
	.type	_ZN9rocsolver6v33100L20larft_kernel_forwardIfPfEEv15rocblas_storev_iiT0_iilPT_lS6_il,@function
_ZN9rocsolver6v33100L20larft_kernel_forwardIfPfEEv15rocblas_storev_iiT0_iilPT_lS6_il: ; @_ZN9rocsolver6v33100L20larft_kernel_forwardIfPfEEv15rocblas_storev_iiT0_iilPT_lS6_il
; %bb.0:
	s_load_dword s2, s[4:5], 0x5c
	s_load_dword s28, s[4:5], 0x40
	s_load_dwordx2 s[0:1], s[4:5], 0x48
	s_load_dwordx4 s[16:19], s[4:5], 0x0
	s_load_dwordx8 s[8:15], s[4:5], 0x20
	s_ashr_i32 s6, s7, 31
	s_waitcnt lgkmcnt(0)
	s_and_b32 s19, s2, 0xffff
	s_mul_hi_u32 s2, s0, s7
	s_mul_i32 s3, s0, s6
	s_add_i32 s2, s2, s3
	s_mul_i32 s1, s1, s7
	s_add_i32 s1, s2, s1
	s_mul_i32 s0, s0, s7
	s_lshl_b64 s[0:1], s[0:1], 2
	s_add_u32 s29, s14, s0
	s_addc_u32 s30, s15, s1
	v_cmp_gt_i32_e64 s[0:1], s18, v0
	v_lshlrev_b32_e32 v6, 2, v0
	s_and_saveexec_b64 s[2:3], s[0:1]
	s_cbranch_execz .LBB32_5
; %bb.1:
	v_add_u32_e32 v1, 4, v6
	v_mul_lo_u32 v1, s18, v1
	s_lshl_b32 s22, s18, 2
	s_add_i32 s23, s22, 4
	s_add_i32 s24, s28, 1
	v_add3_u32 v4, v1, v6, 0
	v_mad_u64_u32 v[1:2], s[14:15], v0, s28, v[0:1]
	s_mul_i32 s23, s23, s19
	s_mul_i32 s24, s24, s19
	s_mov_b64 s[14:15], 0
	v_mov_b32_e32 v5, s30
	v_mov_b32_e32 v7, v0
.LBB32_2:                               ; =>This Loop Header: Depth=1
                                        ;     Child Loop BB32_3 Depth 2
	s_mov_b64 s[20:21], 0
	v_mov_b32_e32 v2, v1
	v_mov_b32_e32 v8, v4
	;; [unrolled: 1-line block ×3, first 2 shown]
.LBB32_3:                               ;   Parent Loop BB32_2 Depth=1
                                        ; =>  This Inner Loop Header: Depth=2
	v_ashrrev_i32_e32 v3, 31, v2
	v_lshlrev_b64 v[10:11], 2, v[2:3]
	v_add_u32_e32 v9, 1, v9
	v_add_co_u32_e32 v10, vcc, s29, v10
	v_addc_co_u32_e32 v11, vcc, v5, v11, vcc
	global_load_dword v3, v[10:11], off
	v_cmp_le_i32_e32 vcc, s18, v9
	v_add_u32_e32 v2, s28, v2
	s_or_b64 s[20:21], vcc, s[20:21]
	s_waitcnt vmcnt(0)
	ds_write_b32 v8, v3
	v_add_u32_e32 v8, s22, v8
	s_andn2_b64 exec, exec, s[20:21]
	s_cbranch_execnz .LBB32_3
; %bb.4:                                ;   in Loop: Header=BB32_2 Depth=1
	s_or_b64 exec, exec, s[20:21]
	v_add_u32_e32 v7, s19, v7
	v_cmp_le_i32_e32 vcc, s18, v7
	v_add_u32_e32 v4, s23, v4
	s_or_b64 s[14:15], vcc, s[14:15]
	v_add_u32_e32 v1, s24, v1
	s_andn2_b64 exec, exec, s[14:15]
	s_cbranch_execnz .LBB32_2
.LBB32_5:
	s_or_b64 exec, exec, s[2:3]
	s_cmp_lt_i32 s18, 2
	s_waitcnt lgkmcnt(0)
	s_barrier
	s_cbranch_scc1 .LBB32_30
; %bb.6:
	s_load_dwordx4 s[20:23], s[4:5], 0x10
	s_mul_i32 s2, s12, s6
	s_mul_hi_u32 s3, s12, s7
	s_add_i32 s4, s3, s2
	s_mul_i32 s5, s13, s7
	s_add_i32 s5, s4, s5
	s_mul_i32 s4, s12, s7
	s_waitcnt lgkmcnt(0)
	s_ashr_i32 s3, s22, 31
	s_lshl_b64 s[4:5], s[4:5], 2
	s_mov_b32 s2, s22
	s_add_u32 s22, s10, s4
	s_addc_u32 s31, s11, s5
	s_lshl_b32 s33, s18, 2
	s_add_i32 s34, s33, 0
	s_cmpk_lg_i32 s16, 0xb5
	s_mul_i32 s4, s8, s6
	s_mul_hi_u32 s6, s8, s7
	s_cselect_b64 s[10:11], -1, 0
	s_add_i32 s4, s6, s4
	s_mul_i32 s6, s9, s7
	s_add_i32 s9, s4, s6
	s_mul_i32 s8, s8, s7
	s_add_i32 s16, s17, -2
	s_lshl_b64 s[12:13], s[8:9], 2
	s_add_u32 s35, s12, 4
	s_addc_u32 s36, s13, 0
	s_lshl_b64 s[2:3], s[2:3], 2
	s_add_u32 s37, s20, s2
	s_addc_u32 s38, s21, s3
	s_ashr_i32 s9, s23, 31
	s_mov_b32 s8, s23
	s_lshl_b32 s6, s23, 1
	s_lshl_b64 s[8:9], s[8:9], 2
	s_lshl_b32 s39, s19, 2
	s_add_u32 s2, s12, s2
	s_addc_u32 s3, s13, s3
	v_add_u32_e32 v3, 4, v6
	s_add_u32 s2, s20, s2
	v_mul_lo_u32 v3, s18, v3
	s_addc_u32 s3, s21, s3
	v_mul_lo_u32 v7, v0, s23
	s_add_u32 s40, s2, 8
	v_mov_b32_e32 v2, s13
	v_add_co_u32_e32 v1, vcc, s12, v6
	s_addc_u32 s41, s3, 0
	s_add_i32 s43, s33, 4
	s_mov_b32 s5, 0
	s_mov_b32 s4, 1
	v_addc_co_u32_e32 v2, vcc, 0, v2, vcc
	s_mul_i32 s42, s23, s19
	v_add3_u32 v8, v3, v6, 0
	s_mul_i32 s43, s43, s19
	v_add_u32_e32 v9, 0, v6
	s_mov_b32 s12, s23
	s_branch .LBB32_8
.LBB32_7:                               ;   in Loop: Header=BB32_8 Depth=1
	s_or_b64 exec, exec, s[2:3]
	s_add_i32 s4, s4, 1
	s_add_i32 s16, s16, -1
	s_add_u32 s35, s35, 4
	s_addc_u32 s36, s36, 0
	s_add_i32 s6, s6, s23
	s_add_u32 s40, s40, 4
	s_addc_u32 s41, s41, 0
	s_add_i32 s12, s12, s23
	s_cmp_eq_u32 s4, s18
	s_waitcnt lgkmcnt(0)
	s_barrier
	s_cbranch_scc1 .LBB32_30
.LBB32_8:                               ; =>This Loop Header: Depth=1
                                        ;     Child Loop BB32_12 Depth 2
                                        ;       Child Loop BB32_14 Depth 3
                                        ;     Child Loop BB32_21 Depth 2
                                        ;       Child Loop BB32_23 Depth 3
	;; [unrolled: 2-line block ×3, first 2 shown]
	s_not_b32 s2, s4
	s_add_i32 s45, s17, s2
	s_mul_i32 s2, s4, s18
	s_lshl_b32 s2, s2, 2
	s_add_i32 s44, s34, s2
	s_mov_b64 s[14:15], -1
	s_and_b64 vcc, exec, s[10:11]
	v_cmp_gt_u32_e64 s[2:3], s4, v0
	s_cbranch_vccz .LBB32_16
; %bb.9:                                ;   in Loop: Header=BB32_8 Depth=1
	s_and_saveexec_b64 s[14:15], s[2:3]
	s_cbranch_execz .LBB32_15
; %bb.10:                               ;   in Loop: Header=BB32_8 Depth=1
	s_ashr_i32 s7, s6, 31
	s_lshl_b64 s[2:3], s[6:7], 2
	s_add_u32 s20, s37, s2
	s_addc_u32 s21, s38, s3
	s_cmp_gt_i32 s45, 0
	s_cselect_b64 s[2:3], -1, 0
	s_lshl_b64 s[24:25], s[4:5], 2
	s_add_u32 s24, s22, s24
	s_addc_u32 s25, s31, s25
	s_load_dword s7, s[24:25], 0x0
	v_cndmask_b32_e64 v3, 0, 1, s[2:3]
	v_cmp_ne_u32_e64 s[2:3], 1, v3
	v_mov_b32_e32 v4, v2
	s_mov_b64 s[24:25], 0
	v_mov_b32_e32 v3, v1
	v_mov_b32_e32 v5, v0
	s_branch .LBB32_12
.LBB32_11:                              ;   in Loop: Header=BB32_12 Depth=2
	v_lshlrev_b32_e32 v11, 2, v5
	v_add_u32_e32 v12, s44, v11
	ds_read_b32 v12, v12
	v_add_u32_e32 v5, s19, v5
	v_cmp_le_u32_e32 vcc, s4, v5
	s_or_b64 s[24:25], vcc, s[24:25]
	v_add_co_u32_e32 v3, vcc, s39, v3
	v_add_u32_e32 v11, 0, v11
	s_waitcnt lgkmcnt(0)
	v_fmac_f32_e32 v12, s7, v10
	v_addc_co_u32_e32 v4, vcc, 0, v4, vcc
	ds_write_b32 v11, v12
	s_andn2_b64 exec, exec, s[24:25]
	s_cbranch_execz .LBB32_15
.LBB32_12:                              ;   Parent Loop BB32_8 Depth=1
                                        ; =>  This Loop Header: Depth=2
                                        ;       Child Loop BB32_14 Depth 3
	v_mov_b32_e32 v10, 0
	s_and_b64 vcc, exec, s[2:3]
	s_cbranch_vccnz .LBB32_11
; %bb.13:                               ;   in Loop: Header=BB32_12 Depth=2
	s_mov_b32 s13, 0
	s_mov_b64 s[26:27], s[20:21]
.LBB32_14:                              ;   Parent Loop BB32_8 Depth=1
                                        ;     Parent Loop BB32_12 Depth=2
                                        ; =>    This Inner Loop Header: Depth=3
	v_mov_b32_e32 v12, s27
	v_add_co_u32_e32 v11, vcc, s26, v3
	v_addc_co_u32_e32 v12, vcc, v12, v4, vcc
	global_load_dword v11, v[11:12], off
	s_add_u32 s46, s26, s35
	s_addc_u32 s47, s27, s36
	s_load_dword s46, s[46:47], 0x0
	s_add_i32 s13, s13, 1
	s_add_u32 s26, s26, s8
	s_addc_u32 s27, s27, s9
	s_cmp_eq_u32 s16, s13
	s_waitcnt vmcnt(0) lgkmcnt(0)
	v_fmac_f32_e32 v10, s46, v11
	s_cbranch_scc0 .LBB32_14
	s_branch .LBB32_11
.LBB32_15:                              ;   in Loop: Header=BB32_8 Depth=1
	s_or_b64 exec, exec, s[14:15]
	s_mov_b64 s[14:15], 0
.LBB32_16:                              ;   in Loop: Header=BB32_8 Depth=1
	s_andn2_b64 vcc, exec, s[14:15]
	s_cbranch_vccnz .LBB32_25
; %bb.17:                               ;   in Loop: Header=BB32_8 Depth=1
	v_cmp_gt_u32_e32 vcc, s4, v0
	s_and_saveexec_b64 s[2:3], vcc
	s_cbranch_execz .LBB32_24
; %bb.18:                               ;   in Loop: Header=BB32_8 Depth=1
	s_ashr_i32 s13, s12, 31
	s_lshl_b64 s[14:15], s[12:13], 2
	s_add_u32 s14, s40, s14
	s_addc_u32 s15, s41, s15
	s_cmp_gt_i32 s45, 0
	s_cselect_b64 s[20:21], -1, 0
	s_lshl_b64 s[24:25], s[4:5], 2
	s_add_u32 s24, s22, s24
	s_addc_u32 s25, s31, s25
	s_load_dword s7, s[24:25], 0x0
	s_mov_b64 s[24:25], 0
	v_mov_b32_e32 v3, v7
	v_mov_b32_e32 v10, v0
	s_branch .LBB32_21
.LBB32_19:                              ;   in Loop: Header=BB32_21 Depth=2
	v_mov_b32_e32 v11, 0
.LBB32_20:                              ;   in Loop: Header=BB32_21 Depth=2
	v_lshlrev_b32_e32 v4, 2, v10
	v_add_u32_e32 v5, s44, v4
	ds_read_b32 v5, v5
	v_add_u32_e32 v10, s19, v10
	v_cmp_le_u32_e32 vcc, s4, v10
	v_add_u32_e32 v4, 0, v4
	s_or_b64 s[24:25], vcc, s[24:25]
	s_waitcnt lgkmcnt(0)
	v_fmac_f32_e32 v5, s7, v11
	v_add_u32_e32 v3, s42, v3
	ds_write_b32 v4, v5
	s_andn2_b64 exec, exec, s[24:25]
	s_cbranch_execz .LBB32_24
.LBB32_21:                              ;   Parent Loop BB32_8 Depth=1
                                        ; =>  This Loop Header: Depth=2
                                        ;       Child Loop BB32_23 Depth 3
	s_andn2_b64 vcc, exec, s[20:21]
	s_cbranch_vccnz .LBB32_19
; %bb.22:                               ;   in Loop: Header=BB32_21 Depth=2
	v_ashrrev_i32_e32 v4, 31, v3
	v_lshlrev_b64 v[4:5], 2, v[3:4]
	v_mov_b32_e32 v11, s41
	v_add_co_u32_e32 v4, vcc, s40, v4
	v_addc_co_u32_e32 v5, vcc, v11, v5, vcc
	v_mov_b32_e32 v11, 0
	s_mov_b32 s13, 0
	s_mov_b64 s[26:27], s[14:15]
.LBB32_23:                              ;   Parent Loop BB32_8 Depth=1
                                        ;     Parent Loop BB32_21 Depth=2
                                        ; =>    This Inner Loop Header: Depth=3
	global_load_dword v12, v[4:5], off
	s_load_dword s45, s[26:27], 0x0
	s_add_i32 s13, s13, 1
	s_add_u32 s26, s26, 4
	v_add_co_u32_e32 v4, vcc, 4, v4
	s_addc_u32 s27, s27, 0
	v_addc_co_u32_e32 v5, vcc, 0, v5, vcc
	s_cmp_eq_u32 s16, s13
	s_waitcnt vmcnt(0) lgkmcnt(0)
	v_fmac_f32_e32 v11, s45, v12
	s_cbranch_scc0 .LBB32_23
	s_branch .LBB32_20
.LBB32_24:                              ;   in Loop: Header=BB32_8 Depth=1
	s_or_b64 exec, exec, s[2:3]
.LBB32_25:                              ;   in Loop: Header=BB32_8 Depth=1
	v_cmp_gt_u32_e32 vcc, s4, v0
	s_waitcnt lgkmcnt(0)
	s_barrier
	s_and_saveexec_b64 s[2:3], vcc
	s_cbranch_execz .LBB32_7
; %bb.26:                               ;   in Loop: Header=BB32_8 Depth=1
	s_mov_b64 s[14:15], 0
	v_mov_b32_e32 v3, v9
	v_mov_b32_e32 v4, v8
	;; [unrolled: 1-line block ×3, first 2 shown]
.LBB32_27:                              ;   Parent Loop BB32_8 Depth=1
                                        ; =>  This Loop Header: Depth=2
                                        ;       Child Loop BB32_28 Depth 3
	v_mov_b32_e32 v10, 0
	s_mov_b64 s[20:21], 0
	v_mov_b32_e32 v11, v3
	v_mov_b32_e32 v12, v4
	;; [unrolled: 1-line block ×3, first 2 shown]
.LBB32_28:                              ;   Parent Loop BB32_8 Depth=1
                                        ;     Parent Loop BB32_27 Depth=2
                                        ; =>    This Inner Loop Header: Depth=3
	ds_read_b32 v14, v12
	ds_read_b32 v15, v11
	v_add_u32_e32 v13, 1, v13
	v_cmp_le_u32_e32 vcc, s4, v13
	v_add_u32_e32 v12, s33, v12
	v_add_u32_e32 v11, 4, v11
	s_or_b64 s[20:21], vcc, s[20:21]
	s_waitcnt lgkmcnt(0)
	v_fmac_f32_e32 v10, v14, v15
	s_andn2_b64 exec, exec, s[20:21]
	s_cbranch_execnz .LBB32_28
; %bb.29:                               ;   in Loop: Header=BB32_27 Depth=2
	s_or_b64 exec, exec, s[20:21]
	v_lshl_add_u32 v11, v5, 2, s44
	v_add_u32_e32 v5, s19, v5
	v_cmp_le_u32_e32 vcc, s4, v5
	v_add_u32_e32 v4, s43, v4
	s_or_b64 s[14:15], vcc, s[14:15]
	v_add_u32_e32 v3, s39, v3
	ds_write_b32 v11, v10
	s_andn2_b64 exec, exec, s[14:15]
	s_cbranch_execnz .LBB32_27
	s_branch .LBB32_7
.LBB32_30:
	s_and_saveexec_b64 s[2:3], s[0:1]
	s_cbranch_execz .LBB32_35
; %bb.31:
	v_add_u32_e32 v1, 4, v6
	v_mul_lo_u32 v3, s18, v1
	v_mad_u64_u32 v[1:2], s[0:1], v0, s28, v[0:1]
	s_lshl_b32 s5, s18, 2
	s_add_i32 s4, s28, 1
	s_add_i32 s6, s5, 4
	s_mul_i32 s4, s4, s19
	v_add3_u32 v4, v3, v6, 0
	s_mul_i32 s6, s6, s19
	s_mov_b64 s[0:1], 0
	v_mov_b32_e32 v5, s30
.LBB32_32:                              ; =>This Loop Header: Depth=1
                                        ;     Child Loop BB32_33 Depth 2
	s_mov_b64 s[2:3], 0
	v_mov_b32_e32 v6, v4
	v_mov_b32_e32 v2, v1
	;; [unrolled: 1-line block ×3, first 2 shown]
.LBB32_33:                              ;   Parent Loop BB32_32 Depth=1
                                        ; =>  This Inner Loop Header: Depth=2
	ds_read_b32 v10, v6
	v_ashrrev_i32_e32 v3, 31, v2
	v_add_u32_e32 v7, 1, v7
	v_lshlrev_b64 v[8:9], 2, v[2:3]
	v_cmp_le_i32_e32 vcc, s18, v7
	s_or_b64 s[2:3], vcc, s[2:3]
	v_add_co_u32_e32 v8, vcc, s29, v8
	v_add_u32_e32 v6, s5, v6
	v_add_u32_e32 v2, s28, v2
	v_addc_co_u32_e32 v9, vcc, v5, v9, vcc
	s_waitcnt lgkmcnt(0)
	global_store_dword v[8:9], v10, off
	s_andn2_b64 exec, exec, s[2:3]
	s_cbranch_execnz .LBB32_33
; %bb.34:                               ;   in Loop: Header=BB32_32 Depth=1
	s_or_b64 exec, exec, s[2:3]
	v_add_u32_e32 v0, s19, v0
	v_cmp_le_i32_e32 vcc, s18, v0
	v_add_u32_e32 v1, s4, v1
	s_or_b64 s[0:1], vcc, s[0:1]
	v_add_u32_e32 v4, s6, v4
	s_andn2_b64 exec, exec, s[0:1]
	s_cbranch_execnz .LBB32_32
.LBB32_35:
	s_endpgm
	.section	.rodata,"a",@progbits
	.p2align	6, 0x0
	.amdhsa_kernel _ZN9rocsolver6v33100L20larft_kernel_forwardIfPfEEv15rocblas_storev_iiT0_iilPT_lS6_il
		.amdhsa_group_segment_fixed_size 0
		.amdhsa_private_segment_fixed_size 0
		.amdhsa_kernarg_size 336
		.amdhsa_user_sgpr_count 6
		.amdhsa_user_sgpr_private_segment_buffer 1
		.amdhsa_user_sgpr_dispatch_ptr 0
		.amdhsa_user_sgpr_queue_ptr 0
		.amdhsa_user_sgpr_kernarg_segment_ptr 1
		.amdhsa_user_sgpr_dispatch_id 0
		.amdhsa_user_sgpr_flat_scratch_init 0
		.amdhsa_user_sgpr_private_segment_size 0
		.amdhsa_uses_dynamic_stack 0
		.amdhsa_system_sgpr_private_segment_wavefront_offset 0
		.amdhsa_system_sgpr_workgroup_id_x 1
		.amdhsa_system_sgpr_workgroup_id_y 1
		.amdhsa_system_sgpr_workgroup_id_z 0
		.amdhsa_system_sgpr_workgroup_info 0
		.amdhsa_system_vgpr_workitem_id 0
		.amdhsa_next_free_vgpr 16
		.amdhsa_next_free_sgpr 48
		.amdhsa_reserve_vcc 1
		.amdhsa_reserve_flat_scratch 0
		.amdhsa_float_round_mode_32 0
		.amdhsa_float_round_mode_16_64 0
		.amdhsa_float_denorm_mode_32 3
		.amdhsa_float_denorm_mode_16_64 3
		.amdhsa_dx10_clamp 1
		.amdhsa_ieee_mode 1
		.amdhsa_fp16_overflow 0
		.amdhsa_exception_fp_ieee_invalid_op 0
		.amdhsa_exception_fp_denorm_src 0
		.amdhsa_exception_fp_ieee_div_zero 0
		.amdhsa_exception_fp_ieee_overflow 0
		.amdhsa_exception_fp_ieee_underflow 0
		.amdhsa_exception_fp_ieee_inexact 0
		.amdhsa_exception_int_div_zero 0
	.end_amdhsa_kernel
	.section	.text._ZN9rocsolver6v33100L20larft_kernel_forwardIfPfEEv15rocblas_storev_iiT0_iilPT_lS6_il,"axG",@progbits,_ZN9rocsolver6v33100L20larft_kernel_forwardIfPfEEv15rocblas_storev_iiT0_iilPT_lS6_il,comdat
.Lfunc_end32:
	.size	_ZN9rocsolver6v33100L20larft_kernel_forwardIfPfEEv15rocblas_storev_iiT0_iilPT_lS6_il, .Lfunc_end32-_ZN9rocsolver6v33100L20larft_kernel_forwardIfPfEEv15rocblas_storev_iiT0_iilPT_lS6_il
                                        ; -- End function
	.set _ZN9rocsolver6v33100L20larft_kernel_forwardIfPfEEv15rocblas_storev_iiT0_iilPT_lS6_il.num_vgpr, 16
	.set _ZN9rocsolver6v33100L20larft_kernel_forwardIfPfEEv15rocblas_storev_iiT0_iilPT_lS6_il.num_agpr, 0
	.set _ZN9rocsolver6v33100L20larft_kernel_forwardIfPfEEv15rocblas_storev_iiT0_iilPT_lS6_il.numbered_sgpr, 48
	.set _ZN9rocsolver6v33100L20larft_kernel_forwardIfPfEEv15rocblas_storev_iiT0_iilPT_lS6_il.num_named_barrier, 0
	.set _ZN9rocsolver6v33100L20larft_kernel_forwardIfPfEEv15rocblas_storev_iiT0_iilPT_lS6_il.private_seg_size, 0
	.set _ZN9rocsolver6v33100L20larft_kernel_forwardIfPfEEv15rocblas_storev_iiT0_iilPT_lS6_il.uses_vcc, 1
	.set _ZN9rocsolver6v33100L20larft_kernel_forwardIfPfEEv15rocblas_storev_iiT0_iilPT_lS6_il.uses_flat_scratch, 0
	.set _ZN9rocsolver6v33100L20larft_kernel_forwardIfPfEEv15rocblas_storev_iiT0_iilPT_lS6_il.has_dyn_sized_stack, 0
	.set _ZN9rocsolver6v33100L20larft_kernel_forwardIfPfEEv15rocblas_storev_iiT0_iilPT_lS6_il.has_recursion, 0
	.set _ZN9rocsolver6v33100L20larft_kernel_forwardIfPfEEv15rocblas_storev_iiT0_iilPT_lS6_il.has_indirect_call, 0
	.section	.AMDGPU.csdata,"",@progbits
; Kernel info:
; codeLenInByte = 1480
; TotalNumSgprs: 52
; NumVgprs: 16
; ScratchSize: 0
; MemoryBound: 0
; FloatMode: 240
; IeeeMode: 1
; LDSByteSize: 0 bytes/workgroup (compile time only)
; SGPRBlocks: 6
; VGPRBlocks: 3
; NumSGPRsForWavesPerEU: 52
; NumVGPRsForWavesPerEU: 16
; Occupancy: 10
; WaveLimiterHint : 0
; COMPUTE_PGM_RSRC2:SCRATCH_EN: 0
; COMPUTE_PGM_RSRC2:USER_SGPR: 6
; COMPUTE_PGM_RSRC2:TRAP_HANDLER: 0
; COMPUTE_PGM_RSRC2:TGID_X_EN: 1
; COMPUTE_PGM_RSRC2:TGID_Y_EN: 1
; COMPUTE_PGM_RSRC2:TGID_Z_EN: 0
; COMPUTE_PGM_RSRC2:TIDIG_COMP_CNT: 0
	.section	.text._ZN9rocsolver6v33100L21larft_kernel_backwardIfPfEEv15rocblas_storev_iiT0_iilPT_lS6_il,"axG",@progbits,_ZN9rocsolver6v33100L21larft_kernel_backwardIfPfEEv15rocblas_storev_iiT0_iilPT_lS6_il,comdat
	.globl	_ZN9rocsolver6v33100L21larft_kernel_backwardIfPfEEv15rocblas_storev_iiT0_iilPT_lS6_il ; -- Begin function _ZN9rocsolver6v33100L21larft_kernel_backwardIfPfEEv15rocblas_storev_iiT0_iilPT_lS6_il
	.p2align	8
	.type	_ZN9rocsolver6v33100L21larft_kernel_backwardIfPfEEv15rocblas_storev_iiT0_iilPT_lS6_il,@function
_ZN9rocsolver6v33100L21larft_kernel_backwardIfPfEEv15rocblas_storev_iiT0_iilPT_lS6_il: ; @_ZN9rocsolver6v33100L21larft_kernel_backwardIfPfEEv15rocblas_storev_iiT0_iilPT_lS6_il
; %bb.0:
	s_load_dword s2, s[4:5], 0x5c
	s_load_dword s26, s[4:5], 0x40
	s_load_dwordx2 s[0:1], s[4:5], 0x48
	s_load_dwordx4 s[16:19], s[4:5], 0x0
	s_load_dwordx8 s[8:15], s[4:5], 0x20
	s_ashr_i32 s6, s7, 31
	s_waitcnt lgkmcnt(0)
	s_and_b32 s19, s2, 0xffff
	s_mul_hi_u32 s2, s0, s7
	s_mul_i32 s3, s0, s6
	s_add_i32 s2, s2, s3
	s_mul_i32 s1, s1, s7
	s_add_i32 s1, s2, s1
	s_mul_i32 s0, s0, s7
	s_lshl_b64 s[0:1], s[0:1], 2
	s_add_u32 s27, s14, s0
	s_addc_u32 s28, s15, s1
	v_cmp_gt_i32_e64 s[0:1], s18, v0
	v_add_u32_e32 v6, 1, v0
	s_and_saveexec_b64 s[2:3], s[0:1]
	s_cbranch_execz .LBB33_5
; %bb.1:
	s_lshl_b32 s22, s18, 2
	s_add_i32 s14, s22, 0
	v_add_u32_e32 v3, 1, v0
	v_lshl_add_u32 v4, v0, 2, s14
	s_lshl_b32 s23, s19, 2
	s_mov_b64 s[14:15], 0
	v_mov_b32_e32 v5, s28
	v_mov_b32_e32 v7, v0
.LBB33_2:                               ; =>This Loop Header: Depth=1
                                        ;     Child Loop BB33_3 Depth 2
	s_mov_b64 s[20:21], 0
	v_mov_b32_e32 v1, v7
	v_mov_b32_e32 v8, v4
	s_mov_b32 s24, 0
.LBB33_3:                               ;   Parent Loop BB33_2 Depth=1
                                        ; =>  This Inner Loop Header: Depth=2
	v_ashrrev_i32_e32 v2, 31, v1
	v_lshlrev_b64 v[9:10], 2, v[1:2]
	s_add_i32 s24, s24, 1
	v_add_co_u32_e32 v9, vcc, s27, v9
	v_addc_co_u32_e32 v10, vcc, v5, v10, vcc
	global_load_dword v2, v[9:10], off
	v_cmp_eq_u32_e32 vcc, s24, v3
	v_add_u32_e32 v1, s26, v1
	s_or_b64 s[20:21], vcc, s[20:21]
	s_waitcnt vmcnt(0)
	ds_write_b32 v8, v2
	v_add_u32_e32 v8, s22, v8
	s_andn2_b64 exec, exec, s[20:21]
	s_cbranch_execnz .LBB33_3
; %bb.4:                                ;   in Loop: Header=BB33_2 Depth=1
	s_or_b64 exec, exec, s[20:21]
	v_add_u32_e32 v7, s19, v7
	v_cmp_le_i32_e32 vcc, s18, v7
	v_add_u32_e32 v3, s19, v3
	s_or_b64 s[14:15], vcc, s[14:15]
	v_add_u32_e32 v4, s23, v4
	s_andn2_b64 exec, exec, s[14:15]
	s_cbranch_execnz .LBB33_2
.LBB33_5:
	s_or_b64 exec, exec, s[2:3]
	s_cmp_lt_i32 s18, 2
	s_waitcnt lgkmcnt(0)
	s_barrier
	s_cbranch_scc1 .LBB33_30
; %bb.6:
	s_load_dwordx4 s[20:23], s[4:5], 0x10
	s_mul_i32 s2, s12, s6
	s_mul_hi_u32 s3, s12, s7
	s_add_i32 s4, s3, s2
	s_mul_i32 s5, s13, s7
	s_add_i32 s5, s4, s5
	s_mul_i32 s4, s12, s7
	s_waitcnt lgkmcnt(0)
	s_ashr_i32 s3, s22, 31
	s_lshl_b64 s[4:5], s[4:5], 2
	s_mov_b32 s2, s22
	s_add_u32 s22, s10, s4
	s_addc_u32 s29, s11, s5
	s_lshl_b32 s30, s18, 2
	s_add_i32 s31, s30, 0
	s_add_i32 s4, s18, -2
	s_sub_i32 s33, s17, s18
	s_cmpk_lg_i32 s16, 0xb5
	s_mul_i32 s6, s8, s6
	s_mul_hi_u32 s12, s8, s7
	s_cselect_b64 s[10:11], -1, 0
	s_add_i32 s6, s12, s6
	s_mul_i32 s9, s9, s7
	s_add_i32 s9, s6, s9
	s_mul_i32 s8, s8, s7
	s_add_i32 s34, s17, -2
	s_lshl_b64 s[6:7], s[8:9], 2
	s_lshl_b64 s[2:3], s[2:3], 2
	s_mov_b32 s5, 0
	s_add_u32 s8, s6, s2
	s_addc_u32 s9, s7, s3
	s_lshl_b64 s[2:3], s[4:5], 2
	s_add_u32 s6, s8, s2
	s_addc_u32 s7, s9, s3
	s_add_u32 s35, s20, s6
	s_addc_u32 s36, s21, s7
	s_ashr_i32 s7, s23, 31
	s_mov_b32 s6, s23
	s_lshl_b64 s[6:7], s[6:7], 2
	s_add_u32 s2, s20, s2
	s_addc_u32 s3, s21, s3
	s_add_u32 s2, s2, s8
	s_addc_u32 s3, s3, s9
	s_lshl_b32 s37, s19, 2
	v_lshlrev_b32_e32 v3, 2, v0
	s_add_u32 s38, s20, s8
	v_add_co_u32_e32 v2, vcc, s2, v3
	s_addc_u32 s39, s21, s9
	s_add_i32 s2, s18, -1
	v_mov_b32_e32 v1, s3
	s_mul_i32 s8, s23, s2
	v_mul_lo_u32 v7, v0, s23
	s_add_i32 s2, s30, 4
	v_addc_co_u32_e32 v4, vcc, 0, v1, vcc
	s_mul_i32 s2, s18, s2
	v_add_co_u32_e32 v1, vcc, 4, v2
	s_add_i32 s2, s2, 0
	v_addc_co_u32_e32 v2, vcc, 0, v4, vcc
	s_mul_i32 s40, s23, s19
	s_mul_i32 s12, s23, s4
	v_add3_u32 v8, s2, v3, -4
	s_xor_b32 s41, s30, -4
	s_branch .LBB33_8
.LBB33_7:                               ;   in Loop: Header=BB33_8 Depth=1
	s_or_b64 exec, exec, s[2:3]
	s_add_i32 s2, s4, -1
	s_add_i32 s34, s34, -1
	s_add_u32 s35, s35, -4
	s_addc_u32 s36, s36, -1
	v_add_co_u32_e32 v1, vcc, -4, v1
	s_sub_i32 s8, s8, s23
	s_sub_i32 s12, s12, s23
	v_addc_co_u32_e32 v2, vcc, -1, v2, vcc
	v_add_u32_e32 v8, s41, v8
	s_cmp_lt_i32 s4, 1
	s_mov_b32 s4, s2
	s_waitcnt lgkmcnt(0)
	s_barrier
	s_cbranch_scc1 .LBB33_30
.LBB33_8:                               ; =>This Loop Header: Depth=1
                                        ;     Child Loop BB33_12 Depth 2
                                        ;       Child Loop BB33_14 Depth 3
                                        ;     Child Loop BB33_21 Depth 2
                                        ;       Child Loop BB33_23 Depth 3
	;; [unrolled: 2-line block ×3, first 2 shown]
	s_not_b32 s2, s4
	s_add_i32 s42, s18, s2
	s_lshl_b32 s2, s4, 2
	s_add_i32 s43, s31, s2
	s_mul_i32 s2, s4, s18
	s_lshl_b32 s2, s2, 2
	s_add_i32 s24, s4, s33
	s_add_i32 s43, s43, s2
	s_mov_b64 s[14:15], -1
	s_and_b64 vcc, exec, s[10:11]
	v_cmp_gt_i32_e64 s[2:3], s42, v0
	s_cbranch_vccz .LBB33_16
; %bb.9:                                ;   in Loop: Header=BB33_8 Depth=1
	s_and_saveexec_b64 s[14:15], s[2:3]
	s_cbranch_execz .LBB33_15
; %bb.10:                               ;   in Loop: Header=BB33_8 Depth=1
	s_cmp_gt_i32 s24, 0
	s_cselect_b64 s[2:3], -1, 0
	s_lshl_b64 s[16:17], s[4:5], 2
	s_add_u32 s16, s22, s16
	s_addc_u32 s17, s29, s17
	s_load_dword s9, s[16:17], 0x0
	v_cndmask_b32_e64 v3, 0, 1, s[2:3]
	v_cmp_ne_u32_e64 s[2:3], 1, v3
	v_mov_b32_e32 v4, v2
	s_mov_b64 s[16:17], 0
	v_mov_b32_e32 v3, v1
	v_mov_b32_e32 v5, v0
	s_branch .LBB33_12
.LBB33_11:                              ;   in Loop: Header=BB33_12 Depth=2
	v_lshlrev_b32_e32 v10, 2, v5
	v_add_u32_e32 v11, s43, v10
	ds_read_b32 v11, v11 offset:4
	v_add_u32_e32 v5, s19, v5
	v_cmp_le_i32_e32 vcc, s42, v5
	s_or_b64 s[16:17], vcc, s[16:17]
	v_add_co_u32_e32 v3, vcc, s37, v3
	v_add_u32_e32 v10, 0, v10
	s_waitcnt lgkmcnt(0)
	v_fmac_f32_e32 v11, s9, v9
	v_addc_co_u32_e32 v4, vcc, 0, v4, vcc
	ds_write_b32 v10, v11
	s_andn2_b64 exec, exec, s[16:17]
	s_cbranch_execz .LBB33_15
.LBB33_12:                              ;   Parent Loop BB33_8 Depth=1
                                        ; =>  This Loop Header: Depth=2
                                        ;       Child Loop BB33_14 Depth 3
	v_mov_b32_e32 v9, 0
	s_and_b64 vcc, exec, s[2:3]
	s_cbranch_vccnz .LBB33_11
; %bb.13:                               ;   in Loop: Header=BB33_12 Depth=2
	s_mov_b32 s13, 0
	s_mov_b64 s[20:21], 0
.LBB33_14:                              ;   Parent Loop BB33_8 Depth=1
                                        ;     Parent Loop BB33_12 Depth=2
                                        ; =>    This Inner Loop Header: Depth=3
	v_mov_b32_e32 v11, s21
	v_add_co_u32_e32 v10, vcc, s20, v3
	v_addc_co_u32_e32 v11, vcc, v4, v11, vcc
	global_load_dword v10, v[10:11], off
	s_add_u32 s44, s35, s20
	s_addc_u32 s45, s36, s21
	s_load_dword s25, s[44:45], 0x0
	s_add_i32 s13, s13, 1
	s_add_u32 s20, s20, s6
	s_addc_u32 s21, s21, s7
	s_cmp_eq_u32 s34, s13
	s_waitcnt vmcnt(0) lgkmcnt(0)
	v_fmac_f32_e32 v9, s25, v10
	s_cbranch_scc0 .LBB33_14
	s_branch .LBB33_11
.LBB33_15:                              ;   in Loop: Header=BB33_8 Depth=1
	s_or_b64 exec, exec, s[14:15]
	s_mov_b64 s[14:15], 0
.LBB33_16:                              ;   in Loop: Header=BB33_8 Depth=1
	s_andn2_b64 vcc, exec, s[14:15]
	s_cbranch_vccnz .LBB33_25
; %bb.17:                               ;   in Loop: Header=BB33_8 Depth=1
	v_cmp_gt_i32_e32 vcc, s42, v0
	s_and_saveexec_b64 s[2:3], vcc
	s_cbranch_execz .LBB33_24
; %bb.18:                               ;   in Loop: Header=BB33_8 Depth=1
	s_ashr_i32 s9, s8, 31
	s_ashr_i32 s13, s12, 31
	s_lshl_b64 s[20:21], s[8:9], 2
	s_lshl_b64 s[14:15], s[12:13], 2
	s_add_u32 s14, s38, s14
	s_addc_u32 s15, s39, s15
	s_cmp_gt_i32 s24, 0
	s_cselect_b64 s[16:17], -1, 0
	s_lshl_b64 s[24:25], s[4:5], 2
	s_add_u32 s24, s22, s24
	s_addc_u32 s25, s29, s25
	s_load_dword s9, s[24:25], 0x0
	s_add_u32 s13, s38, s20
	s_addc_u32 s44, s39, s21
	s_mov_b64 s[20:21], 0
	v_mov_b32_e32 v3, v7
	v_mov_b32_e32 v9, v0
	s_branch .LBB33_21
.LBB33_19:                              ;   in Loop: Header=BB33_21 Depth=2
	v_mov_b32_e32 v10, 0
.LBB33_20:                              ;   in Loop: Header=BB33_21 Depth=2
	v_lshlrev_b32_e32 v4, 2, v9
	v_add_u32_e32 v5, s43, v4
	ds_read_b32 v5, v5 offset:4
	v_add_u32_e32 v9, s19, v9
	v_cmp_le_i32_e32 vcc, s42, v9
	v_add_u32_e32 v4, 0, v4
	s_or_b64 s[20:21], vcc, s[20:21]
	s_waitcnt lgkmcnt(0)
	v_fmac_f32_e32 v5, s9, v10
	v_add_u32_e32 v3, s40, v3
	ds_write_b32 v4, v5
	s_andn2_b64 exec, exec, s[20:21]
	s_cbranch_execz .LBB33_24
.LBB33_21:                              ;   Parent Loop BB33_8 Depth=1
                                        ; =>  This Loop Header: Depth=2
                                        ;       Child Loop BB33_23 Depth 3
	s_andn2_b64 vcc, exec, s[16:17]
	s_cbranch_vccnz .LBB33_19
; %bb.22:                               ;   in Loop: Header=BB33_21 Depth=2
	v_ashrrev_i32_e32 v4, 31, v3
	v_lshlrev_b64 v[4:5], 2, v[3:4]
	v_mov_b32_e32 v10, s44
	v_add_co_u32_e32 v4, vcc, s13, v4
	v_addc_co_u32_e32 v5, vcc, v10, v5, vcc
	v_mov_b32_e32 v10, 0
	s_mov_b32 s45, 0
	s_mov_b64 s[24:25], s[14:15]
.LBB33_23:                              ;   Parent Loop BB33_8 Depth=1
                                        ;     Parent Loop BB33_21 Depth=2
                                        ; =>    This Inner Loop Header: Depth=3
	global_load_dword v11, v[4:5], off
	s_load_dword s46, s[24:25], 0x0
	s_add_i32 s45, s45, 1
	s_add_u32 s24, s24, 4
	v_add_co_u32_e32 v4, vcc, 4, v4
	s_addc_u32 s25, s25, 0
	v_addc_co_u32_e32 v5, vcc, 0, v5, vcc
	s_cmp_eq_u32 s34, s45
	s_waitcnt vmcnt(0) lgkmcnt(0)
	v_fmac_f32_e32 v10, s46, v11
	s_cbranch_scc0 .LBB33_23
	s_branch .LBB33_20
.LBB33_24:                              ;   in Loop: Header=BB33_8 Depth=1
	s_or_b64 exec, exec, s[2:3]
.LBB33_25:                              ;   in Loop: Header=BB33_8 Depth=1
	v_cmp_gt_i32_e32 vcc, s42, v0
	s_waitcnt lgkmcnt(0)
	s_barrier
	s_and_saveexec_b64 s[2:3], vcc
	s_cbranch_execz .LBB33_7
; %bb.26:                               ;   in Loop: Header=BB33_8 Depth=1
	s_mov_b64 s[14:15], 0
	v_mov_b32_e32 v3, v8
	v_mov_b32_e32 v4, v0
.LBB33_27:                              ;   Parent Loop BB33_8 Depth=1
                                        ; =>  This Loop Header: Depth=2
                                        ;       Child Loop BB33_28 Depth 3
	v_mov_b32_e32 v5, 0
	s_mov_b32 s9, -1
	s_mov_b32 s13, 0
	s_mov_b64 s[16:17], 0
	v_mov_b32_e32 v9, v3
.LBB33_28:                              ;   Parent Loop BB33_8 Depth=1
                                        ;     Parent Loop BB33_27 Depth=2
                                        ; =>    This Inner Loop Header: Depth=3
	v_mov_b32_e32 v11, s13
	ds_read_b32 v10, v9
	ds_read_b32 v11, v11
	s_add_i32 s9, s9, 1
	s_add_i32 s13, s13, 4
	v_cmp_eq_u32_e32 vcc, s9, v4
	v_add_u32_e32 v9, s30, v9
	s_or_b64 s[16:17], vcc, s[16:17]
	s_waitcnt lgkmcnt(0)
	v_fmac_f32_e32 v5, v10, v11
	s_andn2_b64 exec, exec, s[16:17]
	s_cbranch_execnz .LBB33_28
; %bb.29:                               ;   in Loop: Header=BB33_27 Depth=2
	s_or_b64 exec, exec, s[16:17]
	v_lshl_add_u32 v9, v4, 2, s43
	v_add_u32_e32 v4, s19, v4
	v_cmp_le_i32_e32 vcc, s42, v4
	s_or_b64 s[14:15], vcc, s[14:15]
	v_add_u32_e32 v3, s37, v3
	ds_write_b32 v9, v5 offset:4
	s_andn2_b64 exec, exec, s[14:15]
	s_cbranch_execnz .LBB33_27
	s_branch .LBB33_7
.LBB33_30:
	s_and_saveexec_b64 s[2:3], s[0:1]
	s_cbranch_execz .LBB33_35
; %bb.31:
	s_lshl_b32 s4, s18, 2
	s_add_i32 s0, s4, 0
	v_lshl_add_u32 v3, v0, 2, s0
	s_lshl_b32 s5, s19, 2
	s_mov_b64 s[0:1], 0
	v_mov_b32_e32 v4, s28
.LBB33_32:                              ; =>This Loop Header: Depth=1
                                        ;     Child Loop BB33_33 Depth 2
	s_mov_b64 s[2:3], 0
	v_mov_b32_e32 v5, v3
	v_mov_b32_e32 v1, v0
	s_mov_b32 s6, 0
.LBB33_33:                              ;   Parent Loop BB33_32 Depth=1
                                        ; =>  This Inner Loop Header: Depth=2
	ds_read_b32 v9, v5
	v_ashrrev_i32_e32 v2, 31, v1
	s_add_i32 s6, s6, 1
	v_lshlrev_b64 v[7:8], 2, v[1:2]
	v_cmp_eq_u32_e32 vcc, s6, v6
	s_or_b64 s[2:3], vcc, s[2:3]
	v_add_co_u32_e32 v7, vcc, s27, v7
	v_add_u32_e32 v5, s4, v5
	v_add_u32_e32 v1, s26, v1
	v_addc_co_u32_e32 v8, vcc, v4, v8, vcc
	s_waitcnt lgkmcnt(0)
	global_store_dword v[7:8], v9, off
	s_andn2_b64 exec, exec, s[2:3]
	s_cbranch_execnz .LBB33_33
; %bb.34:                               ;   in Loop: Header=BB33_32 Depth=1
	s_or_b64 exec, exec, s[2:3]
	v_add_u32_e32 v0, s19, v0
	v_cmp_le_i32_e32 vcc, s18, v0
	v_add_u32_e32 v6, s19, v6
	s_or_b64 s[0:1], vcc, s[0:1]
	v_add_u32_e32 v3, s5, v3
	s_andn2_b64 exec, exec, s[0:1]
	s_cbranch_execnz .LBB33_32
.LBB33_35:
	s_endpgm
	.section	.rodata,"a",@progbits
	.p2align	6, 0x0
	.amdhsa_kernel _ZN9rocsolver6v33100L21larft_kernel_backwardIfPfEEv15rocblas_storev_iiT0_iilPT_lS6_il
		.amdhsa_group_segment_fixed_size 0
		.amdhsa_private_segment_fixed_size 0
		.amdhsa_kernarg_size 336
		.amdhsa_user_sgpr_count 6
		.amdhsa_user_sgpr_private_segment_buffer 1
		.amdhsa_user_sgpr_dispatch_ptr 0
		.amdhsa_user_sgpr_queue_ptr 0
		.amdhsa_user_sgpr_kernarg_segment_ptr 1
		.amdhsa_user_sgpr_dispatch_id 0
		.amdhsa_user_sgpr_flat_scratch_init 0
		.amdhsa_user_sgpr_private_segment_size 0
		.amdhsa_uses_dynamic_stack 0
		.amdhsa_system_sgpr_private_segment_wavefront_offset 0
		.amdhsa_system_sgpr_workgroup_id_x 1
		.amdhsa_system_sgpr_workgroup_id_y 1
		.amdhsa_system_sgpr_workgroup_id_z 0
		.amdhsa_system_sgpr_workgroup_info 0
		.amdhsa_system_vgpr_workitem_id 0
		.amdhsa_next_free_vgpr 12
		.amdhsa_next_free_sgpr 47
		.amdhsa_reserve_vcc 1
		.amdhsa_reserve_flat_scratch 0
		.amdhsa_float_round_mode_32 0
		.amdhsa_float_round_mode_16_64 0
		.amdhsa_float_denorm_mode_32 3
		.amdhsa_float_denorm_mode_16_64 3
		.amdhsa_dx10_clamp 1
		.amdhsa_ieee_mode 1
		.amdhsa_fp16_overflow 0
		.amdhsa_exception_fp_ieee_invalid_op 0
		.amdhsa_exception_fp_denorm_src 0
		.amdhsa_exception_fp_ieee_div_zero 0
		.amdhsa_exception_fp_ieee_overflow 0
		.amdhsa_exception_fp_ieee_underflow 0
		.amdhsa_exception_fp_ieee_inexact 0
		.amdhsa_exception_int_div_zero 0
	.end_amdhsa_kernel
	.section	.text._ZN9rocsolver6v33100L21larft_kernel_backwardIfPfEEv15rocblas_storev_iiT0_iilPT_lS6_il,"axG",@progbits,_ZN9rocsolver6v33100L21larft_kernel_backwardIfPfEEv15rocblas_storev_iiT0_iilPT_lS6_il,comdat
.Lfunc_end33:
	.size	_ZN9rocsolver6v33100L21larft_kernel_backwardIfPfEEv15rocblas_storev_iiT0_iilPT_lS6_il, .Lfunc_end33-_ZN9rocsolver6v33100L21larft_kernel_backwardIfPfEEv15rocblas_storev_iiT0_iilPT_lS6_il
                                        ; -- End function
	.set _ZN9rocsolver6v33100L21larft_kernel_backwardIfPfEEv15rocblas_storev_iiT0_iilPT_lS6_il.num_vgpr, 12
	.set _ZN9rocsolver6v33100L21larft_kernel_backwardIfPfEEv15rocblas_storev_iiT0_iilPT_lS6_il.num_agpr, 0
	.set _ZN9rocsolver6v33100L21larft_kernel_backwardIfPfEEv15rocblas_storev_iiT0_iilPT_lS6_il.numbered_sgpr, 47
	.set _ZN9rocsolver6v33100L21larft_kernel_backwardIfPfEEv15rocblas_storev_iiT0_iilPT_lS6_il.num_named_barrier, 0
	.set _ZN9rocsolver6v33100L21larft_kernel_backwardIfPfEEv15rocblas_storev_iiT0_iilPT_lS6_il.private_seg_size, 0
	.set _ZN9rocsolver6v33100L21larft_kernel_backwardIfPfEEv15rocblas_storev_iiT0_iilPT_lS6_il.uses_vcc, 1
	.set _ZN9rocsolver6v33100L21larft_kernel_backwardIfPfEEv15rocblas_storev_iiT0_iilPT_lS6_il.uses_flat_scratch, 0
	.set _ZN9rocsolver6v33100L21larft_kernel_backwardIfPfEEv15rocblas_storev_iiT0_iilPT_lS6_il.has_dyn_sized_stack, 0
	.set _ZN9rocsolver6v33100L21larft_kernel_backwardIfPfEEv15rocblas_storev_iiT0_iilPT_lS6_il.has_recursion, 0
	.set _ZN9rocsolver6v33100L21larft_kernel_backwardIfPfEEv15rocblas_storev_iiT0_iilPT_lS6_il.has_indirect_call, 0
	.section	.AMDGPU.csdata,"",@progbits
; Kernel info:
; codeLenInByte = 1468
; TotalNumSgprs: 51
; NumVgprs: 12
; ScratchSize: 0
; MemoryBound: 0
; FloatMode: 240
; IeeeMode: 1
; LDSByteSize: 0 bytes/workgroup (compile time only)
; SGPRBlocks: 6
; VGPRBlocks: 2
; NumSGPRsForWavesPerEU: 51
; NumVGPRsForWavesPerEU: 12
; Occupancy: 10
; WaveLimiterHint : 0
; COMPUTE_PGM_RSRC2:SCRATCH_EN: 0
; COMPUTE_PGM_RSRC2:USER_SGPR: 6
; COMPUTE_PGM_RSRC2:TRAP_HANDLER: 0
; COMPUTE_PGM_RSRC2:TGID_X_EN: 1
; COMPUTE_PGM_RSRC2:TGID_Y_EN: 1
; COMPUTE_PGM_RSRC2:TGID_Z_EN: 0
; COMPUTE_PGM_RSRC2:TIDIG_COMP_CNT: 0
	.section	.text._ZN9rocsolver6v33100L9copymatA1IfPfEEviiT0_iilPT_,"axG",@progbits,_ZN9rocsolver6v33100L9copymatA1IfPfEEviiT0_iilPT_,comdat
	.globl	_ZN9rocsolver6v33100L9copymatA1IfPfEEviiT0_iilPT_ ; -- Begin function _ZN9rocsolver6v33100L9copymatA1IfPfEEviiT0_iilPT_
	.p2align	8
	.type	_ZN9rocsolver6v33100L9copymatA1IfPfEEviiT0_iilPT_,@function
_ZN9rocsolver6v33100L9copymatA1IfPfEEviiT0_iilPT_: ; @_ZN9rocsolver6v33100L9copymatA1IfPfEEviiT0_iilPT_
; %bb.0:
	s_load_dword s0, s[4:5], 0x34
	s_load_dwordx2 s[2:3], s[4:5], 0x0
	s_waitcnt lgkmcnt(0)
	s_lshr_b32 s1, s0, 16
	s_and_b32 s0, s0, 0xffff
	s_mul_i32 s6, s6, s0
	s_mul_i32 s7, s7, s1
	v_add_u32_e32 v2, s6, v0
	v_add_u32_e32 v0, s7, v1
	v_cmp_gt_u32_e32 vcc, s2, v0
	v_cmp_gt_u32_e64 s[0:1], s3, v2
	s_and_b64 s[0:1], s[0:1], vcc
	s_and_saveexec_b64 s[6:7], s[0:1]
	s_cbranch_execz .LBB34_2
; %bb.1:
	s_ashr_i32 s0, s2, 31
	s_load_dwordx8 s[12:19], s[4:5], 0x8
	s_mul_hi_u32 s4, s2, s8
	s_mul_i32 s0, s0, s8
	s_ashr_i32 s1, s3, 31
	s_add_i32 s0, s4, s0
	s_mul_i32 s4, s2, s8
	s_mul_i32 s1, s4, s1
	s_mul_hi_u32 s5, s4, s3
	s_add_i32 s1, s5, s1
	s_mul_i32 s0, s0, s3
	s_add_i32 s1, s1, s0
	s_mul_i32 s0, s4, s3
	s_lshl_b64 s[0:1], s[0:1], 2
	s_waitcnt lgkmcnt(0)
	s_add_u32 s3, s18, s0
	s_mul_i32 s4, s17, s8
	s_mul_hi_u32 s5, s16, s8
	s_addc_u32 s6, s19, s1
	s_add_i32 s5, s5, s4
	s_mul_i32 s4, s16, s8
	s_ashr_i32 s1, s14, 31
	s_lshl_b64 s[4:5], s[4:5], 2
	s_add_u32 s7, s12, s4
	s_addc_u32 s8, s13, s5
	v_mad_u64_u32 v[3:4], s[4:5], v2, s15, v[0:1]
	s_mov_b32 s0, s14
	s_lshl_b64 s[0:1], s[0:1], 2
	v_mov_b32_e32 v4, 0
	s_add_u32 s0, s7, s0
	v_lshlrev_b64 v[5:6], 2, v[3:4]
	s_addc_u32 s1, s8, s1
	v_mov_b32_e32 v1, s1
	v_add_co_u32_e32 v5, vcc, s0, v5
	v_addc_co_u32_e32 v6, vcc, v1, v6, vcc
	global_load_dword v3, v[5:6], off
	v_mad_u64_u32 v[0:1], s[0:1], v2, s2, v[0:1]
	v_mov_b32_e32 v1, v4
	v_mov_b32_e32 v2, s6
	v_lshlrev_b64 v[0:1], 2, v[0:1]
	v_add_co_u32_e32 v0, vcc, s3, v0
	v_addc_co_u32_e32 v1, vcc, v2, v1, vcc
	s_waitcnt vmcnt(0)
	global_store_dword v[0:1], v3, off
.LBB34_2:
	s_endpgm
	.section	.rodata,"a",@progbits
	.p2align	6, 0x0
	.amdhsa_kernel _ZN9rocsolver6v33100L9copymatA1IfPfEEviiT0_iilPT_
		.amdhsa_group_segment_fixed_size 0
		.amdhsa_private_segment_fixed_size 0
		.amdhsa_kernarg_size 296
		.amdhsa_user_sgpr_count 6
		.amdhsa_user_sgpr_private_segment_buffer 1
		.amdhsa_user_sgpr_dispatch_ptr 0
		.amdhsa_user_sgpr_queue_ptr 0
		.amdhsa_user_sgpr_kernarg_segment_ptr 1
		.amdhsa_user_sgpr_dispatch_id 0
		.amdhsa_user_sgpr_flat_scratch_init 0
		.amdhsa_user_sgpr_private_segment_size 0
		.amdhsa_uses_dynamic_stack 0
		.amdhsa_system_sgpr_private_segment_wavefront_offset 0
		.amdhsa_system_sgpr_workgroup_id_x 1
		.amdhsa_system_sgpr_workgroup_id_y 1
		.amdhsa_system_sgpr_workgroup_id_z 1
		.amdhsa_system_sgpr_workgroup_info 0
		.amdhsa_system_vgpr_workitem_id 1
		.amdhsa_next_free_vgpr 7
		.amdhsa_next_free_sgpr 20
		.amdhsa_reserve_vcc 1
		.amdhsa_reserve_flat_scratch 0
		.amdhsa_float_round_mode_32 0
		.amdhsa_float_round_mode_16_64 0
		.amdhsa_float_denorm_mode_32 3
		.amdhsa_float_denorm_mode_16_64 3
		.amdhsa_dx10_clamp 1
		.amdhsa_ieee_mode 1
		.amdhsa_fp16_overflow 0
		.amdhsa_exception_fp_ieee_invalid_op 0
		.amdhsa_exception_fp_denorm_src 0
		.amdhsa_exception_fp_ieee_div_zero 0
		.amdhsa_exception_fp_ieee_overflow 0
		.amdhsa_exception_fp_ieee_underflow 0
		.amdhsa_exception_fp_ieee_inexact 0
		.amdhsa_exception_int_div_zero 0
	.end_amdhsa_kernel
	.section	.text._ZN9rocsolver6v33100L9copymatA1IfPfEEviiT0_iilPT_,"axG",@progbits,_ZN9rocsolver6v33100L9copymatA1IfPfEEviiT0_iilPT_,comdat
.Lfunc_end34:
	.size	_ZN9rocsolver6v33100L9copymatA1IfPfEEviiT0_iilPT_, .Lfunc_end34-_ZN9rocsolver6v33100L9copymatA1IfPfEEviiT0_iilPT_
                                        ; -- End function
	.set _ZN9rocsolver6v33100L9copymatA1IfPfEEviiT0_iilPT_.num_vgpr, 7
	.set _ZN9rocsolver6v33100L9copymatA1IfPfEEviiT0_iilPT_.num_agpr, 0
	.set _ZN9rocsolver6v33100L9copymatA1IfPfEEviiT0_iilPT_.numbered_sgpr, 20
	.set _ZN9rocsolver6v33100L9copymatA1IfPfEEviiT0_iilPT_.num_named_barrier, 0
	.set _ZN9rocsolver6v33100L9copymatA1IfPfEEviiT0_iilPT_.private_seg_size, 0
	.set _ZN9rocsolver6v33100L9copymatA1IfPfEEviiT0_iilPT_.uses_vcc, 1
	.set _ZN9rocsolver6v33100L9copymatA1IfPfEEviiT0_iilPT_.uses_flat_scratch, 0
	.set _ZN9rocsolver6v33100L9copymatA1IfPfEEviiT0_iilPT_.has_dyn_sized_stack, 0
	.set _ZN9rocsolver6v33100L9copymatA1IfPfEEviiT0_iilPT_.has_recursion, 0
	.set _ZN9rocsolver6v33100L9copymatA1IfPfEEviiT0_iilPT_.has_indirect_call, 0
	.section	.AMDGPU.csdata,"",@progbits
; Kernel info:
; codeLenInByte = 280
; TotalNumSgprs: 24
; NumVgprs: 7
; ScratchSize: 0
; MemoryBound: 0
; FloatMode: 240
; IeeeMode: 1
; LDSByteSize: 0 bytes/workgroup (compile time only)
; SGPRBlocks: 2
; VGPRBlocks: 1
; NumSGPRsForWavesPerEU: 24
; NumVGPRsForWavesPerEU: 7
; Occupancy: 10
; WaveLimiterHint : 0
; COMPUTE_PGM_RSRC2:SCRATCH_EN: 0
; COMPUTE_PGM_RSRC2:USER_SGPR: 6
; COMPUTE_PGM_RSRC2:TRAP_HANDLER: 0
; COMPUTE_PGM_RSRC2:TGID_X_EN: 1
; COMPUTE_PGM_RSRC2:TGID_Y_EN: 1
; COMPUTE_PGM_RSRC2:TGID_Z_EN: 1
; COMPUTE_PGM_RSRC2:TIDIG_COMP_CNT: 1
	.section	.text._ZN9rocsolver6v33100L8addmatA1IfPfEEviiT0_iilPT_,"axG",@progbits,_ZN9rocsolver6v33100L8addmatA1IfPfEEviiT0_iilPT_,comdat
	.globl	_ZN9rocsolver6v33100L8addmatA1IfPfEEviiT0_iilPT_ ; -- Begin function _ZN9rocsolver6v33100L8addmatA1IfPfEEviiT0_iilPT_
	.p2align	8
	.type	_ZN9rocsolver6v33100L8addmatA1IfPfEEviiT0_iilPT_,@function
_ZN9rocsolver6v33100L8addmatA1IfPfEEviiT0_iilPT_: ; @_ZN9rocsolver6v33100L8addmatA1IfPfEEviiT0_iilPT_
; %bb.0:
	s_load_dword s0, s[4:5], 0x34
	s_load_dwordx2 s[2:3], s[4:5], 0x0
	s_waitcnt lgkmcnt(0)
	s_lshr_b32 s1, s0, 16
	s_and_b32 s0, s0, 0xffff
	s_mul_i32 s6, s6, s0
	s_mul_i32 s7, s7, s1
	v_add_u32_e32 v2, s6, v0
	v_add_u32_e32 v0, s7, v1
	v_cmp_gt_u32_e32 vcc, s2, v0
	v_cmp_gt_u32_e64 s[0:1], s3, v2
	s_and_b64 s[0:1], s[0:1], vcc
	s_and_saveexec_b64 s[6:7], s[0:1]
	s_cbranch_execz .LBB35_2
; %bb.1:
	s_ashr_i32 s0, s2, 31
	s_load_dwordx8 s[12:19], s[4:5], 0x8
	s_mul_hi_u32 s4, s2, s8
	s_mul_i32 s0, s0, s8
	s_ashr_i32 s1, s3, 31
	s_add_i32 s0, s4, s0
	s_mul_i32 s4, s2, s8
	s_mul_i32 s1, s4, s1
	s_mul_hi_u32 s5, s4, s3
	s_add_i32 s1, s5, s1
	s_mul_i32 s0, s0, s3
	s_add_i32 s1, s1, s0
	s_mul_i32 s0, s4, s3
	s_lshl_b64 s[0:1], s[0:1], 2
	s_waitcnt lgkmcnt(0)
	s_add_u32 s6, s18, s0
	s_mul_i32 s3, s17, s8
	s_mul_hi_u32 s4, s16, s8
	s_addc_u32 s7, s19, s1
	s_add_i32 s5, s4, s3
	s_mul_i32 s4, s16, s8
	v_mad_u64_u32 v[3:4], s[2:3], v2, s2, v[0:1]
	s_ashr_i32 s1, s14, 31
	s_lshl_b64 s[4:5], s[4:5], 2
	s_mov_b32 s0, s14
	s_add_u32 s4, s12, s4
	s_addc_u32 s5, s13, s5
	s_lshl_b64 s[0:1], s[0:1], 2
	v_mov_b32_e32 v4, 0
	s_add_u32 s2, s4, s0
	v_lshlrev_b64 v[5:6], 2, v[3:4]
	s_addc_u32 s3, s5, s1
	v_mad_u64_u32 v[0:1], s[0:1], v2, s15, v[0:1]
	v_mov_b32_e32 v3, s7
	v_add_co_u32_e32 v1, vcc, s6, v5
	v_addc_co_u32_e32 v2, vcc, v3, v6, vcc
	global_load_dword v2, v[1:2], off
	v_mov_b32_e32 v1, v4
	v_lshlrev_b64 v[0:1], 2, v[0:1]
	v_mov_b32_e32 v3, s3
	v_add_co_u32_e32 v0, vcc, s2, v0
	v_addc_co_u32_e32 v1, vcc, v3, v1, vcc
	global_load_dword v3, v[0:1], off
	s_waitcnt vmcnt(0)
	v_sub_f32_e32 v2, v3, v2
	global_store_dword v[0:1], v2, off
.LBB35_2:
	s_endpgm
	.section	.rodata,"a",@progbits
	.p2align	6, 0x0
	.amdhsa_kernel _ZN9rocsolver6v33100L8addmatA1IfPfEEviiT0_iilPT_
		.amdhsa_group_segment_fixed_size 0
		.amdhsa_private_segment_fixed_size 0
		.amdhsa_kernarg_size 296
		.amdhsa_user_sgpr_count 6
		.amdhsa_user_sgpr_private_segment_buffer 1
		.amdhsa_user_sgpr_dispatch_ptr 0
		.amdhsa_user_sgpr_queue_ptr 0
		.amdhsa_user_sgpr_kernarg_segment_ptr 1
		.amdhsa_user_sgpr_dispatch_id 0
		.amdhsa_user_sgpr_flat_scratch_init 0
		.amdhsa_user_sgpr_private_segment_size 0
		.amdhsa_uses_dynamic_stack 0
		.amdhsa_system_sgpr_private_segment_wavefront_offset 0
		.amdhsa_system_sgpr_workgroup_id_x 1
		.amdhsa_system_sgpr_workgroup_id_y 1
		.amdhsa_system_sgpr_workgroup_id_z 1
		.amdhsa_system_sgpr_workgroup_info 0
		.amdhsa_system_vgpr_workitem_id 1
		.amdhsa_next_free_vgpr 7
		.amdhsa_next_free_sgpr 20
		.amdhsa_reserve_vcc 1
		.amdhsa_reserve_flat_scratch 0
		.amdhsa_float_round_mode_32 0
		.amdhsa_float_round_mode_16_64 0
		.amdhsa_float_denorm_mode_32 3
		.amdhsa_float_denorm_mode_16_64 3
		.amdhsa_dx10_clamp 1
		.amdhsa_ieee_mode 1
		.amdhsa_fp16_overflow 0
		.amdhsa_exception_fp_ieee_invalid_op 0
		.amdhsa_exception_fp_denorm_src 0
		.amdhsa_exception_fp_ieee_div_zero 0
		.amdhsa_exception_fp_ieee_overflow 0
		.amdhsa_exception_fp_ieee_underflow 0
		.amdhsa_exception_fp_ieee_inexact 0
		.amdhsa_exception_int_div_zero 0
	.end_amdhsa_kernel
	.section	.text._ZN9rocsolver6v33100L8addmatA1IfPfEEviiT0_iilPT_,"axG",@progbits,_ZN9rocsolver6v33100L8addmatA1IfPfEEviiT0_iilPT_,comdat
.Lfunc_end35:
	.size	_ZN9rocsolver6v33100L8addmatA1IfPfEEviiT0_iilPT_, .Lfunc_end35-_ZN9rocsolver6v33100L8addmatA1IfPfEEviiT0_iilPT_
                                        ; -- End function
	.set _ZN9rocsolver6v33100L8addmatA1IfPfEEviiT0_iilPT_.num_vgpr, 7
	.set _ZN9rocsolver6v33100L8addmatA1IfPfEEviiT0_iilPT_.num_agpr, 0
	.set _ZN9rocsolver6v33100L8addmatA1IfPfEEviiT0_iilPT_.numbered_sgpr, 20
	.set _ZN9rocsolver6v33100L8addmatA1IfPfEEviiT0_iilPT_.num_named_barrier, 0
	.set _ZN9rocsolver6v33100L8addmatA1IfPfEEviiT0_iilPT_.private_seg_size, 0
	.set _ZN9rocsolver6v33100L8addmatA1IfPfEEviiT0_iilPT_.uses_vcc, 1
	.set _ZN9rocsolver6v33100L8addmatA1IfPfEEviiT0_iilPT_.uses_flat_scratch, 0
	.set _ZN9rocsolver6v33100L8addmatA1IfPfEEviiT0_iilPT_.has_dyn_sized_stack, 0
	.set _ZN9rocsolver6v33100L8addmatA1IfPfEEviiT0_iilPT_.has_recursion, 0
	.set _ZN9rocsolver6v33100L8addmatA1IfPfEEviiT0_iilPT_.has_indirect_call, 0
	.section	.AMDGPU.csdata,"",@progbits
; Kernel info:
; codeLenInByte = 292
; TotalNumSgprs: 24
; NumVgprs: 7
; ScratchSize: 0
; MemoryBound: 0
; FloatMode: 240
; IeeeMode: 1
; LDSByteSize: 0 bytes/workgroup (compile time only)
; SGPRBlocks: 2
; VGPRBlocks: 1
; NumSGPRsForWavesPerEU: 24
; NumVGPRsForWavesPerEU: 7
; Occupancy: 10
; WaveLimiterHint : 0
; COMPUTE_PGM_RSRC2:SCRATCH_EN: 0
; COMPUTE_PGM_RSRC2:USER_SGPR: 6
; COMPUTE_PGM_RSRC2:TRAP_HANDLER: 0
; COMPUTE_PGM_RSRC2:TGID_X_EN: 1
; COMPUTE_PGM_RSRC2:TGID_Y_EN: 1
; COMPUTE_PGM_RSRC2:TGID_Z_EN: 1
; COMPUTE_PGM_RSRC2:TIDIG_COMP_CNT: 1
	.section	.text._ZN9rocsolver6v33100L15gesvdj_finalizeIffEEviPT0_lPT_ilS5_il,"axG",@progbits,_ZN9rocsolver6v33100L15gesvdj_finalizeIffEEviPT0_lPT_ilS5_il,comdat
	.globl	_ZN9rocsolver6v33100L15gesvdj_finalizeIffEEviPT0_lPT_ilS5_il ; -- Begin function _ZN9rocsolver6v33100L15gesvdj_finalizeIffEEviPT0_lPT_ilS5_il
	.p2align	8
	.type	_ZN9rocsolver6v33100L15gesvdj_finalizeIffEEviPT0_lPT_ilS5_il,@function
_ZN9rocsolver6v33100L15gesvdj_finalizeIffEEviPT0_lPT_ilS5_il: ; @_ZN9rocsolver6v33100L15gesvdj_finalizeIffEEviPT0_lPT_ilS5_il
; %bb.0:
	s_load_dword s0, s[4:5], 0x54
	s_load_dword s8, s[4:5], 0x0
	s_mov_b32 s2, 0
	s_waitcnt lgkmcnt(0)
	s_and_b32 s0, s0, 0xffff
	s_mul_i32 s6, s6, s0
	v_add_u32_e32 v0, s6, v0
	v_max_i32_e32 v1, 0, v0
	v_cmp_gt_i32_e32 vcc, s8, v1
	s_and_saveexec_b64 s[0:1], vcc
	s_cbranch_execz .LBB36_7
; %bb.1:
	s_ashr_i32 s6, s7, 31
	s_load_dwordx4 s[12:15], s[4:5], 0x8
	s_load_dwordx2 s[0:1], s[4:5], 0x18
	s_load_dword s3, s[4:5], 0x20
	s_load_dwordx4 s[16:19], s[4:5], 0x28
	s_load_dword s9, s[4:5], 0x38
	s_load_dwordx2 s[20:21], s[4:5], 0x40
	s_waitcnt lgkmcnt(0)
	s_mul_hi_u32 s4, s14, s7
	s_mul_i32 s5, s14, s6
	s_add_i32 s4, s4, s5
	s_mul_i32 s5, s15, s7
	s_add_i32 s5, s4, s5
	s_mul_i32 s4, s14, s7
	s_lshl_b64 s[4:5], s[4:5], 2
	s_add_u32 s4, s12, s4
	s_mul_hi_u32 s10, s16, s7
	s_mul_i32 s11, s16, s6
	s_addc_u32 s5, s13, s5
	s_add_i32 s10, s10, s11
	s_mul_i32 s11, s17, s7
	s_add_i32 s11, s10, s11
	s_mul_i32 s10, s16, s7
	s_lshl_b64 s[10:11], s[10:11], 2
	s_add_u32 s10, s0, s10
	s_addc_u32 s11, s1, s11
	s_mul_hi_u32 s0, s20, s7
	s_mul_i32 s1, s20, s6
	s_add_i32 s0, s0, s1
	s_mul_i32 s1, s21, s7
	s_add_i32 s1, s0, s1
	s_mul_i32 s0, s20, s7
	s_lshl_b64 s[0:1], s[0:1], 2
	s_add_u32 s12, s18, s0
	s_addc_u32 s13, s19, s1
	s_add_i32 s14, s3, 1
	v_cmp_eq_u32_e64 s[0:1], 0, v0
	v_mov_b32_e32 v2, 0
	s_branch .LBB36_3
.LBB36_2:                               ;   in Loop: Header=BB36_3 Depth=1
	s_add_i32 s8, s8, -1
	s_add_i32 s2, s2, s14
	s_add_u32 s4, s4, 4
	s_addc_u32 s5, s5, 0
	s_cmp_lg_u32 s8, 0
	v_add_u32_e32 v0, s9, v0
	s_cbranch_scc0 .LBB36_7
.LBB36_3:                               ; =>This Inner Loop Header: Depth=1
	s_ashr_i32 s3, s2, 31
	s_lshl_b64 s[6:7], s[2:3], 2
	s_add_u32 s6, s10, s6
	s_addc_u32 s7, s11, s7
	global_load_dword v1, v2, s[6:7]
	s_and_saveexec_b64 s[6:7], s[0:1]
	s_cbranch_execz .LBB36_5
; %bb.4:                                ;   in Loop: Header=BB36_3 Depth=1
	s_waitcnt vmcnt(0)
	v_and_b32_e32 v3, 0x7fffffff, v1
	global_store_dword v2, v3, s[4:5]
.LBB36_5:                               ;   in Loop: Header=BB36_3 Depth=1
	s_or_b64 exec, exec, s[6:7]
	s_waitcnt vmcnt(0)
	v_cmp_ngt_f32_e32 vcc, 0, v1
	s_cbranch_vccnz .LBB36_2
; %bb.6:                                ;   in Loop: Header=BB36_3 Depth=1
	v_ashrrev_i32_e32 v1, 31, v0
	v_lshlrev_b64 v[3:4], 2, v[0:1]
	v_mov_b32_e32 v1, s13
	v_add_co_u32_e32 v3, vcc, s12, v3
	v_addc_co_u32_e32 v4, vcc, v1, v4, vcc
	global_load_dword v1, v[3:4], off
	s_waitcnt vmcnt(0)
	v_xor_b32_e32 v1, 0x80000000, v1
	global_store_dword v[3:4], v1, off
	s_branch .LBB36_2
.LBB36_7:
	s_endpgm
	.section	.rodata,"a",@progbits
	.p2align	6, 0x0
	.amdhsa_kernel _ZN9rocsolver6v33100L15gesvdj_finalizeIffEEviPT0_lPT_ilS5_il
		.amdhsa_group_segment_fixed_size 0
		.amdhsa_private_segment_fixed_size 0
		.amdhsa_kernarg_size 328
		.amdhsa_user_sgpr_count 6
		.amdhsa_user_sgpr_private_segment_buffer 1
		.amdhsa_user_sgpr_dispatch_ptr 0
		.amdhsa_user_sgpr_queue_ptr 0
		.amdhsa_user_sgpr_kernarg_segment_ptr 1
		.amdhsa_user_sgpr_dispatch_id 0
		.amdhsa_user_sgpr_flat_scratch_init 0
		.amdhsa_user_sgpr_private_segment_size 0
		.amdhsa_uses_dynamic_stack 0
		.amdhsa_system_sgpr_private_segment_wavefront_offset 0
		.amdhsa_system_sgpr_workgroup_id_x 1
		.amdhsa_system_sgpr_workgroup_id_y 1
		.amdhsa_system_sgpr_workgroup_id_z 0
		.amdhsa_system_sgpr_workgroup_info 0
		.amdhsa_system_vgpr_workitem_id 0
		.amdhsa_next_free_vgpr 5
		.amdhsa_next_free_sgpr 22
		.amdhsa_reserve_vcc 1
		.amdhsa_reserve_flat_scratch 0
		.amdhsa_float_round_mode_32 0
		.amdhsa_float_round_mode_16_64 0
		.amdhsa_float_denorm_mode_32 3
		.amdhsa_float_denorm_mode_16_64 3
		.amdhsa_dx10_clamp 1
		.amdhsa_ieee_mode 1
		.amdhsa_fp16_overflow 0
		.amdhsa_exception_fp_ieee_invalid_op 0
		.amdhsa_exception_fp_denorm_src 0
		.amdhsa_exception_fp_ieee_div_zero 0
		.amdhsa_exception_fp_ieee_overflow 0
		.amdhsa_exception_fp_ieee_underflow 0
		.amdhsa_exception_fp_ieee_inexact 0
		.amdhsa_exception_int_div_zero 0
	.end_amdhsa_kernel
	.section	.text._ZN9rocsolver6v33100L15gesvdj_finalizeIffEEviPT0_lPT_ilS5_il,"axG",@progbits,_ZN9rocsolver6v33100L15gesvdj_finalizeIffEEviPT0_lPT_ilS5_il,comdat
.Lfunc_end36:
	.size	_ZN9rocsolver6v33100L15gesvdj_finalizeIffEEviPT0_lPT_ilS5_il, .Lfunc_end36-_ZN9rocsolver6v33100L15gesvdj_finalizeIffEEviPT0_lPT_ilS5_il
                                        ; -- End function
	.set _ZN9rocsolver6v33100L15gesvdj_finalizeIffEEviPT0_lPT_ilS5_il.num_vgpr, 5
	.set _ZN9rocsolver6v33100L15gesvdj_finalizeIffEEviPT0_lPT_ilS5_il.num_agpr, 0
	.set _ZN9rocsolver6v33100L15gesvdj_finalizeIffEEviPT0_lPT_ilS5_il.numbered_sgpr, 22
	.set _ZN9rocsolver6v33100L15gesvdj_finalizeIffEEviPT0_lPT_ilS5_il.num_named_barrier, 0
	.set _ZN9rocsolver6v33100L15gesvdj_finalizeIffEEviPT0_lPT_ilS5_il.private_seg_size, 0
	.set _ZN9rocsolver6v33100L15gesvdj_finalizeIffEEviPT0_lPT_ilS5_il.uses_vcc, 1
	.set _ZN9rocsolver6v33100L15gesvdj_finalizeIffEEviPT0_lPT_ilS5_il.uses_flat_scratch, 0
	.set _ZN9rocsolver6v33100L15gesvdj_finalizeIffEEviPT0_lPT_ilS5_il.has_dyn_sized_stack, 0
	.set _ZN9rocsolver6v33100L15gesvdj_finalizeIffEEviPT0_lPT_ilS5_il.has_recursion, 0
	.set _ZN9rocsolver6v33100L15gesvdj_finalizeIffEEviPT0_lPT_ilS5_il.has_indirect_call, 0
	.section	.AMDGPU.csdata,"",@progbits
; Kernel info:
; codeLenInByte = 396
; TotalNumSgprs: 26
; NumVgprs: 5
; ScratchSize: 0
; MemoryBound: 0
; FloatMode: 240
; IeeeMode: 1
; LDSByteSize: 0 bytes/workgroup (compile time only)
; SGPRBlocks: 3
; VGPRBlocks: 1
; NumSGPRsForWavesPerEU: 26
; NumVGPRsForWavesPerEU: 5
; Occupancy: 10
; WaveLimiterHint : 0
; COMPUTE_PGM_RSRC2:SCRATCH_EN: 0
; COMPUTE_PGM_RSRC2:USER_SGPR: 6
; COMPUTE_PGM_RSRC2:TRAP_HANDLER: 0
; COMPUTE_PGM_RSRC2:TGID_X_EN: 1
; COMPUTE_PGM_RSRC2:TGID_Y_EN: 1
; COMPUTE_PGM_RSRC2:TGID_Z_EN: 0
; COMPUTE_PGM_RSRC2:TIDIG_COMP_CNT: 0
	.section	.text._ZN9rocsolver6v33100L16org2r_init_identIfPfEEviiiT0_iil,"axG",@progbits,_ZN9rocsolver6v33100L16org2r_init_identIfPfEEviiiT0_iil,comdat
	.globl	_ZN9rocsolver6v33100L16org2r_init_identIfPfEEviiiT0_iil ; -- Begin function _ZN9rocsolver6v33100L16org2r_init_identIfPfEEviiiT0_iil
	.p2align	8
	.type	_ZN9rocsolver6v33100L16org2r_init_identIfPfEEviiiT0_iil,@function
_ZN9rocsolver6v33100L16org2r_init_identIfPfEEviiiT0_iil: ; @_ZN9rocsolver6v33100L16org2r_init_identIfPfEEviiiT0_iil
; %bb.0:
	s_load_dword s9, s[4:5], 0x34
	s_load_dwordx4 s[0:3], s[4:5], 0x0
	s_waitcnt lgkmcnt(0)
	s_lshr_b32 s3, s9, 16
	s_and_b32 s9, s9, 0xffff
	s_mul_i32 s7, s7, s3
	s_mul_i32 s6, s6, s9
	v_add_u32_e32 v1, s7, v1
	v_add_u32_e32 v2, s6, v0
	v_cmp_gt_u32_e32 vcc, s0, v2
	v_cmp_gt_u32_e64 s[0:1], s1, v1
	s_and_b64 s[0:1], vcc, s[0:1]
	s_and_saveexec_b64 s[6:7], s[0:1]
	s_cbranch_execz .LBB37_5
; %bb.1:
	s_load_dwordx2 s[0:1], s[4:5], 0x18
	v_cmp_ne_u32_e32 vcc, v2, v1
	s_mov_b64 s[10:11], 0
                                        ; implicit-def: $vgpr0
	s_and_saveexec_b64 s[6:7], vcc
	s_xor_b64 s[6:7], exec, s[6:7]
	s_cbranch_execnz .LBB37_6
; %bb.2:
	s_or_saveexec_b64 s[2:3], s[6:7]
	v_mov_b32_e32 v2, 0
	s_xor_b64 exec, exec, s[2:3]
	s_cbranch_execnz .LBB37_13
.LBB37_3:
	s_or_b64 exec, exec, s[2:3]
	s_and_b64 exec, exec, s[10:11]
	s_cbranch_execz .LBB37_5
.LBB37_4:
	s_load_dwordx2 s[2:3], s[4:5], 0x20
	s_load_dwordx2 s[6:7], s[4:5], 0x10
	s_waitcnt lgkmcnt(0)
	s_ashr_i32 s1, s0, 31
	v_mov_b32_e32 v1, 0
	v_lshlrev_b64 v[0:1], 2, v[0:1]
	s_mul_i32 s3, s3, s8
	s_mul_hi_u32 s4, s2, s8
	s_mul_i32 s2, s2, s8
	s_add_i32 s3, s4, s3
	s_lshl_b64 s[2:3], s[2:3], 2
	s_add_u32 s2, s6, s2
	s_addc_u32 s3, s7, s3
	s_lshl_b64 s[0:1], s[0:1], 2
	s_add_u32 s0, s2, s0
	s_addc_u32 s1, s3, s1
	v_mov_b32_e32 v3, s1
	v_add_co_u32_e32 v0, vcc, s0, v0
	v_addc_co_u32_e32 v1, vcc, v3, v1, vcc
	global_store_dword v[0:1], v2, off
.LBB37_5:
	s_endpgm
.LBB37_6:
	v_cmp_le_u32_e32 vcc, v1, v2
                                        ; implicit-def: $vgpr0
	s_and_saveexec_b64 s[12:13], vcc
	s_xor_b64 s[12:13], exec, s[12:13]
	s_cbranch_execz .LBB37_10
; %bb.7:
	v_cmp_le_u32_e32 vcc, s2, v1
	s_mov_b64 s[2:3], 0
                                        ; implicit-def: $vgpr0
	s_and_saveexec_b64 s[10:11], vcc
	s_xor_b64 s[10:11], exec, s[10:11]
	s_cbranch_execz .LBB37_9
; %bb.8:
	s_waitcnt lgkmcnt(0)
	v_mad_u64_u32 v[0:1], s[14:15], v1, s1, v[2:3]
	s_mov_b64 s[2:3], exec
.LBB37_9:
	s_or_b64 exec, exec, s[10:11]
	s_and_b64 s[10:11], s[2:3], exec
                                        ; implicit-def: $vgpr2
                                        ; implicit-def: $vgpr1
.LBB37_10:
	s_andn2_saveexec_b64 s[2:3], s[12:13]
	s_cbranch_execz .LBB37_12
; %bb.11:
	s_waitcnt lgkmcnt(0)
	v_mad_u64_u32 v[0:1], s[12:13], v1, s1, v[2:3]
	s_or_b64 s[10:11], s[10:11], exec
.LBB37_12:
	s_or_b64 exec, exec, s[2:3]
	s_and_b64 s[10:11], s[10:11], exec
                                        ; implicit-def: $vgpr1
	s_or_saveexec_b64 s[2:3], s[6:7]
	v_mov_b32_e32 v2, 0
	s_xor_b64 exec, exec, s[2:3]
	s_cbranch_execz .LBB37_3
.LBB37_13:
	s_waitcnt lgkmcnt(0)
	v_mad_u64_u32 v[0:1], s[6:7], v1, s1, v[1:2]
	v_mov_b32_e32 v2, 1.0
	s_or_b64 s[10:11], s[10:11], exec
	s_or_b64 exec, exec, s[2:3]
	s_and_b64 exec, exec, s[10:11]
	s_cbranch_execnz .LBB37_4
	s_branch .LBB37_5
	.section	.rodata,"a",@progbits
	.p2align	6, 0x0
	.amdhsa_kernel _ZN9rocsolver6v33100L16org2r_init_identIfPfEEviiiT0_iil
		.amdhsa_group_segment_fixed_size 0
		.amdhsa_private_segment_fixed_size 0
		.amdhsa_kernarg_size 296
		.amdhsa_user_sgpr_count 6
		.amdhsa_user_sgpr_private_segment_buffer 1
		.amdhsa_user_sgpr_dispatch_ptr 0
		.amdhsa_user_sgpr_queue_ptr 0
		.amdhsa_user_sgpr_kernarg_segment_ptr 1
		.amdhsa_user_sgpr_dispatch_id 0
		.amdhsa_user_sgpr_flat_scratch_init 0
		.amdhsa_user_sgpr_private_segment_size 0
		.amdhsa_uses_dynamic_stack 0
		.amdhsa_system_sgpr_private_segment_wavefront_offset 0
		.amdhsa_system_sgpr_workgroup_id_x 1
		.amdhsa_system_sgpr_workgroup_id_y 1
		.amdhsa_system_sgpr_workgroup_id_z 1
		.amdhsa_system_sgpr_workgroup_info 0
		.amdhsa_system_vgpr_workitem_id 1
		.amdhsa_next_free_vgpr 4
		.amdhsa_next_free_sgpr 16
		.amdhsa_reserve_vcc 1
		.amdhsa_reserve_flat_scratch 0
		.amdhsa_float_round_mode_32 0
		.amdhsa_float_round_mode_16_64 0
		.amdhsa_float_denorm_mode_32 3
		.amdhsa_float_denorm_mode_16_64 3
		.amdhsa_dx10_clamp 1
		.amdhsa_ieee_mode 1
		.amdhsa_fp16_overflow 0
		.amdhsa_exception_fp_ieee_invalid_op 0
		.amdhsa_exception_fp_denorm_src 0
		.amdhsa_exception_fp_ieee_div_zero 0
		.amdhsa_exception_fp_ieee_overflow 0
		.amdhsa_exception_fp_ieee_underflow 0
		.amdhsa_exception_fp_ieee_inexact 0
		.amdhsa_exception_int_div_zero 0
	.end_amdhsa_kernel
	.section	.text._ZN9rocsolver6v33100L16org2r_init_identIfPfEEviiiT0_iil,"axG",@progbits,_ZN9rocsolver6v33100L16org2r_init_identIfPfEEviiiT0_iil,comdat
.Lfunc_end37:
	.size	_ZN9rocsolver6v33100L16org2r_init_identIfPfEEviiiT0_iil, .Lfunc_end37-_ZN9rocsolver6v33100L16org2r_init_identIfPfEEviiiT0_iil
                                        ; -- End function
	.set _ZN9rocsolver6v33100L16org2r_init_identIfPfEEviiiT0_iil.num_vgpr, 4
	.set _ZN9rocsolver6v33100L16org2r_init_identIfPfEEviiiT0_iil.num_agpr, 0
	.set _ZN9rocsolver6v33100L16org2r_init_identIfPfEEviiiT0_iil.numbered_sgpr, 16
	.set _ZN9rocsolver6v33100L16org2r_init_identIfPfEEviiiT0_iil.num_named_barrier, 0
	.set _ZN9rocsolver6v33100L16org2r_init_identIfPfEEviiiT0_iil.private_seg_size, 0
	.set _ZN9rocsolver6v33100L16org2r_init_identIfPfEEviiiT0_iil.uses_vcc, 1
	.set _ZN9rocsolver6v33100L16org2r_init_identIfPfEEviiiT0_iil.uses_flat_scratch, 0
	.set _ZN9rocsolver6v33100L16org2r_init_identIfPfEEviiiT0_iil.has_dyn_sized_stack, 0
	.set _ZN9rocsolver6v33100L16org2r_init_identIfPfEEviiiT0_iil.has_recursion, 0
	.set _ZN9rocsolver6v33100L16org2r_init_identIfPfEEviiiT0_iil.has_indirect_call, 0
	.section	.AMDGPU.csdata,"",@progbits
; Kernel info:
; codeLenInByte = 372
; TotalNumSgprs: 20
; NumVgprs: 4
; ScratchSize: 0
; MemoryBound: 0
; FloatMode: 240
; IeeeMode: 1
; LDSByteSize: 0 bytes/workgroup (compile time only)
; SGPRBlocks: 2
; VGPRBlocks: 0
; NumSGPRsForWavesPerEU: 20
; NumVGPRsForWavesPerEU: 4
; Occupancy: 10
; WaveLimiterHint : 0
; COMPUTE_PGM_RSRC2:SCRATCH_EN: 0
; COMPUTE_PGM_RSRC2:USER_SGPR: 6
; COMPUTE_PGM_RSRC2:TRAP_HANDLER: 0
; COMPUTE_PGM_RSRC2:TGID_X_EN: 1
; COMPUTE_PGM_RSRC2:TGID_Y_EN: 1
; COMPUTE_PGM_RSRC2:TGID_Z_EN: 1
; COMPUTE_PGM_RSRC2:TIDIG_COMP_CNT: 1
	.section	.text._ZN9rocsolver6v33100L12subtract_tauIfPfEEviiT0_iilPT_l,"axG",@progbits,_ZN9rocsolver6v33100L12subtract_tauIfPfEEviiT0_iilPT_l,comdat
	.globl	_ZN9rocsolver6v33100L12subtract_tauIfPfEEviiT0_iilPT_l ; -- Begin function _ZN9rocsolver6v33100L12subtract_tauIfPfEEviiT0_iilPT_l
	.p2align	8
	.type	_ZN9rocsolver6v33100L12subtract_tauIfPfEEviiT0_iilPT_l,@function
_ZN9rocsolver6v33100L12subtract_tauIfPfEEviiT0_iilPT_l: ; @_ZN9rocsolver6v33100L12subtract_tauIfPfEEviiT0_iilPT_l
; %bb.0:
	s_load_dwordx2 s[12:13], s[4:5], 0x10
	s_load_dwordx4 s[0:3], s[4:5], 0x18
	s_load_dwordx4 s[8:11], s[4:5], 0x0
	s_load_dwordx2 s[14:15], s[4:5], 0x28
	v_mov_b32_e32 v0, 0
	s_waitcnt lgkmcnt(0)
	s_ashr_i32 s5, s12, 31
	s_mul_i32 s1, s1, s6
	s_mul_hi_u32 s7, s0, s6
	s_add_i32 s1, s7, s1
	s_mul_i32 s0, s0, s6
	s_lshl_b64 s[0:1], s[0:1], 2
	s_mov_b32 s4, s12
	s_add_u32 s7, s10, s0
	s_addc_u32 s10, s11, s1
	s_lshl_b64 s[0:1], s[4:5], 2
	s_add_u32 s4, s7, s0
	s_addc_u32 s5, s10, s1
	s_mul_i32 s0, s15, s6
	s_mul_hi_u32 s1, s14, s6
	s_add_i32 s1, s1, s0
	s_mul_i32 s0, s14, s6
	s_lshl_b64 s[0:1], s[0:1], 2
	s_add_u32 s0, s2, s0
	s_addc_u32 s1, s3, s1
	s_load_dword s2, s[0:1], 0x0
	s_waitcnt lgkmcnt(0)
	s_xor_b32 s3, s2, 0x80000000
	v_mov_b32_e32 v1, s3
	global_store_dword v0, v1, s[0:1]
	s_mul_i32 s0, s13, s9
	s_add_i32 s0, s0, s8
	s_ashr_i32 s1, s0, 31
	s_lshl_b64 s[0:1], s[0:1], 2
	s_add_u32 s0, s4, s0
	v_sub_f32_e64 v1, 1.0, s2
	s_addc_u32 s1, s5, s1
	global_store_dword v0, v1, s[0:1]
	s_endpgm
	.section	.rodata,"a",@progbits
	.p2align	6, 0x0
	.amdhsa_kernel _ZN9rocsolver6v33100L12subtract_tauIfPfEEviiT0_iilPT_l
		.amdhsa_group_segment_fixed_size 0
		.amdhsa_private_segment_fixed_size 0
		.amdhsa_kernarg_size 48
		.amdhsa_user_sgpr_count 6
		.amdhsa_user_sgpr_private_segment_buffer 1
		.amdhsa_user_sgpr_dispatch_ptr 0
		.amdhsa_user_sgpr_queue_ptr 0
		.amdhsa_user_sgpr_kernarg_segment_ptr 1
		.amdhsa_user_sgpr_dispatch_id 0
		.amdhsa_user_sgpr_flat_scratch_init 0
		.amdhsa_user_sgpr_private_segment_size 0
		.amdhsa_uses_dynamic_stack 0
		.amdhsa_system_sgpr_private_segment_wavefront_offset 0
		.amdhsa_system_sgpr_workgroup_id_x 1
		.amdhsa_system_sgpr_workgroup_id_y 0
		.amdhsa_system_sgpr_workgroup_id_z 0
		.amdhsa_system_sgpr_workgroup_info 0
		.amdhsa_system_vgpr_workitem_id 0
		.amdhsa_next_free_vgpr 2
		.amdhsa_next_free_sgpr 16
		.amdhsa_reserve_vcc 0
		.amdhsa_reserve_flat_scratch 0
		.amdhsa_float_round_mode_32 0
		.amdhsa_float_round_mode_16_64 0
		.amdhsa_float_denorm_mode_32 3
		.amdhsa_float_denorm_mode_16_64 3
		.amdhsa_dx10_clamp 1
		.amdhsa_ieee_mode 1
		.amdhsa_fp16_overflow 0
		.amdhsa_exception_fp_ieee_invalid_op 0
		.amdhsa_exception_fp_denorm_src 0
		.amdhsa_exception_fp_ieee_div_zero 0
		.amdhsa_exception_fp_ieee_overflow 0
		.amdhsa_exception_fp_ieee_underflow 0
		.amdhsa_exception_fp_ieee_inexact 0
		.amdhsa_exception_int_div_zero 0
	.end_amdhsa_kernel
	.section	.text._ZN9rocsolver6v33100L12subtract_tauIfPfEEviiT0_iilPT_l,"axG",@progbits,_ZN9rocsolver6v33100L12subtract_tauIfPfEEviiT0_iilPT_l,comdat
.Lfunc_end38:
	.size	_ZN9rocsolver6v33100L12subtract_tauIfPfEEviiT0_iilPT_l, .Lfunc_end38-_ZN9rocsolver6v33100L12subtract_tauIfPfEEviiT0_iilPT_l
                                        ; -- End function
	.set _ZN9rocsolver6v33100L12subtract_tauIfPfEEviiT0_iilPT_l.num_vgpr, 2
	.set _ZN9rocsolver6v33100L12subtract_tauIfPfEEviiT0_iilPT_l.num_agpr, 0
	.set _ZN9rocsolver6v33100L12subtract_tauIfPfEEviiT0_iilPT_l.numbered_sgpr, 16
	.set _ZN9rocsolver6v33100L12subtract_tauIfPfEEviiT0_iilPT_l.num_named_barrier, 0
	.set _ZN9rocsolver6v33100L12subtract_tauIfPfEEviiT0_iilPT_l.private_seg_size, 0
	.set _ZN9rocsolver6v33100L12subtract_tauIfPfEEviiT0_iilPT_l.uses_vcc, 0
	.set _ZN9rocsolver6v33100L12subtract_tauIfPfEEviiT0_iilPT_l.uses_flat_scratch, 0
	.set _ZN9rocsolver6v33100L12subtract_tauIfPfEEviiT0_iilPT_l.has_dyn_sized_stack, 0
	.set _ZN9rocsolver6v33100L12subtract_tauIfPfEEviiT0_iilPT_l.has_recursion, 0
	.set _ZN9rocsolver6v33100L12subtract_tauIfPfEEviiT0_iilPT_l.has_indirect_call, 0
	.section	.AMDGPU.csdata,"",@progbits
; Kernel info:
; codeLenInByte = 192
; TotalNumSgprs: 20
; NumVgprs: 2
; ScratchSize: 0
; MemoryBound: 0
; FloatMode: 240
; IeeeMode: 1
; LDSByteSize: 0 bytes/workgroup (compile time only)
; SGPRBlocks: 2
; VGPRBlocks: 0
; NumSGPRsForWavesPerEU: 20
; NumVGPRsForWavesPerEU: 2
; Occupancy: 10
; WaveLimiterHint : 0
; COMPUTE_PGM_RSRC2:SCRATCH_EN: 0
; COMPUTE_PGM_RSRC2:USER_SGPR: 6
; COMPUTE_PGM_RSRC2:TRAP_HANDLER: 0
; COMPUTE_PGM_RSRC2:TGID_X_EN: 1
; COMPUTE_PGM_RSRC2:TGID_Y_EN: 0
; COMPUTE_PGM_RSRC2:TGID_Z_EN: 0
; COMPUTE_PGM_RSRC2:TIDIG_COMP_CNT: 0
	.section	.text._ZN9rocsolver6v33100L6restauIfEEviPT_l,"axG",@progbits,_ZN9rocsolver6v33100L6restauIfEEviPT_l,comdat
	.globl	_ZN9rocsolver6v33100L6restauIfEEviPT_l ; -- Begin function _ZN9rocsolver6v33100L6restauIfEEviPT_l
	.p2align	8
	.type	_ZN9rocsolver6v33100L6restauIfEEviPT_l,@function
_ZN9rocsolver6v33100L6restauIfEEviPT_l: ; @_ZN9rocsolver6v33100L6restauIfEEviPT_l
; %bb.0:
	s_load_dword s0, s[4:5], 0x24
	s_load_dword s1, s[4:5], 0x0
	s_waitcnt lgkmcnt(0)
	s_and_b32 s0, s0, 0xffff
	s_mul_i32 s6, s6, s0
	v_add_u32_e32 v0, s6, v0
	v_cmp_gt_u32_e32 vcc, s1, v0
	s_and_saveexec_b64 s[0:1], vcc
	s_cbranch_execz .LBB39_2
; %bb.1:
	s_load_dwordx4 s[0:3], s[4:5], 0x8
	v_mov_b32_e32 v1, 0
	v_lshlrev_b64 v[0:1], 2, v[0:1]
	s_waitcnt lgkmcnt(0)
	s_mul_i32 s3, s3, s7
	s_mul_hi_u32 s4, s2, s7
	s_mul_i32 s2, s2, s7
	s_add_i32 s3, s4, s3
	s_lshl_b64 s[2:3], s[2:3], 2
	s_add_u32 s0, s0, s2
	s_addc_u32 s1, s1, s3
	v_mov_b32_e32 v2, s1
	v_add_co_u32_e32 v0, vcc, s0, v0
	v_addc_co_u32_e32 v1, vcc, v2, v1, vcc
	global_load_dword v2, v[0:1], off
	s_waitcnt vmcnt(0)
	v_xor_b32_e32 v2, 0x80000000, v2
	global_store_dword v[0:1], v2, off
.LBB39_2:
	s_endpgm
	.section	.rodata,"a",@progbits
	.p2align	6, 0x0
	.amdhsa_kernel _ZN9rocsolver6v33100L6restauIfEEviPT_l
		.amdhsa_group_segment_fixed_size 0
		.amdhsa_private_segment_fixed_size 0
		.amdhsa_kernarg_size 280
		.amdhsa_user_sgpr_count 6
		.amdhsa_user_sgpr_private_segment_buffer 1
		.amdhsa_user_sgpr_dispatch_ptr 0
		.amdhsa_user_sgpr_queue_ptr 0
		.amdhsa_user_sgpr_kernarg_segment_ptr 1
		.amdhsa_user_sgpr_dispatch_id 0
		.amdhsa_user_sgpr_flat_scratch_init 0
		.amdhsa_user_sgpr_private_segment_size 0
		.amdhsa_uses_dynamic_stack 0
		.amdhsa_system_sgpr_private_segment_wavefront_offset 0
		.amdhsa_system_sgpr_workgroup_id_x 1
		.amdhsa_system_sgpr_workgroup_id_y 1
		.amdhsa_system_sgpr_workgroup_id_z 0
		.amdhsa_system_sgpr_workgroup_info 0
		.amdhsa_system_vgpr_workitem_id 0
		.amdhsa_next_free_vgpr 3
		.amdhsa_next_free_sgpr 8
		.amdhsa_reserve_vcc 1
		.amdhsa_reserve_flat_scratch 0
		.amdhsa_float_round_mode_32 0
		.amdhsa_float_round_mode_16_64 0
		.amdhsa_float_denorm_mode_32 3
		.amdhsa_float_denorm_mode_16_64 3
		.amdhsa_dx10_clamp 1
		.amdhsa_ieee_mode 1
		.amdhsa_fp16_overflow 0
		.amdhsa_exception_fp_ieee_invalid_op 0
		.amdhsa_exception_fp_denorm_src 0
		.amdhsa_exception_fp_ieee_div_zero 0
		.amdhsa_exception_fp_ieee_overflow 0
		.amdhsa_exception_fp_ieee_underflow 0
		.amdhsa_exception_fp_ieee_inexact 0
		.amdhsa_exception_int_div_zero 0
	.end_amdhsa_kernel
	.section	.text._ZN9rocsolver6v33100L6restauIfEEviPT_l,"axG",@progbits,_ZN9rocsolver6v33100L6restauIfEEviPT_l,comdat
.Lfunc_end39:
	.size	_ZN9rocsolver6v33100L6restauIfEEviPT_l, .Lfunc_end39-_ZN9rocsolver6v33100L6restauIfEEviPT_l
                                        ; -- End function
	.set _ZN9rocsolver6v33100L6restauIfEEviPT_l.num_vgpr, 3
	.set _ZN9rocsolver6v33100L6restauIfEEviPT_l.num_agpr, 0
	.set _ZN9rocsolver6v33100L6restauIfEEviPT_l.numbered_sgpr, 8
	.set _ZN9rocsolver6v33100L6restauIfEEviPT_l.num_named_barrier, 0
	.set _ZN9rocsolver6v33100L6restauIfEEviPT_l.private_seg_size, 0
	.set _ZN9rocsolver6v33100L6restauIfEEviPT_l.uses_vcc, 1
	.set _ZN9rocsolver6v33100L6restauIfEEviPT_l.uses_flat_scratch, 0
	.set _ZN9rocsolver6v33100L6restauIfEEviPT_l.has_dyn_sized_stack, 0
	.set _ZN9rocsolver6v33100L6restauIfEEviPT_l.has_recursion, 0
	.set _ZN9rocsolver6v33100L6restauIfEEviPT_l.has_indirect_call, 0
	.section	.AMDGPU.csdata,"",@progbits
; Kernel info:
; codeLenInByte = 144
; TotalNumSgprs: 12
; NumVgprs: 3
; ScratchSize: 0
; MemoryBound: 0
; FloatMode: 240
; IeeeMode: 1
; LDSByteSize: 0 bytes/workgroup (compile time only)
; SGPRBlocks: 1
; VGPRBlocks: 0
; NumSGPRsForWavesPerEU: 12
; NumVGPRsForWavesPerEU: 3
; Occupancy: 10
; WaveLimiterHint : 0
; COMPUTE_PGM_RSRC2:SCRATCH_EN: 0
; COMPUTE_PGM_RSRC2:USER_SGPR: 6
; COMPUTE_PGM_RSRC2:TRAP_HANDLER: 0
; COMPUTE_PGM_RSRC2:TGID_X_EN: 1
; COMPUTE_PGM_RSRC2:TGID_Y_EN: 1
; COMPUTE_PGM_RSRC2:TGID_Z_EN: 0
; COMPUTE_PGM_RSRC2:TIDIG_COMP_CNT: 0
	.section	.text._ZN9rocsolver6v33100L8set_zeroIfPfEEviiT0_iil13rocblas_fill_,"axG",@progbits,_ZN9rocsolver6v33100L8set_zeroIfPfEEviiT0_iil13rocblas_fill_,comdat
	.globl	_ZN9rocsolver6v33100L8set_zeroIfPfEEviiT0_iil13rocblas_fill_ ; -- Begin function _ZN9rocsolver6v33100L8set_zeroIfPfEEviiT0_iil13rocblas_fill_
	.p2align	8
	.type	_ZN9rocsolver6v33100L8set_zeroIfPfEEviiT0_iil13rocblas_fill_,@function
_ZN9rocsolver6v33100L8set_zeroIfPfEEviiT0_iil13rocblas_fill_: ; @_ZN9rocsolver6v33100L8set_zeroIfPfEEviiT0_iil13rocblas_fill_
; %bb.0:
	s_load_dword s2, s[4:5], 0x34
	s_load_dwordx2 s[0:1], s[4:5], 0x0
	s_waitcnt lgkmcnt(0)
	s_lshr_b32 s3, s2, 16
	s_and_b32 s2, s2, 0xffff
	s_mul_i32 s6, s6, s2
	s_mul_i32 s7, s7, s3
	v_add_u32_e32 v0, s6, v0
	v_add_u32_e32 v1, s7, v1
	v_cmp_gt_u32_e32 vcc, s0, v0
	v_cmp_gt_u32_e64 s[0:1], s1, v1
	s_and_b64 s[0:1], vcc, s[0:1]
	s_and_saveexec_b64 s[2:3], s[0:1]
	s_cbranch_execz .LBB40_12
; %bb.1:
	s_load_dword s6, s[4:5], 0x20
	s_waitcnt lgkmcnt(0)
	s_cmpk_lt_i32 s6, 0x7a
	s_cbranch_scc1 .LBB40_4
; %bb.2:
	s_cmpk_gt_i32 s6, 0x7a
	s_cbranch_scc0 .LBB40_5
; %bb.3:
	s_cmpk_eq_i32 s6, 0x7b
	s_cselect_b64 s[0:1], -1, 0
	s_cbranch_execz .LBB40_6
	s_branch .LBB40_7
.LBB40_4:
	s_mov_b64 s[0:1], 0
	s_cbranch_execnz .LBB40_8
	s_branch .LBB40_10
.LBB40_5:
	s_mov_b64 s[0:1], 0
.LBB40_6:
	v_cmp_gt_u32_e32 vcc, v1, v0
	s_andn2_b64 s[0:1], s[0:1], exec
	s_and_b64 s[2:3], vcc, exec
	s_or_b64 s[0:1], s[0:1], s[2:3]
.LBB40_7:
	s_branch .LBB40_10
.LBB40_8:
	s_cmpk_eq_i32 s6, 0x79
	s_cbranch_scc0 .LBB40_10
; %bb.9:
	v_cmp_gt_u32_e32 vcc, v0, v1
	s_andn2_b64 s[0:1], s[0:1], exec
	s_and_b64 s[2:3], vcc, exec
	s_or_b64 s[0:1], s[0:1], s[2:3]
.LBB40_10:
	s_and_b64 exec, exec, s[0:1]
	s_cbranch_execz .LBB40_12
; %bb.11:
	s_load_dwordx4 s[0:3], s[4:5], 0x8
	s_load_dwordx2 s[6:7], s[4:5], 0x18
	s_waitcnt lgkmcnt(0)
	s_ashr_i32 s5, s2, 31
	s_mov_b32 s4, s2
	s_mul_i32 s2, s7, s8
	s_mul_hi_u32 s7, s6, s8
	s_add_i32 s7, s7, s2
	s_mul_i32 s6, s6, s8
	v_mad_u64_u32 v[0:1], s[2:3], v1, s3, v[0:1]
	s_lshl_b64 s[6:7], s[6:7], 2
	s_add_u32 s6, s0, s6
	s_addc_u32 s7, s1, s7
	s_lshl_b64 s[0:1], s[4:5], 2
	v_mov_b32_e32 v1, 0
	s_add_u32 s0, s6, s0
	v_lshlrev_b64 v[2:3], 2, v[0:1]
	s_addc_u32 s1, s7, s1
	v_mov_b32_e32 v0, s1
	v_add_co_u32_e32 v2, vcc, s0, v2
	v_addc_co_u32_e32 v3, vcc, v0, v3, vcc
	global_store_dword v[2:3], v1, off
.LBB40_12:
	s_endpgm
	.section	.rodata,"a",@progbits
	.p2align	6, 0x0
	.amdhsa_kernel _ZN9rocsolver6v33100L8set_zeroIfPfEEviiT0_iil13rocblas_fill_
		.amdhsa_group_segment_fixed_size 0
		.amdhsa_private_segment_fixed_size 0
		.amdhsa_kernarg_size 296
		.amdhsa_user_sgpr_count 6
		.amdhsa_user_sgpr_private_segment_buffer 1
		.amdhsa_user_sgpr_dispatch_ptr 0
		.amdhsa_user_sgpr_queue_ptr 0
		.amdhsa_user_sgpr_kernarg_segment_ptr 1
		.amdhsa_user_sgpr_dispatch_id 0
		.amdhsa_user_sgpr_flat_scratch_init 0
		.amdhsa_user_sgpr_private_segment_size 0
		.amdhsa_uses_dynamic_stack 0
		.amdhsa_system_sgpr_private_segment_wavefront_offset 0
		.amdhsa_system_sgpr_workgroup_id_x 1
		.amdhsa_system_sgpr_workgroup_id_y 1
		.amdhsa_system_sgpr_workgroup_id_z 1
		.amdhsa_system_sgpr_workgroup_info 0
		.amdhsa_system_vgpr_workitem_id 1
		.amdhsa_next_free_vgpr 4
		.amdhsa_next_free_sgpr 9
		.amdhsa_reserve_vcc 1
		.amdhsa_reserve_flat_scratch 0
		.amdhsa_float_round_mode_32 0
		.amdhsa_float_round_mode_16_64 0
		.amdhsa_float_denorm_mode_32 3
		.amdhsa_float_denorm_mode_16_64 3
		.amdhsa_dx10_clamp 1
		.amdhsa_ieee_mode 1
		.amdhsa_fp16_overflow 0
		.amdhsa_exception_fp_ieee_invalid_op 0
		.amdhsa_exception_fp_denorm_src 0
		.amdhsa_exception_fp_ieee_div_zero 0
		.amdhsa_exception_fp_ieee_overflow 0
		.amdhsa_exception_fp_ieee_underflow 0
		.amdhsa_exception_fp_ieee_inexact 0
		.amdhsa_exception_int_div_zero 0
	.end_amdhsa_kernel
	.section	.text._ZN9rocsolver6v33100L8set_zeroIfPfEEviiT0_iil13rocblas_fill_,"axG",@progbits,_ZN9rocsolver6v33100L8set_zeroIfPfEEviiT0_iil13rocblas_fill_,comdat
.Lfunc_end40:
	.size	_ZN9rocsolver6v33100L8set_zeroIfPfEEviiT0_iil13rocblas_fill_, .Lfunc_end40-_ZN9rocsolver6v33100L8set_zeroIfPfEEviiT0_iil13rocblas_fill_
                                        ; -- End function
	.set _ZN9rocsolver6v33100L8set_zeroIfPfEEviiT0_iil13rocblas_fill_.num_vgpr, 4
	.set _ZN9rocsolver6v33100L8set_zeroIfPfEEviiT0_iil13rocblas_fill_.num_agpr, 0
	.set _ZN9rocsolver6v33100L8set_zeroIfPfEEviiT0_iil13rocblas_fill_.numbered_sgpr, 9
	.set _ZN9rocsolver6v33100L8set_zeroIfPfEEviiT0_iil13rocblas_fill_.num_named_barrier, 0
	.set _ZN9rocsolver6v33100L8set_zeroIfPfEEviiT0_iil13rocblas_fill_.private_seg_size, 0
	.set _ZN9rocsolver6v33100L8set_zeroIfPfEEviiT0_iil13rocblas_fill_.uses_vcc, 1
	.set _ZN9rocsolver6v33100L8set_zeroIfPfEEviiT0_iil13rocblas_fill_.uses_flat_scratch, 0
	.set _ZN9rocsolver6v33100L8set_zeroIfPfEEviiT0_iil13rocblas_fill_.has_dyn_sized_stack, 0
	.set _ZN9rocsolver6v33100L8set_zeroIfPfEEviiT0_iil13rocblas_fill_.has_recursion, 0
	.set _ZN9rocsolver6v33100L8set_zeroIfPfEEviiT0_iil13rocblas_fill_.has_indirect_call, 0
	.section	.AMDGPU.csdata,"",@progbits
; Kernel info:
; codeLenInByte = 296
; TotalNumSgprs: 13
; NumVgprs: 4
; ScratchSize: 0
; MemoryBound: 0
; FloatMode: 240
; IeeeMode: 1
; LDSByteSize: 0 bytes/workgroup (compile time only)
; SGPRBlocks: 1
; VGPRBlocks: 0
; NumSGPRsForWavesPerEU: 13
; NumVGPRsForWavesPerEU: 4
; Occupancy: 10
; WaveLimiterHint : 0
; COMPUTE_PGM_RSRC2:SCRATCH_EN: 0
; COMPUTE_PGM_RSRC2:USER_SGPR: 6
; COMPUTE_PGM_RSRC2:TRAP_HANDLER: 0
; COMPUTE_PGM_RSRC2:TGID_X_EN: 1
; COMPUTE_PGM_RSRC2:TGID_Y_EN: 1
; COMPUTE_PGM_RSRC2:TGID_Z_EN: 1
; COMPUTE_PGM_RSRC2:TIDIG_COMP_CNT: 1
	.section	.text._ZN9rocsolver6v33100L14copy_trans_matIffPfS2_NS0_7no_maskEEEv18rocblas_operation_iiT1_iilT2_iilT3_13rocblas_fill_17rocblas_diagonal_,"axG",@progbits,_ZN9rocsolver6v33100L14copy_trans_matIffPfS2_NS0_7no_maskEEEv18rocblas_operation_iiT1_iilT2_iilT3_13rocblas_fill_17rocblas_diagonal_,comdat
	.globl	_ZN9rocsolver6v33100L14copy_trans_matIffPfS2_NS0_7no_maskEEEv18rocblas_operation_iiT1_iilT2_iilT3_13rocblas_fill_17rocblas_diagonal_ ; -- Begin function _ZN9rocsolver6v33100L14copy_trans_matIffPfS2_NS0_7no_maskEEEv18rocblas_operation_iiT1_iilT2_iilT3_13rocblas_fill_17rocblas_diagonal_
	.p2align	8
	.type	_ZN9rocsolver6v33100L14copy_trans_matIffPfS2_NS0_7no_maskEEEv18rocblas_operation_iiT1_iilT2_iilT3_13rocblas_fill_17rocblas_diagonal_,@function
_ZN9rocsolver6v33100L14copy_trans_matIffPfS2_NS0_7no_maskEEEv18rocblas_operation_iiT1_iilT2_iilT3_13rocblas_fill_17rocblas_diagonal_: ; @_ZN9rocsolver6v33100L14copy_trans_matIffPfS2_NS0_7no_maskEEEv18rocblas_operation_iiT1_iilT2_iilT3_13rocblas_fill_17rocblas_diagonal_
; %bb.0:
	s_load_dword s0, s[4:5], 0x5c
	s_load_dwordx4 s[20:23], s[4:5], 0x0
	s_waitcnt lgkmcnt(0)
	s_lshr_b32 s1, s0, 16
	s_and_b32 s0, s0, 0xffff
	s_mul_i32 s7, s7, s1
	s_mul_i32 s6, s6, s0
	v_add_u32_e32 v1, s7, v1
	v_add_u32_e32 v0, s6, v0
	v_cmp_gt_u32_e32 vcc, s21, v0
	v_cmp_gt_u32_e64 s[0:1], s22, v1
	s_and_b64 s[0:1], s[0:1], vcc
	s_and_saveexec_b64 s[2:3], s[0:1]
	s_cbranch_execz .LBB41_24
; %bb.1:
	s_load_dwordx2 s[2:3], s[4:5], 0x44
	s_waitcnt lgkmcnt(0)
	s_cmpk_lt_i32 s2, 0x7a
	s_cbranch_scc1 .LBB41_4
; %bb.2:
	s_cmpk_gt_i32 s2, 0x7a
	s_cbranch_scc0 .LBB41_5
; %bb.3:
	s_cmpk_lg_i32 s2, 0x7b
	s_mov_b64 s[6:7], -1
	s_cselect_b64 s[10:11], -1, 0
	s_cbranch_execz .LBB41_6
	s_branch .LBB41_7
.LBB41_4:
	s_mov_b64 s[10:11], 0
	s_mov_b64 s[6:7], 0
	s_cbranch_execnz .LBB41_8
	s_branch .LBB41_10
.LBB41_5:
	s_mov_b64 s[6:7], 0
	s_mov_b64 s[10:11], 0
.LBB41_6:
	v_cmp_gt_u32_e32 vcc, v0, v1
	v_cmp_le_u32_e64 s[0:1], v0, v1
	s_andn2_b64 s[6:7], s[6:7], exec
	s_and_b64 s[12:13], vcc, exec
	s_andn2_b64 s[10:11], s[10:11], exec
	s_and_b64 s[0:1], s[0:1], exec
	s_or_b64 s[6:7], s[6:7], s[12:13]
	s_or_b64 s[10:11], s[10:11], s[0:1]
.LBB41_7:
	s_branch .LBB41_10
.LBB41_8:
	s_cmpk_eq_i32 s2, 0x79
	s_mov_b64 s[10:11], -1
	s_cbranch_scc0 .LBB41_10
; %bb.9:
	v_cmp_gt_u32_e32 vcc, v1, v0
	v_cmp_le_u32_e64 s[0:1], v1, v0
	s_andn2_b64 s[6:7], s[6:7], exec
	s_and_b64 s[10:11], vcc, exec
	s_or_b64 s[6:7], s[6:7], s[10:11]
	s_orn2_b64 s[10:11], s[0:1], exec
.LBB41_10:
	s_and_saveexec_b64 s[0:1], s[10:11]
; %bb.11:
	s_cmpk_eq_i32 s3, 0x83
	s_cselect_b64 s[2:3], -1, 0
	v_cmp_eq_u32_e32 vcc, v0, v1
	s_and_b64 s[2:3], s[2:3], vcc
	s_andn2_b64 s[6:7], s[6:7], exec
	s_and_b64 s[2:3], s[2:3], exec
	s_or_b64 s[6:7], s[6:7], s[2:3]
; %bb.12:
	s_or_b64 exec, exec, s[0:1]
	s_and_b64 exec, exec, s[6:7]
	s_cbranch_execz .LBB41_24
; %bb.13:
	s_load_dwordx8 s[12:19], s[4:5], 0x10
	s_waitcnt lgkmcnt(0)
	s_mul_i32 s3, s17, s8
	s_mul_hi_u32 s6, s16, s8
	s_mul_i32 s2, s16, s8
	s_add_i32 s3, s6, s3
	s_ashr_i32 s1, s14, 31
	s_lshl_b64 s[2:3], s[2:3], 2
	s_add_u32 s6, s12, s2
	s_addc_u32 s7, s13, s3
	v_mad_u64_u32 v[2:3], s[2:3], v1, s15, v[0:1]
	s_mov_b32 s0, s14
	s_lshl_b64 s[0:1], s[0:1], 2
	v_mov_b32_e32 v3, 0
	s_add_u32 s0, s6, s0
	v_lshlrev_b64 v[2:3], 2, v[2:3]
	s_addc_u32 s1, s7, s1
	v_mov_b32_e32 v4, s1
	v_add_co_u32_e32 v2, vcc, s0, v2
	v_addc_co_u32_e32 v3, vcc, v4, v3, vcc
	global_load_dword v4, v[2:3], off
	s_load_dwordx2 s[0:1], s[4:5], 0x30
	s_cmpk_lt_i32 s20, 0x71
	s_mov_b64 s[2:3], 0
	s_cbranch_scc1 .LBB41_16
; %bb.14:
	s_cmpk_eq_i32 s20, 0x71
	s_cbranch_scc0 .LBB41_17
; %bb.15:
	s_waitcnt lgkmcnt(0)
	v_mad_u64_u32 v[2:3], s[6:7], v0, s1, v[1:2]
	s_mov_b64 s[6:7], 0
	s_branch .LBB41_18
.LBB41_16:
                                        ; implicit-def: $vgpr2
	s_mov_b64 s[6:7], 0
	s_cbranch_execnz .LBB41_19
	s_branch .LBB41_20
.LBB41_17:
	s_mov_b64 s[6:7], -1
                                        ; implicit-def: $vgpr2
.LBB41_18:
	s_branch .LBB41_20
.LBB41_19:
	s_cmpk_lg_i32 s20, 0x70
	s_mov_b64 s[2:3], -1
	s_cselect_b64 s[6:7], -1, 0
.LBB41_20:
	s_andn2_b64 vcc, exec, s[6:7]
	s_cbranch_vccz .LBB41_25
; %bb.21:
	s_andn2_b64 vcc, exec, s[2:3]
	s_cbranch_vccnz .LBB41_23
.LBB41_22:
	s_waitcnt lgkmcnt(0)
	v_mad_u64_u32 v[2:3], s[2:3], v0, s1, v[1:2]
.LBB41_23:
	s_load_dwordx2 s[2:3], s[4:5], 0x38
	s_waitcnt lgkmcnt(0)
	s_ashr_i32 s1, s0, 31
	v_mov_b32_e32 v3, 0
	v_lshlrev_b64 v[0:1], 2, v[2:3]
	s_mul_i32 s3, s3, s8
	s_mul_hi_u32 s4, s2, s8
	s_mul_i32 s2, s2, s8
	s_add_i32 s3, s4, s3
	s_lshl_b64 s[2:3], s[2:3], 2
	s_add_u32 s2, s18, s2
	s_addc_u32 s3, s19, s3
	s_lshl_b64 s[0:1], s[0:1], 2
	s_add_u32 s0, s2, s0
	s_addc_u32 s1, s3, s1
	v_mov_b32_e32 v2, s1
	v_add_co_u32_e32 v0, vcc, s0, v0
	v_addc_co_u32_e32 v1, vcc, v2, v1, vcc
	s_waitcnt vmcnt(0)
	global_store_dword v[0:1], v4, off
.LBB41_24:
	s_endpgm
.LBB41_25:
	s_waitcnt lgkmcnt(0)
	v_mad_u64_u32 v[2:3], s[2:3], v1, s1, v[0:1]
	s_cbranch_execz .LBB41_22
	s_branch .LBB41_23
	.section	.rodata,"a",@progbits
	.p2align	6, 0x0
	.amdhsa_kernel _ZN9rocsolver6v33100L14copy_trans_matIffPfS2_NS0_7no_maskEEEv18rocblas_operation_iiT1_iilT2_iilT3_13rocblas_fill_17rocblas_diagonal_
		.amdhsa_group_segment_fixed_size 0
		.amdhsa_private_segment_fixed_size 0
		.amdhsa_kernarg_size 336
		.amdhsa_user_sgpr_count 6
		.amdhsa_user_sgpr_private_segment_buffer 1
		.amdhsa_user_sgpr_dispatch_ptr 0
		.amdhsa_user_sgpr_queue_ptr 0
		.amdhsa_user_sgpr_kernarg_segment_ptr 1
		.amdhsa_user_sgpr_dispatch_id 0
		.amdhsa_user_sgpr_flat_scratch_init 0
		.amdhsa_user_sgpr_private_segment_size 0
		.amdhsa_uses_dynamic_stack 0
		.amdhsa_system_sgpr_private_segment_wavefront_offset 0
		.amdhsa_system_sgpr_workgroup_id_x 1
		.amdhsa_system_sgpr_workgroup_id_y 1
		.amdhsa_system_sgpr_workgroup_id_z 1
		.amdhsa_system_sgpr_workgroup_info 0
		.amdhsa_system_vgpr_workitem_id 1
		.amdhsa_next_free_vgpr 5
		.amdhsa_next_free_sgpr 24
		.amdhsa_reserve_vcc 1
		.amdhsa_reserve_flat_scratch 0
		.amdhsa_float_round_mode_32 0
		.amdhsa_float_round_mode_16_64 0
		.amdhsa_float_denorm_mode_32 3
		.amdhsa_float_denorm_mode_16_64 3
		.amdhsa_dx10_clamp 1
		.amdhsa_ieee_mode 1
		.amdhsa_fp16_overflow 0
		.amdhsa_exception_fp_ieee_invalid_op 0
		.amdhsa_exception_fp_denorm_src 0
		.amdhsa_exception_fp_ieee_div_zero 0
		.amdhsa_exception_fp_ieee_overflow 0
		.amdhsa_exception_fp_ieee_underflow 0
		.amdhsa_exception_fp_ieee_inexact 0
		.amdhsa_exception_int_div_zero 0
	.end_amdhsa_kernel
	.section	.text._ZN9rocsolver6v33100L14copy_trans_matIffPfS2_NS0_7no_maskEEEv18rocblas_operation_iiT1_iilT2_iilT3_13rocblas_fill_17rocblas_diagonal_,"axG",@progbits,_ZN9rocsolver6v33100L14copy_trans_matIffPfS2_NS0_7no_maskEEEv18rocblas_operation_iiT1_iilT2_iilT3_13rocblas_fill_17rocblas_diagonal_,comdat
.Lfunc_end41:
	.size	_ZN9rocsolver6v33100L14copy_trans_matIffPfS2_NS0_7no_maskEEEv18rocblas_operation_iiT1_iilT2_iilT3_13rocblas_fill_17rocblas_diagonal_, .Lfunc_end41-_ZN9rocsolver6v33100L14copy_trans_matIffPfS2_NS0_7no_maskEEEv18rocblas_operation_iiT1_iilT2_iilT3_13rocblas_fill_17rocblas_diagonal_
                                        ; -- End function
	.set _ZN9rocsolver6v33100L14copy_trans_matIffPfS2_NS0_7no_maskEEEv18rocblas_operation_iiT1_iilT2_iilT3_13rocblas_fill_17rocblas_diagonal_.num_vgpr, 5
	.set _ZN9rocsolver6v33100L14copy_trans_matIffPfS2_NS0_7no_maskEEEv18rocblas_operation_iiT1_iilT2_iilT3_13rocblas_fill_17rocblas_diagonal_.num_agpr, 0
	.set _ZN9rocsolver6v33100L14copy_trans_matIffPfS2_NS0_7no_maskEEEv18rocblas_operation_iiT1_iilT2_iilT3_13rocblas_fill_17rocblas_diagonal_.numbered_sgpr, 24
	.set _ZN9rocsolver6v33100L14copy_trans_matIffPfS2_NS0_7no_maskEEEv18rocblas_operation_iiT1_iilT2_iilT3_13rocblas_fill_17rocblas_diagonal_.num_named_barrier, 0
	.set _ZN9rocsolver6v33100L14copy_trans_matIffPfS2_NS0_7no_maskEEEv18rocblas_operation_iiT1_iilT2_iilT3_13rocblas_fill_17rocblas_diagonal_.private_seg_size, 0
	.set _ZN9rocsolver6v33100L14copy_trans_matIffPfS2_NS0_7no_maskEEEv18rocblas_operation_iiT1_iilT2_iilT3_13rocblas_fill_17rocblas_diagonal_.uses_vcc, 1
	.set _ZN9rocsolver6v33100L14copy_trans_matIffPfS2_NS0_7no_maskEEEv18rocblas_operation_iiT1_iilT2_iilT3_13rocblas_fill_17rocblas_diagonal_.uses_flat_scratch, 0
	.set _ZN9rocsolver6v33100L14copy_trans_matIffPfS2_NS0_7no_maskEEEv18rocblas_operation_iiT1_iilT2_iilT3_13rocblas_fill_17rocblas_diagonal_.has_dyn_sized_stack, 0
	.set _ZN9rocsolver6v33100L14copy_trans_matIffPfS2_NS0_7no_maskEEEv18rocblas_operation_iiT1_iilT2_iilT3_13rocblas_fill_17rocblas_diagonal_.has_recursion, 0
	.set _ZN9rocsolver6v33100L14copy_trans_matIffPfS2_NS0_7no_maskEEEv18rocblas_operation_iiT1_iilT2_iilT3_13rocblas_fill_17rocblas_diagonal_.has_indirect_call, 0
	.section	.AMDGPU.csdata,"",@progbits
; Kernel info:
; codeLenInByte = 592
; TotalNumSgprs: 28
; NumVgprs: 5
; ScratchSize: 0
; MemoryBound: 0
; FloatMode: 240
; IeeeMode: 1
; LDSByteSize: 0 bytes/workgroup (compile time only)
; SGPRBlocks: 3
; VGPRBlocks: 1
; NumSGPRsForWavesPerEU: 28
; NumVGPRsForWavesPerEU: 5
; Occupancy: 10
; WaveLimiterHint : 0
; COMPUTE_PGM_RSRC2:SCRATCH_EN: 0
; COMPUTE_PGM_RSRC2:USER_SGPR: 6
; COMPUTE_PGM_RSRC2:TRAP_HANDLER: 0
; COMPUTE_PGM_RSRC2:TGID_X_EN: 1
; COMPUTE_PGM_RSRC2:TGID_Y_EN: 1
; COMPUTE_PGM_RSRC2:TGID_Z_EN: 1
; COMPUTE_PGM_RSRC2:TIDIG_COMP_CNT: 1
	.section	.text._ZN9rocsolver6v33100L16orgl2_init_identIfPfEEviiiT0_iil,"axG",@progbits,_ZN9rocsolver6v33100L16orgl2_init_identIfPfEEviiiT0_iil,comdat
	.globl	_ZN9rocsolver6v33100L16orgl2_init_identIfPfEEviiiT0_iil ; -- Begin function _ZN9rocsolver6v33100L16orgl2_init_identIfPfEEviiiT0_iil
	.p2align	8
	.type	_ZN9rocsolver6v33100L16orgl2_init_identIfPfEEviiiT0_iil,@function
_ZN9rocsolver6v33100L16orgl2_init_identIfPfEEviiiT0_iil: ; @_ZN9rocsolver6v33100L16orgl2_init_identIfPfEEviiiT0_iil
; %bb.0:
	s_load_dword s9, s[4:5], 0x34
	s_load_dwordx4 s[0:3], s[4:5], 0x0
	s_waitcnt lgkmcnt(0)
	s_lshr_b32 s3, s9, 16
	s_and_b32 s9, s9, 0xffff
	s_mul_i32 s7, s7, s3
	s_mul_i32 s6, s6, s9
	v_add_u32_e32 v1, s7, v1
	v_add_u32_e32 v2, s6, v0
	v_cmp_gt_u32_e32 vcc, s0, v2
	v_cmp_gt_u32_e64 s[0:1], s1, v1
	s_and_b64 s[0:1], vcc, s[0:1]
	s_and_saveexec_b64 s[6:7], s[0:1]
	s_cbranch_execz .LBB42_5
; %bb.1:
	s_load_dwordx2 s[0:1], s[4:5], 0x18
	v_cmp_ne_u32_e32 vcc, v2, v1
	s_mov_b64 s[10:11], 0
                                        ; implicit-def: $vgpr0
	s_and_saveexec_b64 s[6:7], vcc
	s_xor_b64 s[6:7], exec, s[6:7]
	s_cbranch_execnz .LBB42_6
; %bb.2:
	s_or_saveexec_b64 s[2:3], s[6:7]
	v_mov_b32_e32 v2, 0
	s_xor_b64 exec, exec, s[2:3]
	s_cbranch_execnz .LBB42_13
.LBB42_3:
	s_or_b64 exec, exec, s[2:3]
	s_and_b64 exec, exec, s[10:11]
	s_cbranch_execz .LBB42_5
.LBB42_4:
	s_load_dwordx2 s[2:3], s[4:5], 0x20
	s_load_dwordx2 s[6:7], s[4:5], 0x10
	s_waitcnt lgkmcnt(0)
	s_ashr_i32 s1, s0, 31
	v_mov_b32_e32 v1, 0
	v_lshlrev_b64 v[0:1], 2, v[0:1]
	s_mul_i32 s3, s3, s8
	s_mul_hi_u32 s4, s2, s8
	s_mul_i32 s2, s2, s8
	s_add_i32 s3, s4, s3
	s_lshl_b64 s[2:3], s[2:3], 2
	s_add_u32 s2, s6, s2
	s_addc_u32 s3, s7, s3
	s_lshl_b64 s[0:1], s[0:1], 2
	s_add_u32 s0, s2, s0
	s_addc_u32 s1, s3, s1
	v_mov_b32_e32 v3, s1
	v_add_co_u32_e32 v0, vcc, s0, v0
	v_addc_co_u32_e32 v1, vcc, v3, v1, vcc
	global_store_dword v[0:1], v2, off
.LBB42_5:
	s_endpgm
.LBB42_6:
	v_cmp_ge_u32_e32 vcc, v1, v2
                                        ; implicit-def: $vgpr0
	s_and_saveexec_b64 s[12:13], vcc
	s_xor_b64 s[12:13], exec, s[12:13]
	s_cbranch_execz .LBB42_10
; %bb.7:
	v_cmp_le_u32_e32 vcc, s2, v2
	s_mov_b64 s[2:3], 0
                                        ; implicit-def: $vgpr0
	s_and_saveexec_b64 s[10:11], vcc
	s_xor_b64 s[10:11], exec, s[10:11]
	s_cbranch_execz .LBB42_9
; %bb.8:
	s_waitcnt lgkmcnt(0)
	v_mad_u64_u32 v[0:1], s[14:15], v1, s1, v[2:3]
	s_mov_b64 s[2:3], exec
.LBB42_9:
	s_or_b64 exec, exec, s[10:11]
	s_and_b64 s[10:11], s[2:3], exec
                                        ; implicit-def: $vgpr2
                                        ; implicit-def: $vgpr1
.LBB42_10:
	s_andn2_saveexec_b64 s[2:3], s[12:13]
	s_cbranch_execz .LBB42_12
; %bb.11:
	s_waitcnt lgkmcnt(0)
	v_mad_u64_u32 v[0:1], s[12:13], v1, s1, v[2:3]
	s_or_b64 s[10:11], s[10:11], exec
.LBB42_12:
	s_or_b64 exec, exec, s[2:3]
	s_and_b64 s[10:11], s[10:11], exec
                                        ; implicit-def: $vgpr1
	s_or_saveexec_b64 s[2:3], s[6:7]
	v_mov_b32_e32 v2, 0
	s_xor_b64 exec, exec, s[2:3]
	s_cbranch_execz .LBB42_3
.LBB42_13:
	s_waitcnt lgkmcnt(0)
	v_mad_u64_u32 v[0:1], s[6:7], v1, s1, v[1:2]
	v_mov_b32_e32 v2, 1.0
	s_or_b64 s[10:11], s[10:11], exec
	s_or_b64 exec, exec, s[2:3]
	s_and_b64 exec, exec, s[10:11]
	s_cbranch_execnz .LBB42_4
	s_branch .LBB42_5
	.section	.rodata,"a",@progbits
	.p2align	6, 0x0
	.amdhsa_kernel _ZN9rocsolver6v33100L16orgl2_init_identIfPfEEviiiT0_iil
		.amdhsa_group_segment_fixed_size 0
		.amdhsa_private_segment_fixed_size 0
		.amdhsa_kernarg_size 296
		.amdhsa_user_sgpr_count 6
		.amdhsa_user_sgpr_private_segment_buffer 1
		.amdhsa_user_sgpr_dispatch_ptr 0
		.amdhsa_user_sgpr_queue_ptr 0
		.amdhsa_user_sgpr_kernarg_segment_ptr 1
		.amdhsa_user_sgpr_dispatch_id 0
		.amdhsa_user_sgpr_flat_scratch_init 0
		.amdhsa_user_sgpr_private_segment_size 0
		.amdhsa_uses_dynamic_stack 0
		.amdhsa_system_sgpr_private_segment_wavefront_offset 0
		.amdhsa_system_sgpr_workgroup_id_x 1
		.amdhsa_system_sgpr_workgroup_id_y 1
		.amdhsa_system_sgpr_workgroup_id_z 1
		.amdhsa_system_sgpr_workgroup_info 0
		.amdhsa_system_vgpr_workitem_id 1
		.amdhsa_next_free_vgpr 4
		.amdhsa_next_free_sgpr 16
		.amdhsa_reserve_vcc 1
		.amdhsa_reserve_flat_scratch 0
		.amdhsa_float_round_mode_32 0
		.amdhsa_float_round_mode_16_64 0
		.amdhsa_float_denorm_mode_32 3
		.amdhsa_float_denorm_mode_16_64 3
		.amdhsa_dx10_clamp 1
		.amdhsa_ieee_mode 1
		.amdhsa_fp16_overflow 0
		.amdhsa_exception_fp_ieee_invalid_op 0
		.amdhsa_exception_fp_denorm_src 0
		.amdhsa_exception_fp_ieee_div_zero 0
		.amdhsa_exception_fp_ieee_overflow 0
		.amdhsa_exception_fp_ieee_underflow 0
		.amdhsa_exception_fp_ieee_inexact 0
		.amdhsa_exception_int_div_zero 0
	.end_amdhsa_kernel
	.section	.text._ZN9rocsolver6v33100L16orgl2_init_identIfPfEEviiiT0_iil,"axG",@progbits,_ZN9rocsolver6v33100L16orgl2_init_identIfPfEEviiiT0_iil,comdat
.Lfunc_end42:
	.size	_ZN9rocsolver6v33100L16orgl2_init_identIfPfEEviiiT0_iil, .Lfunc_end42-_ZN9rocsolver6v33100L16orgl2_init_identIfPfEEviiiT0_iil
                                        ; -- End function
	.set _ZN9rocsolver6v33100L16orgl2_init_identIfPfEEviiiT0_iil.num_vgpr, 4
	.set _ZN9rocsolver6v33100L16orgl2_init_identIfPfEEviiiT0_iil.num_agpr, 0
	.set _ZN9rocsolver6v33100L16orgl2_init_identIfPfEEviiiT0_iil.numbered_sgpr, 16
	.set _ZN9rocsolver6v33100L16orgl2_init_identIfPfEEviiiT0_iil.num_named_barrier, 0
	.set _ZN9rocsolver6v33100L16orgl2_init_identIfPfEEviiiT0_iil.private_seg_size, 0
	.set _ZN9rocsolver6v33100L16orgl2_init_identIfPfEEviiiT0_iil.uses_vcc, 1
	.set _ZN9rocsolver6v33100L16orgl2_init_identIfPfEEviiiT0_iil.uses_flat_scratch, 0
	.set _ZN9rocsolver6v33100L16orgl2_init_identIfPfEEviiiT0_iil.has_dyn_sized_stack, 0
	.set _ZN9rocsolver6v33100L16orgl2_init_identIfPfEEviiiT0_iil.has_recursion, 0
	.set _ZN9rocsolver6v33100L16orgl2_init_identIfPfEEviiiT0_iil.has_indirect_call, 0
	.section	.AMDGPU.csdata,"",@progbits
; Kernel info:
; codeLenInByte = 372
; TotalNumSgprs: 20
; NumVgprs: 4
; ScratchSize: 0
; MemoryBound: 0
; FloatMode: 240
; IeeeMode: 1
; LDSByteSize: 0 bytes/workgroup (compile time only)
; SGPRBlocks: 2
; VGPRBlocks: 0
; NumSGPRsForWavesPerEU: 20
; NumVGPRsForWavesPerEU: 4
; Occupancy: 10
; WaveLimiterHint : 0
; COMPUTE_PGM_RSRC2:SCRATCH_EN: 0
; COMPUTE_PGM_RSRC2:USER_SGPR: 6
; COMPUTE_PGM_RSRC2:TRAP_HANDLER: 0
; COMPUTE_PGM_RSRC2:TGID_X_EN: 1
; COMPUTE_PGM_RSRC2:TGID_Y_EN: 1
; COMPUTE_PGM_RSRC2:TGID_Z_EN: 1
; COMPUTE_PGM_RSRC2:TIDIG_COMP_CNT: 1
	.section	.text._ZN9rocsolver6v33100L6iota_nIdEEvPT_jS2_,"axG",@progbits,_ZN9rocsolver6v33100L6iota_nIdEEvPT_jS2_,comdat
	.globl	_ZN9rocsolver6v33100L6iota_nIdEEvPT_jS2_ ; -- Begin function _ZN9rocsolver6v33100L6iota_nIdEEvPT_jS2_
	.p2align	8
	.type	_ZN9rocsolver6v33100L6iota_nIdEEvPT_jS2_,@function
_ZN9rocsolver6v33100L6iota_nIdEEvPT_jS2_: ; @_ZN9rocsolver6v33100L6iota_nIdEEvPT_jS2_
; %bb.0:
	s_load_dword s0, s[4:5], 0x8
	s_waitcnt lgkmcnt(0)
	v_cmp_gt_u32_e32 vcc, s0, v0
	s_and_saveexec_b64 s[0:1], vcc
	s_cbranch_execz .LBB43_2
; %bb.1:
	s_load_dwordx2 s[0:1], s[4:5], 0x10
	v_cvt_f64_u32_e32 v[1:2], v0
	v_lshlrev_b32_e32 v0, 3, v0
	s_waitcnt lgkmcnt(0)
	v_add_f64 v[1:2], s[0:1], v[1:2]
	s_load_dwordx2 s[0:1], s[4:5], 0x0
	s_waitcnt lgkmcnt(0)
	global_store_dwordx2 v0, v[1:2], s[0:1]
.LBB43_2:
	s_endpgm
	.section	.rodata,"a",@progbits
	.p2align	6, 0x0
	.amdhsa_kernel _ZN9rocsolver6v33100L6iota_nIdEEvPT_jS2_
		.amdhsa_group_segment_fixed_size 0
		.amdhsa_private_segment_fixed_size 0
		.amdhsa_kernarg_size 24
		.amdhsa_user_sgpr_count 6
		.amdhsa_user_sgpr_private_segment_buffer 1
		.amdhsa_user_sgpr_dispatch_ptr 0
		.amdhsa_user_sgpr_queue_ptr 0
		.amdhsa_user_sgpr_kernarg_segment_ptr 1
		.amdhsa_user_sgpr_dispatch_id 0
		.amdhsa_user_sgpr_flat_scratch_init 0
		.amdhsa_user_sgpr_private_segment_size 0
		.amdhsa_uses_dynamic_stack 0
		.amdhsa_system_sgpr_private_segment_wavefront_offset 0
		.amdhsa_system_sgpr_workgroup_id_x 1
		.amdhsa_system_sgpr_workgroup_id_y 0
		.amdhsa_system_sgpr_workgroup_id_z 0
		.amdhsa_system_sgpr_workgroup_info 0
		.amdhsa_system_vgpr_workitem_id 0
		.amdhsa_next_free_vgpr 3
		.amdhsa_next_free_sgpr 6
		.amdhsa_reserve_vcc 1
		.amdhsa_reserve_flat_scratch 0
		.amdhsa_float_round_mode_32 0
		.amdhsa_float_round_mode_16_64 0
		.amdhsa_float_denorm_mode_32 3
		.amdhsa_float_denorm_mode_16_64 3
		.amdhsa_dx10_clamp 1
		.amdhsa_ieee_mode 1
		.amdhsa_fp16_overflow 0
		.amdhsa_exception_fp_ieee_invalid_op 0
		.amdhsa_exception_fp_denorm_src 0
		.amdhsa_exception_fp_ieee_div_zero 0
		.amdhsa_exception_fp_ieee_overflow 0
		.amdhsa_exception_fp_ieee_underflow 0
		.amdhsa_exception_fp_ieee_inexact 0
		.amdhsa_exception_int_div_zero 0
	.end_amdhsa_kernel
	.section	.text._ZN9rocsolver6v33100L6iota_nIdEEvPT_jS2_,"axG",@progbits,_ZN9rocsolver6v33100L6iota_nIdEEvPT_jS2_,comdat
.Lfunc_end43:
	.size	_ZN9rocsolver6v33100L6iota_nIdEEvPT_jS2_, .Lfunc_end43-_ZN9rocsolver6v33100L6iota_nIdEEvPT_jS2_
                                        ; -- End function
	.set _ZN9rocsolver6v33100L6iota_nIdEEvPT_jS2_.num_vgpr, 3
	.set _ZN9rocsolver6v33100L6iota_nIdEEvPT_jS2_.num_agpr, 0
	.set _ZN9rocsolver6v33100L6iota_nIdEEvPT_jS2_.numbered_sgpr, 6
	.set _ZN9rocsolver6v33100L6iota_nIdEEvPT_jS2_.num_named_barrier, 0
	.set _ZN9rocsolver6v33100L6iota_nIdEEvPT_jS2_.private_seg_size, 0
	.set _ZN9rocsolver6v33100L6iota_nIdEEvPT_jS2_.uses_vcc, 1
	.set _ZN9rocsolver6v33100L6iota_nIdEEvPT_jS2_.uses_flat_scratch, 0
	.set _ZN9rocsolver6v33100L6iota_nIdEEvPT_jS2_.has_dyn_sized_stack, 0
	.set _ZN9rocsolver6v33100L6iota_nIdEEvPT_jS2_.has_recursion, 0
	.set _ZN9rocsolver6v33100L6iota_nIdEEvPT_jS2_.has_indirect_call, 0
	.section	.AMDGPU.csdata,"",@progbits
; Kernel info:
; codeLenInByte = 76
; TotalNumSgprs: 10
; NumVgprs: 3
; ScratchSize: 0
; MemoryBound: 0
; FloatMode: 240
; IeeeMode: 1
; LDSByteSize: 0 bytes/workgroup (compile time only)
; SGPRBlocks: 1
; VGPRBlocks: 0
; NumSGPRsForWavesPerEU: 10
; NumVGPRsForWavesPerEU: 3
; Occupancy: 10
; WaveLimiterHint : 0
; COMPUTE_PGM_RSRC2:SCRATCH_EN: 0
; COMPUTE_PGM_RSRC2:USER_SGPR: 6
; COMPUTE_PGM_RSRC2:TRAP_HANDLER: 0
; COMPUTE_PGM_RSRC2:TGID_X_EN: 1
; COMPUTE_PGM_RSRC2:TGID_Y_EN: 0
; COMPUTE_PGM_RSRC2:TGID_Z_EN: 0
; COMPUTE_PGM_RSRC2:TIDIG_COMP_CNT: 0
	.section	.text._ZN9rocsolver6v33100L10reset_infoIdiiEEvPT_T0_T1_S4_,"axG",@progbits,_ZN9rocsolver6v33100L10reset_infoIdiiEEvPT_T0_T1_S4_,comdat
	.globl	_ZN9rocsolver6v33100L10reset_infoIdiiEEvPT_T0_T1_S4_ ; -- Begin function _ZN9rocsolver6v33100L10reset_infoIdiiEEvPT_T0_T1_S4_
	.p2align	8
	.type	_ZN9rocsolver6v33100L10reset_infoIdiiEEvPT_T0_T1_S4_,@function
_ZN9rocsolver6v33100L10reset_infoIdiiEEvPT_T0_T1_S4_: ; @_ZN9rocsolver6v33100L10reset_infoIdiiEEvPT_T0_T1_S4_
; %bb.0:
	s_load_dword s7, s[4:5], 0x24
	s_load_dwordx4 s[0:3], s[4:5], 0x8
	s_waitcnt lgkmcnt(0)
	s_and_b32 s3, s7, 0xffff
	s_mul_i32 s6, s6, s3
	v_add_u32_e32 v0, s6, v0
	v_cmp_gt_i32_e32 vcc, s0, v0
	s_and_saveexec_b64 s[6:7], vcc
	s_cbranch_execz .LBB44_2
; %bb.1:
	v_mul_lo_u32 v3, v0, s2
	v_cvt_f64_i32_e32 v[1:2], s1
	s_load_dwordx2 s[0:1], s[4:5], 0x0
	v_cvt_f64_i32_e32 v[3:4], v3
	v_add_f64 v[2:3], v[1:2], v[3:4]
	v_ashrrev_i32_e32 v1, 31, v0
	v_lshlrev_b64 v[0:1], 3, v[0:1]
	s_waitcnt lgkmcnt(0)
	v_mov_b32_e32 v4, s1
	v_add_co_u32_e32 v0, vcc, s0, v0
	v_addc_co_u32_e32 v1, vcc, v4, v1, vcc
	global_store_dwordx2 v[0:1], v[2:3], off
.LBB44_2:
	s_endpgm
	.section	.rodata,"a",@progbits
	.p2align	6, 0x0
	.amdhsa_kernel _ZN9rocsolver6v33100L10reset_infoIdiiEEvPT_T0_T1_S4_
		.amdhsa_group_segment_fixed_size 0
		.amdhsa_private_segment_fixed_size 0
		.amdhsa_kernarg_size 280
		.amdhsa_user_sgpr_count 6
		.amdhsa_user_sgpr_private_segment_buffer 1
		.amdhsa_user_sgpr_dispatch_ptr 0
		.amdhsa_user_sgpr_queue_ptr 0
		.amdhsa_user_sgpr_kernarg_segment_ptr 1
		.amdhsa_user_sgpr_dispatch_id 0
		.amdhsa_user_sgpr_flat_scratch_init 0
		.amdhsa_user_sgpr_private_segment_size 0
		.amdhsa_uses_dynamic_stack 0
		.amdhsa_system_sgpr_private_segment_wavefront_offset 0
		.amdhsa_system_sgpr_workgroup_id_x 1
		.amdhsa_system_sgpr_workgroup_id_y 0
		.amdhsa_system_sgpr_workgroup_id_z 0
		.amdhsa_system_sgpr_workgroup_info 0
		.amdhsa_system_vgpr_workitem_id 0
		.amdhsa_next_free_vgpr 5
		.amdhsa_next_free_sgpr 8
		.amdhsa_reserve_vcc 1
		.amdhsa_reserve_flat_scratch 0
		.amdhsa_float_round_mode_32 0
		.amdhsa_float_round_mode_16_64 0
		.amdhsa_float_denorm_mode_32 3
		.amdhsa_float_denorm_mode_16_64 3
		.amdhsa_dx10_clamp 1
		.amdhsa_ieee_mode 1
		.amdhsa_fp16_overflow 0
		.amdhsa_exception_fp_ieee_invalid_op 0
		.amdhsa_exception_fp_denorm_src 0
		.amdhsa_exception_fp_ieee_div_zero 0
		.amdhsa_exception_fp_ieee_overflow 0
		.amdhsa_exception_fp_ieee_underflow 0
		.amdhsa_exception_fp_ieee_inexact 0
		.amdhsa_exception_int_div_zero 0
	.end_amdhsa_kernel
	.section	.text._ZN9rocsolver6v33100L10reset_infoIdiiEEvPT_T0_T1_S4_,"axG",@progbits,_ZN9rocsolver6v33100L10reset_infoIdiiEEvPT_T0_T1_S4_,comdat
.Lfunc_end44:
	.size	_ZN9rocsolver6v33100L10reset_infoIdiiEEvPT_T0_T1_S4_, .Lfunc_end44-_ZN9rocsolver6v33100L10reset_infoIdiiEEvPT_T0_T1_S4_
                                        ; -- End function
	.set _ZN9rocsolver6v33100L10reset_infoIdiiEEvPT_T0_T1_S4_.num_vgpr, 5
	.set _ZN9rocsolver6v33100L10reset_infoIdiiEEvPT_T0_T1_S4_.num_agpr, 0
	.set _ZN9rocsolver6v33100L10reset_infoIdiiEEvPT_T0_T1_S4_.numbered_sgpr, 8
	.set _ZN9rocsolver6v33100L10reset_infoIdiiEEvPT_T0_T1_S4_.num_named_barrier, 0
	.set _ZN9rocsolver6v33100L10reset_infoIdiiEEvPT_T0_T1_S4_.private_seg_size, 0
	.set _ZN9rocsolver6v33100L10reset_infoIdiiEEvPT_T0_T1_S4_.uses_vcc, 1
	.set _ZN9rocsolver6v33100L10reset_infoIdiiEEvPT_T0_T1_S4_.uses_flat_scratch, 0
	.set _ZN9rocsolver6v33100L10reset_infoIdiiEEvPT_T0_T1_S4_.has_dyn_sized_stack, 0
	.set _ZN9rocsolver6v33100L10reset_infoIdiiEEvPT_T0_T1_S4_.has_recursion, 0
	.set _ZN9rocsolver6v33100L10reset_infoIdiiEEvPT_T0_T1_S4_.has_indirect_call, 0
	.section	.AMDGPU.csdata,"",@progbits
; Kernel info:
; codeLenInByte = 120
; TotalNumSgprs: 12
; NumVgprs: 5
; ScratchSize: 0
; MemoryBound: 0
; FloatMode: 240
; IeeeMode: 1
; LDSByteSize: 0 bytes/workgroup (compile time only)
; SGPRBlocks: 1
; VGPRBlocks: 1
; NumSGPRsForWavesPerEU: 12
; NumVGPRsForWavesPerEU: 5
; Occupancy: 10
; WaveLimiterHint : 0
; COMPUTE_PGM_RSRC2:SCRATCH_EN: 0
; COMPUTE_PGM_RSRC2:USER_SGPR: 6
; COMPUTE_PGM_RSRC2:TRAP_HANDLER: 0
; COMPUTE_PGM_RSRC2:TGID_X_EN: 1
; COMPUTE_PGM_RSRC2:TGID_Y_EN: 0
; COMPUTE_PGM_RSRC2:TGID_Z_EN: 0
; COMPUTE_PGM_RSRC2:TIDIG_COMP_CNT: 0
	.section	.text._ZN9rocsolver6v33100L16syev_scalar_caseIdPdTnNSt9enable_ifIXnt18rocblas_is_complexIT_EEiE4typeELi0EEEv14rocblas_evect_T0_lPS4_li,"axG",@progbits,_ZN9rocsolver6v33100L16syev_scalar_caseIdPdTnNSt9enable_ifIXnt18rocblas_is_complexIT_EEiE4typeELi0EEEv14rocblas_evect_T0_lPS4_li,comdat
	.globl	_ZN9rocsolver6v33100L16syev_scalar_caseIdPdTnNSt9enable_ifIXnt18rocblas_is_complexIT_EEiE4typeELi0EEEv14rocblas_evect_T0_lPS4_li ; -- Begin function _ZN9rocsolver6v33100L16syev_scalar_caseIdPdTnNSt9enable_ifIXnt18rocblas_is_complexIT_EEiE4typeELi0EEEv14rocblas_evect_T0_lPS4_li
	.p2align	8
	.type	_ZN9rocsolver6v33100L16syev_scalar_caseIdPdTnNSt9enable_ifIXnt18rocblas_is_complexIT_EEiE4typeELi0EEEv14rocblas_evect_T0_lPS4_li,@function
_ZN9rocsolver6v33100L16syev_scalar_caseIdPdTnNSt9enable_ifIXnt18rocblas_is_complexIT_EEiE4typeELi0EEEv14rocblas_evect_T0_lPS4_li: ; @_ZN9rocsolver6v33100L16syev_scalar_caseIdPdTnNSt9enable_ifIXnt18rocblas_is_complexIT_EEiE4typeELi0EEEv14rocblas_evect_T0_lPS4_li
; %bb.0:
	s_load_dword s0, s[4:5], 0x3c
	s_load_dword s1, s[4:5], 0x28
	s_waitcnt lgkmcnt(0)
	s_and_b32 s0, s0, 0xffff
	s_mul_i32 s6, s6, s0
	v_add_u32_e32 v2, s6, v0
	v_cmp_gt_i32_e32 vcc, s1, v2
	s_and_saveexec_b64 s[0:1], vcc
	s_cbranch_execz .LBB45_3
; %bb.1:
	s_load_dwordx8 s[8:15], s[4:5], 0x8
	v_ashrrev_i32_e32 v5, 31, v2
	s_waitcnt lgkmcnt(0)
	v_mul_lo_u32 v3, s11, v2
	v_mul_lo_u32 v4, s10, v5
	v_mad_u64_u32 v[0:1], s[0:1], s10, v2, 0
	v_mov_b32_e32 v6, s9
	v_mul_lo_u32 v7, s15, v2
	v_add3_u32 v1, v1, v4, v3
	v_lshlrev_b64 v[0:1], 3, v[0:1]
	v_mul_lo_u32 v8, s14, v5
	v_add_co_u32_e32 v0, vcc, s8, v0
	v_addc_co_u32_e32 v1, vcc, v6, v1, vcc
	global_load_dwordx2 v[3:4], v[0:1], off
	v_mad_u64_u32 v[5:6], s[0:1], s14, v2, 0
	s_load_dword s0, s[4:5], 0x0
	v_mov_b32_e32 v2, s13
	v_add3_u32 v6, v6, v8, v7
	v_lshlrev_b64 v[5:6], 3, v[5:6]
	v_add_co_u32_e32 v5, vcc, s12, v5
	v_addc_co_u32_e32 v6, vcc, v2, v6, vcc
	s_waitcnt lgkmcnt(0)
	s_cmpk_lg_i32 s0, 0xd3
	s_waitcnt vmcnt(0)
	global_store_dwordx2 v[5:6], v[3:4], off
	s_cbranch_scc1 .LBB45_3
; %bb.2:
	v_mov_b32_e32 v2, 0
	v_mov_b32_e32 v3, 0x3ff00000
	global_store_dwordx2 v[0:1], v[2:3], off
.LBB45_3:
	s_endpgm
	.section	.rodata,"a",@progbits
	.p2align	6, 0x0
	.amdhsa_kernel _ZN9rocsolver6v33100L16syev_scalar_caseIdPdTnNSt9enable_ifIXnt18rocblas_is_complexIT_EEiE4typeELi0EEEv14rocblas_evect_T0_lPS4_li
		.amdhsa_group_segment_fixed_size 0
		.amdhsa_private_segment_fixed_size 0
		.amdhsa_kernarg_size 304
		.amdhsa_user_sgpr_count 6
		.amdhsa_user_sgpr_private_segment_buffer 1
		.amdhsa_user_sgpr_dispatch_ptr 0
		.amdhsa_user_sgpr_queue_ptr 0
		.amdhsa_user_sgpr_kernarg_segment_ptr 1
		.amdhsa_user_sgpr_dispatch_id 0
		.amdhsa_user_sgpr_flat_scratch_init 0
		.amdhsa_user_sgpr_private_segment_size 0
		.amdhsa_uses_dynamic_stack 0
		.amdhsa_system_sgpr_private_segment_wavefront_offset 0
		.amdhsa_system_sgpr_workgroup_id_x 1
		.amdhsa_system_sgpr_workgroup_id_y 0
		.amdhsa_system_sgpr_workgroup_id_z 0
		.amdhsa_system_sgpr_workgroup_info 0
		.amdhsa_system_vgpr_workitem_id 0
		.amdhsa_next_free_vgpr 9
		.amdhsa_next_free_sgpr 16
		.amdhsa_reserve_vcc 1
		.amdhsa_reserve_flat_scratch 0
		.amdhsa_float_round_mode_32 0
		.amdhsa_float_round_mode_16_64 0
		.amdhsa_float_denorm_mode_32 3
		.amdhsa_float_denorm_mode_16_64 3
		.amdhsa_dx10_clamp 1
		.amdhsa_ieee_mode 1
		.amdhsa_fp16_overflow 0
		.amdhsa_exception_fp_ieee_invalid_op 0
		.amdhsa_exception_fp_denorm_src 0
		.amdhsa_exception_fp_ieee_div_zero 0
		.amdhsa_exception_fp_ieee_overflow 0
		.amdhsa_exception_fp_ieee_underflow 0
		.amdhsa_exception_fp_ieee_inexact 0
		.amdhsa_exception_int_div_zero 0
	.end_amdhsa_kernel
	.section	.text._ZN9rocsolver6v33100L16syev_scalar_caseIdPdTnNSt9enable_ifIXnt18rocblas_is_complexIT_EEiE4typeELi0EEEv14rocblas_evect_T0_lPS4_li,"axG",@progbits,_ZN9rocsolver6v33100L16syev_scalar_caseIdPdTnNSt9enable_ifIXnt18rocblas_is_complexIT_EEiE4typeELi0EEEv14rocblas_evect_T0_lPS4_li,comdat
.Lfunc_end45:
	.size	_ZN9rocsolver6v33100L16syev_scalar_caseIdPdTnNSt9enable_ifIXnt18rocblas_is_complexIT_EEiE4typeELi0EEEv14rocblas_evect_T0_lPS4_li, .Lfunc_end45-_ZN9rocsolver6v33100L16syev_scalar_caseIdPdTnNSt9enable_ifIXnt18rocblas_is_complexIT_EEiE4typeELi0EEEv14rocblas_evect_T0_lPS4_li
                                        ; -- End function
	.set _ZN9rocsolver6v33100L16syev_scalar_caseIdPdTnNSt9enable_ifIXnt18rocblas_is_complexIT_EEiE4typeELi0EEEv14rocblas_evect_T0_lPS4_li.num_vgpr, 9
	.set _ZN9rocsolver6v33100L16syev_scalar_caseIdPdTnNSt9enable_ifIXnt18rocblas_is_complexIT_EEiE4typeELi0EEEv14rocblas_evect_T0_lPS4_li.num_agpr, 0
	.set _ZN9rocsolver6v33100L16syev_scalar_caseIdPdTnNSt9enable_ifIXnt18rocblas_is_complexIT_EEiE4typeELi0EEEv14rocblas_evect_T0_lPS4_li.numbered_sgpr, 16
	.set _ZN9rocsolver6v33100L16syev_scalar_caseIdPdTnNSt9enable_ifIXnt18rocblas_is_complexIT_EEiE4typeELi0EEEv14rocblas_evect_T0_lPS4_li.num_named_barrier, 0
	.set _ZN9rocsolver6v33100L16syev_scalar_caseIdPdTnNSt9enable_ifIXnt18rocblas_is_complexIT_EEiE4typeELi0EEEv14rocblas_evect_T0_lPS4_li.private_seg_size, 0
	.set _ZN9rocsolver6v33100L16syev_scalar_caseIdPdTnNSt9enable_ifIXnt18rocblas_is_complexIT_EEiE4typeELi0EEEv14rocblas_evect_T0_lPS4_li.uses_vcc, 1
	.set _ZN9rocsolver6v33100L16syev_scalar_caseIdPdTnNSt9enable_ifIXnt18rocblas_is_complexIT_EEiE4typeELi0EEEv14rocblas_evect_T0_lPS4_li.uses_flat_scratch, 0
	.set _ZN9rocsolver6v33100L16syev_scalar_caseIdPdTnNSt9enable_ifIXnt18rocblas_is_complexIT_EEiE4typeELi0EEEv14rocblas_evect_T0_lPS4_li.has_dyn_sized_stack, 0
	.set _ZN9rocsolver6v33100L16syev_scalar_caseIdPdTnNSt9enable_ifIXnt18rocblas_is_complexIT_EEiE4typeELi0EEEv14rocblas_evect_T0_lPS4_li.has_recursion, 0
	.set _ZN9rocsolver6v33100L16syev_scalar_caseIdPdTnNSt9enable_ifIXnt18rocblas_is_complexIT_EEiE4typeELi0EEEv14rocblas_evect_T0_lPS4_li.has_indirect_call, 0
	.section	.AMDGPU.csdata,"",@progbits
; Kernel info:
; codeLenInByte = 232
; TotalNumSgprs: 20
; NumVgprs: 9
; ScratchSize: 0
; MemoryBound: 0
; FloatMode: 240
; IeeeMode: 1
; LDSByteSize: 0 bytes/workgroup (compile time only)
; SGPRBlocks: 2
; VGPRBlocks: 2
; NumSGPRsForWavesPerEU: 20
; NumVGPRsForWavesPerEU: 9
; Occupancy: 10
; WaveLimiterHint : 0
; COMPUTE_PGM_RSRC2:SCRATCH_EN: 0
; COMPUTE_PGM_RSRC2:USER_SGPR: 6
; COMPUTE_PGM_RSRC2:TRAP_HANDLER: 0
; COMPUTE_PGM_RSRC2:TGID_X_EN: 1
; COMPUTE_PGM_RSRC2:TGID_Y_EN: 0
; COMPUTE_PGM_RSRC2:TGID_Z_EN: 0
; COMPUTE_PGM_RSRC2:TIDIG_COMP_CNT: 0
	.section	.text._ZN9rocsolver6v33100L18syevj_small_kernelIddPdEEv14rocblas_esort_14rocblas_evect_13rocblas_fill_iT1_iilT0_S7_PS7_iPiS8_lS9_PT_,"axG",@progbits,_ZN9rocsolver6v33100L18syevj_small_kernelIddPdEEv14rocblas_esort_14rocblas_evect_13rocblas_fill_iT1_iilT0_S7_PS7_iPiS8_lS9_PT_,comdat
	.globl	_ZN9rocsolver6v33100L18syevj_small_kernelIddPdEEv14rocblas_esort_14rocblas_evect_13rocblas_fill_iT1_iilT0_S7_PS7_iPiS8_lS9_PT_ ; -- Begin function _ZN9rocsolver6v33100L18syevj_small_kernelIddPdEEv14rocblas_esort_14rocblas_evect_13rocblas_fill_iT1_iilT0_S7_PS7_iPiS8_lS9_PT_
	.p2align	8
	.type	_ZN9rocsolver6v33100L18syevj_small_kernelIddPdEEv14rocblas_esort_14rocblas_evect_13rocblas_fill_iT1_iilT0_S7_PS7_iPiS8_lS9_PT_,@function
_ZN9rocsolver6v33100L18syevj_small_kernelIddPdEEv14rocblas_esort_14rocblas_evect_13rocblas_fill_iT1_iilT0_S7_PS7_iPiS8_lS9_PT_: ; @_ZN9rocsolver6v33100L18syevj_small_kernelIddPdEEv14rocblas_esort_14rocblas_evect_13rocblas_fill_iT1_iilT0_S7_PS7_iPiS8_lS9_PT_
; %bb.0:
	s_load_dwordx8 s[16:23], s[4:5], 0x0
	s_load_dwordx8 s[8:15], s[4:5], 0x20
	s_load_dwordx2 s[60:61], s[4:5], 0x68
	s_ashr_i32 s43, s7, 31
	s_mov_b32 s42, s7
	s_waitcnt lgkmcnt(0)
	s_lshr_b32 s0, s19, 31
	s_add_i32 s0, s19, s0
	s_and_b32 s0, s0, -2
	s_sub_i32 s62, s19, s0
	s_add_i32 s62, s62, s19
	s_mul_hi_u32 s2, s8, s7
	s_mul_i32 s3, s8, s43
	s_lshr_b32 s0, s62, 31
	s_add_i32 s2, s2, s3
	s_mul_i32 s3, s9, s7
	s_add_i32 s0, s62, s0
	s_add_i32 s3, s2, s3
	s_mul_i32 s2, s8, s7
	s_ashr_i32 s36, s0, 1
	s_ashr_i32 s1, s22, 31
	s_lshl_b64 s[52:53], s[2:3], 3
	s_mov_b32 s0, s22
	s_add_u32 s2, s20, s52
	s_addc_u32 s3, s21, s53
	s_lshl_b64 s[54:55], s[0:1], 3
	s_mul_i32 s0, s19, s7
	s_add_u32 s34, s2, s54
	s_mul_i32 s0, s0, s19
	s_addc_u32 s35, s3, s55
	s_ashr_i32 s1, s0, 31
	s_lshl_b64 s[8:9], s[0:1], 3
	s_add_u32 s40, s60, s8
	s_addc_u32 s41, s61, s9
	s_min_i32 s33, s36, 0x100
	s_abs_i32 s0, s33
	v_cvt_f32_u32_e32 v1, s0
	s_sub_i32 s1, 0, s0
	s_ashr_i32 s63, s33, 31
	s_load_dwordx8 s[24:31], s[4:5], 0x48
	v_rcp_iflag_f32_e32 v1, v1
	v_mul_f32_e32 v1, 0x4f7ffffe, v1
	v_cvt_u32_f32_e32 v1, v1
	v_readfirstlane_b32 s2, v1
	s_mul_i32 s1, s1, s2
	s_mul_hi_u32 s1, s2, s1
	s_add_i32 s2, s2, s1
	v_mul_hi_u32 v1, v0, s2
	s_lshr_b32 s1, s2, 22
	s_mul_i32 s3, s1, s0
	s_sub_i32 s3, 0x400, s3
	v_mul_lo_u32 v2, v1, s0
	v_add_u32_e32 v3, 1, v1
	s_add_i32 s6, s1, 1
	s_sub_i32 s7, s3, s0
	v_sub_u32_e32 v2, v0, v2
	v_cmp_le_u32_e32 vcc, s0, v2
	v_cndmask_b32_e32 v1, v1, v3, vcc
	v_subrev_u32_e32 v3, s0, v2
	v_cndmask_b32_e32 v2, v2, v3, vcc
	s_cmp_ge_u32 s3, s0
	v_add_u32_e32 v3, 1, v1
	v_cmp_le_u32_e32 vcc, s0, v2
	s_cselect_b32 s1, s6, s1
	v_cndmask_b32_e32 v1, v1, v3, vcc
	s_cselect_b32 s2, s7, s3
	s_add_i32 s3, s1, 1
	v_xor_b32_e32 v26, s63, v1
	s_cmp_ge_u32 s2, s0
	v_subrev_u32_e32 v1, s63, v26
	s_cselect_b32 s1, s3, s1
	v_mul_lo_u32 v25, v1, s33
	s_xor_b32 s1, s1, s63
	s_sub_i32 s38, s1, s63
	s_min_i32 s22, s36, s38
	s_lshl_b32 s65, s22, 3
	v_sub_u32_e32 v27, v0, v25
	s_add_i32 s64, s65, 0
	v_cmp_eq_u32_e64 s[0:1], 0, v27
	s_and_saveexec_b64 s[44:45], s[0:1]
	s_cbranch_execz .LBB46_32
; %bb.1:
	s_cmpk_eq_i32 s18, 0x79
	v_cmp_gt_i32_e64 s[2:3], s19, v1
	s_cbranch_scc1 .LBB46_13
; %bb.2:
	v_mov_b32_e32 v2, 0
	v_mov_b32_e32 v4, 0
	;; [unrolled: 1-line block ×4, first 2 shown]
	s_and_saveexec_b64 s[46:47], s[2:3]
	s_cbranch_execz .LBB46_15
; %bb.3:
	s_cmpk_lg_i32 s17, 0xd5
	s_cselect_b64 s[56:57], -1, 0
	s_add_u32 s66, s60, s8
	s_addc_u32 s67, s61, s9
	v_ashrrev_i32_e32 v2, 31, v1
	s_ashr_i32 s39, s38, 31
	v_mov_b32_e32 v4, s38
	v_lshlrev_b64 v[2:3], 3, v[1:2]
	s_ashr_i32 s37, s36, 31
	v_mov_b32_e32 v5, s39
	v_cmp_lt_i64_e32 vcc, s[36:37], v[4:5]
	v_mov_b32_e32 v7, s67
	v_add_co_u32_e64 v8, s[6:7], s66, v2
	v_addc_co_u32_e64 v9, s[6:7], v7, v3, s[6:7]
	s_and_b64 s[6:7], vcc, exec
	s_cselect_b32 s7, s37, s39
	s_cselect_b32 s6, s36, s38
	s_lshl_b64 s[48:49], s[6:7], 3
	s_ashr_i32 s7, s19, 31
	s_mov_b32 s6, s19
	s_lshl_b64 s[50:51], s[6:7], 3
	s_add_u32 s6, s52, s54
	s_addc_u32 s7, s53, s55
	s_add_u32 s6, s20, s6
	s_addc_u32 s7, s21, s7
	v_mul_lo_u32 v28, s23, v1
	v_mul_lo_u32 v6, s19, v1
	v_mov_b32_e32 v4, s7
	v_add_co_u32_e32 v10, vcc, s6, v2
	v_addc_co_u32_e32 v11, vcc, v4, v3, vcc
	s_ashr_i32 s7, s23, 31
	s_mov_b32 s6, s23
	v_cndmask_b32_e64 v4, 0, 1, s[56:57]
	s_lshl_b64 s[20:21], s[6:7], 3
	v_mov_b32_e32 v2, 0
	v_cmp_ne_u32_e64 s[6:7], 1, v4
	v_mov_b32_e32 v4, 0
	s_mul_i32 s18, s23, s22
	s_mul_i32 s68, s19, s22
	v_mov_b32_e32 v3, 0
	s_mov_b64 s[52:53], 0
	v_mov_b32_e32 v29, s35
	v_mov_b32_e32 v30, s41
	s_mov_b32 s54, 0
	v_mov_b32_e32 v12, 0
	v_mov_b32_e32 v13, 0x3ff00000
	;; [unrolled: 1-line block ×4, first 2 shown]
	s_branch .LBB46_6
.LBB46_4:                               ;   in Loop: Header=BB46_6 Depth=1
	s_or_b64 exec, exec, s[58:59]
.LBB46_5:                               ;   in Loop: Header=BB46_6 Depth=1
	s_or_b64 exec, exec, s[56:57]
	v_fma_f64 v[4:5], v[15:16], v[15:16], v[4:5]
	v_mov_b32_e32 v7, s49
	v_add_co_u32_e32 v8, vcc, s48, v8
	v_add_u32_e32 v14, s22, v14
	v_addc_co_u32_e32 v9, vcc, v9, v7, vcc
	v_cmp_le_i32_e32 vcc, s19, v14
	s_or_b64 s[52:53], vcc, s[52:53]
	v_add_co_u32_e32 v10, vcc, s48, v10
	v_add_u32_e32 v28, s18, v28
	v_add_u32_e32 v6, s68, v6
	v_addc_co_u32_e32 v11, vcc, v11, v7, vcc
	s_andn2_b64 exec, exec, s[52:53]
	s_cbranch_execz .LBB46_14
.LBB46_6:                               ; =>This Loop Header: Depth=1
                                        ;     Child Loop BB46_11 Depth 2
	v_mad_u64_u32 v[15:16], s[56:57], v14, s23, v[14:15]
	v_ashrrev_i32_e32 v16, 31, v15
	v_lshlrev_b64 v[15:16], 3, v[15:16]
	v_add_co_u32_e32 v17, vcc, s34, v15
	v_addc_co_u32_e32 v18, vcc, v29, v16, vcc
	global_load_dwordx2 v[15:16], v[17:18], off
	s_waitcnt vmcnt(0)
	v_mad_u64_u32 v[19:20], s[56:57], v14, s19, v[14:15]
	v_ashrrev_i32_e32 v20, 31, v19
	v_lshlrev_b64 v[19:20], 3, v[19:20]
	v_add_co_u32_e32 v19, vcc, s40, v19
	v_addc_co_u32_e32 v20, vcc, v30, v20, vcc
	s_and_b64 vcc, exec, s[6:7]
	global_store_dwordx2 v[19:20], v[15:16], off
	s_cbranch_vccnz .LBB46_8
; %bb.7:                                ;   in Loop: Header=BB46_6 Depth=1
	global_store_dwordx2 v[17:18], v[12:13], off
.LBB46_8:                               ;   in Loop: Header=BB46_6 Depth=1
	v_cmp_lt_i32_e32 vcc, 0, v14
	s_and_saveexec_b64 s[56:57], vcc
	s_cbranch_execz .LBB46_5
; %bb.9:                                ;   in Loop: Header=BB46_6 Depth=1
	v_ashrrev_i32_e32 v7, 31, v6
	v_lshlrev_b64 v[17:18], 3, v[6:7]
	v_mov_b32_e32 v7, s67
	v_add_co_u32_e32 v17, vcc, s66, v17
	v_mov_b32_e32 v20, v11
	v_mov_b32_e32 v22, v9
	v_addc_co_u32_e32 v18, vcc, v7, v18, vcc
	s_mov_b32 s37, 0
	s_mov_b64 s[58:59], 0
	v_mov_b32_e32 v19, v10
	v_mov_b32_e32 v21, v8
	s_branch .LBB46_11
.LBB46_10:                              ;   in Loop: Header=BB46_11 Depth=2
	v_mul_f64 v[23:24], v[23:24], v[23:24]
	v_add_co_u32_e32 v17, vcc, 8, v17
	v_addc_co_u32_e32 v18, vcc, 0, v18, vcc
	v_mov_b32_e32 v7, s51
	v_add_co_u32_e32 v21, vcc, s50, v21
	v_fma_f64 v[2:3], v[23:24], 2.0, v[2:3]
	s_add_i32 s37, s37, 1
	v_addc_co_u32_e32 v22, vcc, v22, v7, vcc
	v_cmp_eq_u32_e32 vcc, s37, v14
	v_mov_b32_e32 v7, s21
	s_or_b64 s[58:59], vcc, s[58:59]
	v_add_co_u32_e32 v19, vcc, s20, v19
	v_addc_co_u32_e32 v20, vcc, v20, v7, vcc
	s_andn2_b64 exec, exec, s[58:59]
	s_cbranch_execz .LBB46_4
.LBB46_11:                              ;   Parent Loop BB46_6 Depth=1
                                        ; =>  This Inner Loop Header: Depth=2
	global_load_dwordx2 v[23:24], v[19:20], off
	s_and_b64 vcc, exec, s[6:7]
	s_waitcnt vmcnt(0)
	global_store_dwordx2 v[21:22], v[23:24], off
	global_store_dwordx2 v[17:18], v[23:24], off
	s_cbranch_vccnz .LBB46_10
; %bb.12:                               ;   in Loop: Header=BB46_11 Depth=2
	v_add_u32_e32 v31, s37, v28
	v_ashrrev_i32_e32 v32, 31, v31
	v_lshlrev_b64 v[31:32], 3, v[31:32]
	s_mov_b32 s55, s54
	v_mov_b32_e32 v33, s54
	v_mov_b32_e32 v7, s35
	v_add_co_u32_e32 v31, vcc, s34, v31
	v_mov_b32_e32 v34, s55
	v_addc_co_u32_e32 v32, vcc, v7, v32, vcc
	global_store_dwordx2 v[19:20], v[33:34], off
	global_store_dwordx2 v[31:32], v[33:34], off
	s_branch .LBB46_10
.LBB46_13:
                                        ; implicit-def: $vgpr2_vgpr3
                                        ; implicit-def: $vgpr4_vgpr5
	s_branch .LBB46_16
.LBB46_14:
	s_or_b64 exec, exec, s[52:53]
.LBB46_15:
	s_or_b64 exec, exec, s[46:47]
	s_cbranch_execnz .LBB46_29
.LBB46_16:
	v_mov_b32_e32 v2, 0
	v_mov_b32_e32 v4, 0
	v_mov_b32_e32 v3, 0
	v_mov_b32_e32 v5, 0
	s_and_saveexec_b64 s[20:21], s[2:3]
	s_cbranch_execz .LBB46_28
; %bb.17:
	v_mul_lo_u32 v2, s19, v1
	s_cmpk_lg_i32 s17, 0xd5
	s_cselect_b64 s[2:3], -1, 0
	s_add_i32 s18, s19, -1
	s_mul_i32 s6, s19, s18
	v_mul_lo_u32 v23, s23, v1
	v_add_u32_e32 v6, s18, v2
	v_add_u32_e32 v2, s6, v26
	s_mul_i32 s6, s23, s18
	v_subrev_u32_e32 v24, s63, v2
	v_add_u32_e32 v2, s6, v26
	v_cndmask_b32_e64 v4, 0, 1, s[2:3]
	s_add_u32 s39, s60, s8
	v_subrev_u32_e32 v28, s63, v2
	v_mov_b32_e32 v2, 0
	v_cmp_ne_u32_e64 s[2:3], 1, v4
	v_mov_b32_e32 v4, 0
	s_mul_i32 s37, s23, s22
	s_addc_u32 s54, s61, s9
	s_mul_i32 s55, s19, s22
	v_mov_b32_e32 v3, 0
	s_mov_b64 s[46:47], 0
	v_mov_b32_e32 v29, s35
	v_mov_b32_e32 v30, s41
	s_mov_b32 s48, 0
	v_mov_b32_e32 v8, 0
	v_mov_b32_e32 v9, 0x3ff00000
	;; [unrolled: 1-line block ×4, first 2 shown]
	s_branch .LBB46_20
.LBB46_18:                              ;   in Loop: Header=BB46_20 Depth=1
	s_or_b64 exec, exec, s[52:53]
.LBB46_19:                              ;   in Loop: Header=BB46_20 Depth=1
	s_or_b64 exec, exec, s[50:51]
	v_fma_f64 v[4:5], v[11:12], v[11:12], v[4:5]
	v_add_u32_e32 v10, s22, v10
	v_cmp_le_i32_e32 vcc, s19, v10
	v_add_u32_e32 v23, s37, v23
	v_add_u32_e32 v6, s55, v6
	;; [unrolled: 1-line block ×3, first 2 shown]
	s_or_b64 s[46:47], vcc, s[46:47]
	v_add_u32_e32 v28, s22, v28
	s_andn2_b64 exec, exec, s[46:47]
	s_cbranch_execz .LBB46_27
.LBB46_20:                              ; =>This Loop Header: Depth=1
                                        ;     Child Loop BB46_25 Depth 2
	v_mad_u64_u32 v[11:12], s[6:7], v10, s23, v[10:11]
	v_ashrrev_i32_e32 v12, 31, v11
	v_lshlrev_b64 v[11:12], 3, v[11:12]
	v_add_co_u32_e32 v13, vcc, s34, v11
	v_addc_co_u32_e32 v14, vcc, v29, v12, vcc
	global_load_dwordx2 v[11:12], v[13:14], off
	s_waitcnt vmcnt(0)
	v_mad_u64_u32 v[15:16], s[6:7], v10, s19, v[10:11]
	v_ashrrev_i32_e32 v16, 31, v15
	v_lshlrev_b64 v[15:16], 3, v[15:16]
	v_add_co_u32_e32 v15, vcc, s40, v15
	v_addc_co_u32_e32 v16, vcc, v30, v16, vcc
	s_and_b64 vcc, exec, s[2:3]
	global_store_dwordx2 v[15:16], v[11:12], off
	s_cbranch_vccnz .LBB46_22
; %bb.21:                               ;   in Loop: Header=BB46_20 Depth=1
	global_store_dwordx2 v[13:14], v[8:9], off
.LBB46_22:                              ;   in Loop: Header=BB46_20 Depth=1
	v_cmp_gt_i32_e32 vcc, s18, v10
	s_and_saveexec_b64 s[50:51], vcc
	s_cbranch_execz .LBB46_19
; %bb.23:                               ;   in Loop: Header=BB46_20 Depth=1
	v_ashrrev_i32_e32 v7, 31, v6
	v_lshlrev_b64 v[13:14], 3, v[6:7]
	v_mov_b32_e32 v7, s54
	v_add_co_u32_e32 v13, vcc, s39, v13
	v_addc_co_u32_e32 v14, vcc, v7, v14, vcc
	s_mov_b64 s[52:53], 0
	v_mov_b32_e32 v15, v28
	v_mov_b32_e32 v17, v24
	s_mov_b32 s56, s18
	s_branch .LBB46_25
.LBB46_24:                              ;   in Loop: Header=BB46_25 Depth=2
	v_mul_f64 v[18:19], v[21:22], v[21:22]
	v_add_co_u32_e32 v13, vcc, -8, v13
	s_add_i32 s56, s56, -1
	v_addc_co_u32_e32 v14, vcc, -1, v14, vcc
	v_cmp_le_i32_e32 vcc, s56, v10
	v_subrev_u32_e32 v17, s19, v17
	v_fma_f64 v[2:3], v[18:19], 2.0, v[2:3]
	s_or_b64 s[52:53], vcc, s[52:53]
	v_subrev_u32_e32 v15, s23, v15
	s_andn2_b64 exec, exec, s[52:53]
	s_cbranch_execz .LBB46_18
.LBB46_25:                              ;   Parent Loop BB46_20 Depth=1
                                        ; =>  This Inner Loop Header: Depth=2
	v_ashrrev_i32_e32 v16, 31, v15
	v_lshlrev_b64 v[19:20], 3, v[15:16]
	v_mov_b32_e32 v7, s35
	v_add_co_u32_e32 v19, vcc, s34, v19
	v_addc_co_u32_e32 v20, vcc, v7, v20, vcc
	global_load_dwordx2 v[21:22], v[19:20], off
	v_ashrrev_i32_e32 v18, 31, v17
	v_lshlrev_b64 v[31:32], 3, v[17:18]
	v_mov_b32_e32 v7, s41
	v_add_co_u32_e64 v31, s[6:7], s40, v31
	s_and_b64 vcc, exec, s[2:3]
	v_addc_co_u32_e64 v32, s[6:7], v7, v32, s[6:7]
	s_waitcnt vmcnt(0)
	global_store_dwordx2 v[31:32], v[21:22], off
	global_store_dwordx2 v[13:14], v[21:22], off
	s_cbranch_vccnz .LBB46_24
; %bb.26:                               ;   in Loop: Header=BB46_25 Depth=2
	v_add_u32_e32 v31, s56, v23
	v_ashrrev_i32_e32 v32, 31, v31
	v_lshlrev_b64 v[31:32], 3, v[31:32]
	s_mov_b32 s49, s48
	v_mov_b32_e32 v33, s48
	v_mov_b32_e32 v7, s35
	v_add_co_u32_e32 v31, vcc, s34, v31
	v_mov_b32_e32 v34, s49
	v_addc_co_u32_e32 v32, vcc, v7, v32, vcc
	global_store_dwordx2 v[19:20], v[33:34], off
	global_store_dwordx2 v[31:32], v[33:34], off
	s_branch .LBB46_24
.LBB46_27:
	s_or_b64 exec, exec, s[46:47]
.LBB46_28:
	s_or_b64 exec, exec, s[20:21]
.LBB46_29:
	v_lshlrev_b32_e32 v6, 3, v1
	v_add_u32_e32 v7, 0, v6
	ds_write_b64 v7, v[2:3]
	v_add_u32_e32 v2, s64, v6
	v_cmp_gt_i32_e32 vcc, s36, v1
	ds_write_b64 v2, v[4:5]
	s_and_b64 exec, exec, vcc
	s_cbranch_execz .LBB46_32
; %bb.30:
	v_lshlrev_b32_e32 v2, 2, v26
	v_lshl_add_u32 v2, s22, 4, v2
	s_lshl_b32 s2, s63, 2
	v_subrev_u32_e32 v2, s2, v2
	v_lshlrev_b32_e32 v3, 1, v26
	s_lshl_b32 s2, s63, 1
	s_lshl_b32 s6, s36, 2
	v_add_u32_e32 v2, 0, v2
	s_lshl_b32 s7, s22, 2
	v_subrev_u32_e32 v3, s2, v3
	s_lshl_b32 s18, s22, 1
	s_mov_b64 s[2:3], 0
	v_mov_b32_e32 v4, v1
.LBB46_31:                              ; =>This Inner Loop Header: Depth=1
	v_add_u32_e32 v4, s22, v4
	v_cmp_le_i32_e32 vcc, s36, v4
	ds_write_b32 v2, v3
	v_add_u32_e32 v5, 1, v3
	v_add_u32_e32 v6, s6, v2
	;; [unrolled: 1-line block ×4, first 2 shown]
	s_or_b64 s[2:3], vcc, s[2:3]
	ds_write_b32 v6, v5
	s_andn2_b64 exec, exec, s[2:3]
	s_cbranch_execnz .LBB46_31
.LBB46_32:
	s_or_b64 exec, exec, s[44:45]
	s_cmp_gt_i32 s22, 0
	s_cselect_b64 s[20:21], -1, 0
	s_cmp_lt_i32 s22, 1
	s_mov_b32 s2, 0
	s_waitcnt vmcnt(0) lgkmcnt(0)
	s_barrier
	s_cbranch_scc1 .LBB46_37
; %bb.33:
	s_cmp_lt_u32 s22, 8
	s_cbranch_scc1 .LBB46_38
; %bb.34:
	v_mov_b32_e32 v2, 0
	v_mov_b32_e32 v16, 0
	s_and_b32 s2, s22, 0x7ffffff8
	s_mov_b32 s3, 0
	v_mov_b32_e32 v3, 0
	v_mov_b32_e32 v17, 0
	s_mov_b32 s6, 0
.LBB46_35:                              ; =>This Inner Loop Header: Depth=1
	v_mov_b32_e32 v22, s6
	s_add_i32 s7, s6, s65
	ds_read2_b64 v[4:7], v22 offset1:1
	v_mov_b32_e32 v23, s7
	ds_read2_b64 v[8:11], v23 offset1:1
	ds_read2_b64 v[12:15], v22 offset0:2 offset1:3
	ds_read2_b64 v[18:21], v23 offset0:2 offset1:3
	s_add_i32 s3, s3, 8
	s_add_i32 s6, s6, 64
	s_waitcnt lgkmcnt(3)
	v_add_f64 v[4:5], v[16:17], v[4:5]
	s_waitcnt lgkmcnt(2)
	v_add_f64 v[2:3], v[2:3], v[8:9]
	s_cmp_lg_u32 s2, s3
	v_add_f64 v[4:5], v[4:5], v[6:7]
	v_add_f64 v[2:3], v[2:3], v[10:11]
	s_waitcnt lgkmcnt(1)
	v_add_f64 v[4:5], v[4:5], v[12:13]
	s_waitcnt lgkmcnt(0)
	v_add_f64 v[2:3], v[2:3], v[18:19]
	v_add_f64 v[14:15], v[4:5], v[14:15]
	;; [unrolled: 1-line block ×3, first 2 shown]
	ds_read2_b64 v[2:5], v22 offset0:4 offset1:5
	ds_read2_b64 v[6:9], v23 offset0:4 offset1:5
	;; [unrolled: 1-line block ×4, first 2 shown]
	s_waitcnt lgkmcnt(3)
	v_add_f64 v[2:3], v[14:15], v[2:3]
	s_waitcnt lgkmcnt(2)
	v_add_f64 v[6:7], v[20:21], v[6:7]
	v_add_f64 v[2:3], v[2:3], v[4:5]
	v_add_f64 v[4:5], v[6:7], v[8:9]
	s_waitcnt lgkmcnt(1)
	v_add_f64 v[2:3], v[2:3], v[10:11]
	s_waitcnt lgkmcnt(0)
	v_add_f64 v[4:5], v[4:5], v[16:17]
	v_add_f64 v[16:17], v[2:3], v[12:13]
	;; [unrolled: 1-line block ×3, first 2 shown]
	s_cbranch_scc1 .LBB46_35
; %bb.36:
	s_and_b32 s3, s22, 7
	s_cmp_eq_u32 s3, 0
	s_cbranch_scc0 .LBB46_39
	s_branch .LBB46_41
.LBB46_37:
	v_mov_b32_e32 v2, 0
	v_mov_b32_e32 v16, 0
	;; [unrolled: 1-line block ×4, first 2 shown]
	s_branch .LBB46_41
.LBB46_38:
	v_mov_b32_e32 v2, 0
	v_mov_b32_e32 v16, 0
	;; [unrolled: 1-line block ×4, first 2 shown]
	s_and_b32 s3, s22, 7
	s_cmp_eq_u32 s3, 0
	s_cbranch_scc1 .LBB46_41
.LBB46_39:
	s_lshl_b32 s2, s2, 3
	s_add_i32 s2, s2, 0
.LBB46_40:                              ; =>This Inner Loop Header: Depth=1
	s_add_i32 s6, s2, s65
	v_mov_b32_e32 v4, s2
	v_mov_b32_e32 v6, s6
	ds_read_b64 v[4:5], v4
	ds_read_b64 v[6:7], v6
	s_add_i32 s2, s2, 8
	s_add_i32 s3, s3, -1
	s_cmp_lg_u32 s3, 0
	s_waitcnt lgkmcnt(1)
	v_add_f64 v[16:17], v[16:17], v[4:5]
	s_waitcnt lgkmcnt(0)
	v_add_f64 v[2:3], v[2:3], v[6:7]
	s_cbranch_scc1 .LBB46_40
.LBB46_41:
	v_add_f64 v[2:3], v[2:3], v[16:17]
	s_load_dword s18, s[4:5], 0x40
	s_mov_b32 s37, 0
	s_waitcnt lgkmcnt(0)
	s_cmp_gt_i32 s18, 0
	s_cselect_b64 s[2:3], -1, 0
	v_mul_f64 v[2:3], s[10:11], v[2:3]
	v_mul_f64 v[3:4], s[10:11], v[2:3]
	v_cmp_gt_f64_e32 vcc, v[16:17], v[3:4]
	s_and_b64 s[2:3], s[2:3], vcc
	s_andn2_b64 vcc, exec, s[2:3]
	s_cbranch_vccnz .LBB46_121
; %bb.42:
	v_mov_b32_e32 v8, 0
	v_mov_b32_e32 v9, 0x100000
	v_div_scale_f64 v[10:11], s[2:3], s[12:13], s[12:13], v[8:9]
	s_mov_b32 s6, 0
	v_mov_b32_e32 v5, s12
	s_mov_b32 s7, 0x100000
	v_mov_b32_e32 v6, s13
	v_sub_u32_e32 v16, s63, v26
	v_lshlrev_b32_e32 v17, 1, v0
	v_lshlrev_b32_e32 v18, 1, v25
	v_div_scale_f64 v[14:15], vcc, s[6:7], v[5:6], s[6:7]
	v_mad_u64_u32 v[5:6], s[6:7], s33, v16, v[0:1]
	v_sub_u32_e32 v0, v17, v18
	s_abs_i32 s37, s22
	v_cvt_f32_u32_e32 v19, s37
	v_rcp_f64_e32 v[12:13], v[10:11]
	v_lshlrev_b32_e32 v7, 3, v1
	v_ashrrev_i32_e32 v2, 31, v1
	v_rcp_iflag_f32_e32 v18, v19
	v_add_u32_e32 v25, 0, v7
	v_add_u32_e32 v26, s64, v7
	v_lshlrev_b64 v[6:7], 3, v[1:2]
	v_mul_f32_e32 v2, 0x4f7ffffe, v18
	v_cvt_u32_f32_e32 v2, v2
	s_add_i32 s76, s64, s65
	s_lshl_b32 s10, s36, 2
	s_add_i32 s11, s36, -1
	s_sub_i32 s45, 0, s37
	v_readfirstlane_b32 s7, v2
	s_add_i32 s77, s76, s10
	s_xor_b32 s10, s11, s22
	v_fma_f64 v[16:17], -v[10:11], v[12:13], 1.0
	s_mul_i32 s45, s45, s7
	s_ashr_i32 s6, s10, 31
	s_mul_hi_u32 s10, s7, s45
	s_abs_i32 s11, s11
	s_add_i32 s7, s7, s10
	s_mul_hi_u32 s7, s11, s7
	s_mul_i32 s10, s7, s37
	v_fma_f64 v[12:13], v[12:13], v[16:17], v[12:13]
	s_sub_i32 s10, s11, s10
	s_add_i32 s45, s7, 1
	s_sub_i32 s11, s10, s37
	s_cmp_ge_u32 s10, s37
	s_cselect_b32 s7, s45, s7
	s_cselect_b32 s10, s11, s10
	s_add_i32 s11, s7, 1
	v_fma_f64 v[16:17], -v[10:11], v[12:13], 1.0
	s_cmp_ge_u32 s10, s37
	s_cselect_b32 s7, s11, s7
	s_xor_b32 s7, s7, s6
	s_add_i32 s78, s62, -1
	s_sub_i32 s79, s7, s6
	s_cmp_gt_i32 s62, 1
	s_cselect_b64 s[46:47], -1, 0
	v_fma_f64 v[12:13], v[12:13], v[16:17], v[12:13]
	s_cmp_gt_i32 s79, -1
	s_cselect_b64 s[48:49], -1, 0
	s_add_i32 s80, s19, 1
	s_cmpk_lg_i32 s17, 0xd5
	s_cselect_b64 s[50:51], -1, 0
	s_and_b32 s81, s22, 7
	s_cmp_gt_u32 s22, 7
	v_mul_f64 v[16:17], v[14:15], v[12:13]
	s_cselect_b64 s[52:53], -1, 0
	s_and_b32 s82, s22, 0x7ffffff8
	s_cmp_lg_u32 s81, 0
	s_cselect_b64 s[54:55], -1, 0
	s_lshl_b32 s56, s33, 1
	s_mul_i32 s39, s19, s33
	s_ashr_i32 s57, s56, 31
	v_fma_f64 v[10:11], -v[10:11], v[16:17], v[14:15]
	s_lshl_b32 s83, s39, 1
	s_lshl_b64 s[58:59], s[56:57], 3
	s_add_u32 s6, s60, s8
	s_addc_u32 s7, s61, s9
	s_ashr_i32 s39, s38, 31
	s_ashr_i32 s37, s36, 31
	v_cmp_gt_i32_e64 s[2:3], s36, v27
	v_div_fmas_f64 v[10:11], v[10:11], v[12:13], v[16:17]
	v_mov_b32_e32 v12, s38
	v_mov_b32_e32 v13, s39
	v_cmp_lt_i64_e32 vcc, s[36:37], v[12:13]
	v_or_b32_e32 v27, 1, v0
	v_mov_b32_e32 v2, s7
	v_add_co_u32_e64 v6, s[6:7], s6, v6
	v_mul_lo_u32 v28, s19, v0
	v_mul_lo_u32 v29, s19, v27
	v_addc_co_u32_e64 v7, s[6:7], v2, v7, s[6:7]
	s_and_b64 s[6:7], vcc, exec
	s_cselect_b32 s7, s37, s39
	s_cselect_b32 s6, s36, s38
	s_lshl_b64 s[60:61], s[6:7], 3
	v_div_fixup_f64 v[8:9], v[10:11], s[12:13], v[8:9]
	s_ashr_i32 s7, s19, 31
	s_mov_b32 s6, s19
	s_mov_b32 s64, 0
	s_mov_b32 s44, 0
	v_cmp_gt_i32_e64 s[4:5], s19, v1
	s_lshl_b64 s[62:63], s[6:7], 3
	s_movk_i32 s39, 0x204
	s_brev_b32 s65, 8
	v_mov_b32_e32 v30, 0x260
	v_mov_b32_e32 v31, 0xfff00000
	;; [unrolled: 1-line block ×4, first 2 shown]
	s_mov_b32 s37, 0
                                        ; implicit-def: $vgpr10_vgpr11
                                        ; implicit-def: $vgpr14_vgpr15
                                        ; implicit-def: $vgpr12_vgpr13
	s_branch .LBB46_45
.LBB46_43:                              ;   in Loop: Header=BB46_45 Depth=1
	v_mov_b32_e32 v16, 0
	v_mov_b32_e32 v17, 0
.LBB46_44:                              ;   in Loop: Header=BB46_45 Depth=1
	v_cmp_gt_f64_e32 vcc, v[16:17], v[3:4]
	s_add_i32 s37, s37, 1
	s_cmp_lt_i32 s37, s18
	s_cselect_b64 s[6:7], -1, 0
	s_and_b64 s[6:7], s[6:7], vcc
	s_and_b64 vcc, exec, s[6:7]
	s_cbranch_vccz .LBB46_121
.LBB46_45:                              ; =>This Loop Header: Depth=1
                                        ;     Child Loop BB46_48 Depth 2
                                        ;       Child Loop BB46_50 Depth 3
                                        ;         Child Loop BB46_75 Depth 4
                                        ;         Child Loop BB46_85 Depth 4
                                        ;     Child Loop BB46_107 Depth 2
                                        ;       Child Loop BB46_109 Depth 3
                                        ;     Child Loop BB46_116 Depth 2
                                        ;     Child Loop BB46_120 Depth 2
	s_andn2_b64 vcc, exec, s[46:47]
	s_cbranch_vccnz .LBB46_103
; %bb.46:                               ;   in Loop: Header=BB46_45 Depth=1
	s_mov_b32 s57, 0
	s_branch .LBB46_48
.LBB46_47:                              ;   in Loop: Header=BB46_48 Depth=2
	s_add_i32 s57, s57, 1
	s_cmp_eq_u32 s57, s78
	s_cbranch_scc1 .LBB46_103
.LBB46_48:                              ;   Parent Loop BB46_45 Depth=1
                                        ; =>  This Loop Header: Depth=2
                                        ;       Child Loop BB46_50 Depth 3
                                        ;         Child Loop BB46_75 Depth 4
                                        ;         Child Loop BB46_85 Depth 4
	s_andn2_b64 vcc, exec, s[48:49]
	s_cbranch_vccnz .LBB46_47
; %bb.49:                               ;   in Loop: Header=BB46_48 Depth=2
	s_mov_b32 s84, 0
.LBB46_50:                              ;   Parent Loop BB46_45 Depth=1
                                        ;     Parent Loop BB46_48 Depth=2
                                        ; =>    This Loop Header: Depth=3
                                        ;         Child Loop BB46_75 Depth 4
                                        ;         Child Loop BB46_85 Depth 4
	s_mul_i32 s6, s84, s22
	v_add_u32_e32 v35, s6, v1
	v_cmp_gt_i32_e64 s[6:7], s36, v35
	v_mov_b32_e32 v16, s19
	s_and_saveexec_b64 s[8:9], s[6:7]
; %bb.51:                               ;   in Loop: Header=BB46_50 Depth=3
	v_lshl_add_u32 v2, v35, 2, s76
	ds_read_b32 v16, v2
; %bb.52:                               ;   in Loop: Header=BB46_50 Depth=3
	s_or_b64 exec, exec, s[8:9]
	v_mov_b32_e32 v2, s19
	v_lshl_add_u32 v34, v35, 2, s77
	s_and_saveexec_b64 s[8:9], s[6:7]
; %bb.53:                               ;   in Loop: Header=BB46_50 Depth=3
	ds_read_b32 v2, v34
; %bb.54:                               ;   in Loop: Header=BB46_50 Depth=3
	s_or_b64 exec, exec, s[8:9]
	s_waitcnt lgkmcnt(0)
	v_cmp_gt_i32_e64 s[8:9], s19, v16
	s_and_b64 s[12:13], s[0:1], s[8:9]
	v_cmp_gt_i32_e64 s[10:11], s19, v2
	s_and_b64 s[66:67], s[12:13], s[10:11]
	s_and_saveexec_b64 s[68:69], s[66:67]
	s_cbranch_execz .LBB46_70
; %bb.55:                               ;   in Loop: Header=BB46_50 Depth=3
	v_mul_lo_u32 v19, v2, s19
	v_mov_b32_e32 v14, s41
	v_add_u32_e32 v12, v19, v16
	v_ashrrev_i32_e32 v13, 31, v12
	v_lshlrev_b64 v[12:13], 3, v[12:13]
	v_add_co_u32_e32 v12, vcc, s40, v12
	v_addc_co_u32_e32 v13, vcc, v14, v13, vcc
	global_load_dwordx2 v[17:18], v[12:13], off
	v_mov_b32_e32 v14, 0
	v_mov_b32_e32 v15, 0
	s_waitcnt vmcnt(0)
	v_mul_f64 v[12:13], v[17:18], v[17:18]
	v_cmp_nlt_f64_e32 vcc, v[12:13], v[8:9]
	v_mov_b32_e32 v12, 0
	v_mov_b32_e32 v13, 0x3ff00000
	s_and_saveexec_b64 s[70:71], vcc
	s_cbranch_execz .LBB46_69
; %bb.56:                               ;   in Loop: Header=BB46_50 Depth=3
	v_add_u32_e32 v12, v19, v2
	v_ashrrev_i32_e32 v13, 31, v12
	v_mul_lo_u32 v14, v16, s80
	v_lshlrev_b64 v[12:13], 3, v[12:13]
	v_mov_b32_e32 v15, s41
	v_add_co_u32_e32 v12, vcc, s40, v12
	v_addc_co_u32_e32 v13, vcc, v15, v13, vcc
	v_ashrrev_i32_e32 v15, 31, v14
	v_lshlrev_b64 v[14:15], 3, v[14:15]
	v_mov_b32_e32 v19, s41
	v_add_co_u32_e32 v14, vcc, s40, v14
	v_addc_co_u32_e32 v15, vcc, v19, v15, vcc
	global_load_dwordx2 v[12:13], v[12:13], off
	s_nop 0
	global_load_dwordx2 v[19:20], v[14:15], off
	v_add_f64 v[14:15], |v[17:18]|, |v[17:18]|
	v_cmp_class_f64_e64 s[72:73], v[14:15], s39
	s_waitcnt vmcnt(0)
	v_add_f64 v[19:20], v[12:13], -v[19:20]
	v_max_f64 v[12:13], |v[19:20]|, |v[14:15]|
	v_cmp_ngt_f64_e32 vcc, 0, v[19:20]
	v_cmp_class_f64_e64 s[74:75], v[19:20], s39
	v_frexp_exp_i32_f64_e32 v21, v[12:13]
	v_sub_u32_e32 v22, 0, v21
	v_ldexp_f64 v[12:13], |v[14:15]|, v22
	v_ldexp_f64 v[22:23], |v[19:20]|, v22
	v_mul_f64 v[12:13], v[12:13], v[12:13]
	v_fma_f64 v[12:13], v[22:23], v[22:23], v[12:13]
	v_rsq_f64_e32 v[22:23], v[12:13]
	v_cmp_eq_f64_e64 s[12:13], 0, v[12:13]
	v_mul_f64 v[36:37], v[12:13], v[22:23]
	v_mul_f64 v[22:23], v[22:23], 0.5
	v_fma_f64 v[38:39], -v[22:23], v[36:37], 0.5
	v_fma_f64 v[36:37], v[36:37], v[38:39], v[36:37]
	v_fma_f64 v[22:23], v[22:23], v[38:39], v[22:23]
	v_fma_f64 v[38:39], -v[36:37], v[36:37], v[12:13]
	v_fma_f64 v[22:23], v[38:39], v[22:23], v[36:37]
	v_cndmask_b32_e64 v13, v23, v13, s[12:13]
	v_cndmask_b32_e64 v12, v22, v12, s[12:13]
                                        ; implicit-def: $vgpr23_vgpr24
	s_and_saveexec_b64 s[12:13], vcc
	s_xor_b64 s[12:13], exec, s[12:13]
	s_cbranch_execz .LBB46_58
; %bb.57:                               ;   in Loop: Header=BB46_50 Depth=3
	v_ldexp_f64 v[12:13], v[12:13], v21
	v_cmp_o_f64_e32 vcc, v[19:20], v[14:15]
	v_mov_b32_e32 v21, 0x7ff80000
	v_mov_b32_e32 v22, 0x7ff00000
	v_cndmask_b32_e32 v12, 0, v12, vcc
	v_cndmask_b32_e32 v13, v21, v13, vcc
	s_or_b64 vcc, s[72:73], s[74:75]
	v_cndmask_b32_e32 v24, v13, v22, vcc
	v_cndmask_b32_e64 v23, v12, 0, vcc
                                        ; implicit-def: $vgpr12_vgpr13
                                        ; implicit-def: $vgpr21
.LBB46_58:                              ;   in Loop: Header=BB46_50 Depth=3
	s_andn2_saveexec_b64 s[12:13], s[12:13]
	s_cbranch_execz .LBB46_60
; %bb.59:                               ;   in Loop: Header=BB46_50 Depth=3
	v_ldexp_f64 v[12:13], -v[12:13], v21
	v_cmp_o_f64_e32 vcc, v[14:15], v[14:15]
	v_mov_b32_e32 v21, 0xfff80000
	v_cndmask_b32_e32 v12, 0, v12, vcc
	v_cndmask_b32_e32 v13, v21, v13, vcc
	s_or_b64 vcc, s[72:73], s[74:75]
	v_cndmask_b32_e32 v24, v13, v31, vcc
	v_cndmask_b32_e64 v23, v12, 0, vcc
.LBB46_60:                              ;   in Loop: Header=BB46_50 Depth=3
	s_or_b64 exec, exec, s[12:13]
	v_cmp_neq_f64_e32 vcc, 0, v[14:15]
	v_mov_b32_e32 v21, 0
	v_mov_b32_e32 v12, 0
	;; [unrolled: 1-line block ×4, first 2 shown]
	s_and_saveexec_b64 s[12:13], vcc
	s_cbranch_execz .LBB46_68
; %bb.61:                               ;   in Loop: Header=BB46_50 Depth=3
	v_add_f64 v[19:20], v[19:20], v[23:24]
	v_mov_b32_e32 v12, 0
	v_mov_b32_e32 v21, 0
	v_mov_b32_e32 v13, 0
	v_mov_b32_e32 v22, 0x3ff00000
	v_cmp_neq_f64_e32 vcc, 0, v[19:20]
	s_and_saveexec_b64 s[72:73], vcc
	s_cbranch_execz .LBB46_67
; %bb.62:                               ;   in Loop: Header=BB46_50 Depth=3
	v_cmp_ngt_f64_e64 s[74:75], |v[14:15]|, |v[19:20]|
                                        ; implicit-def: $vgpr21_vgpr22
                                        ; implicit-def: $vgpr12_vgpr13
	s_and_saveexec_b64 s[86:87], s[74:75]
	s_xor_b64 s[74:75], exec, s[86:87]
	s_cbranch_execz .LBB46_64
; %bb.63:                               ;   in Loop: Header=BB46_50 Depth=3
	v_div_scale_f64 v[12:13], s[86:87], v[19:20], v[19:20], -v[14:15]
	v_rcp_f64_e32 v[21:22], v[12:13]
	v_fma_f64 v[23:24], -v[12:13], v[21:22], 1.0
	v_fma_f64 v[21:22], v[21:22], v[23:24], v[21:22]
	v_div_scale_f64 v[23:24], vcc, -v[14:15], v[19:20], -v[14:15]
	v_fma_f64 v[36:37], -v[12:13], v[21:22], 1.0
	v_fma_f64 v[21:22], v[21:22], v[36:37], v[21:22]
	v_mul_f64 v[36:37], v[23:24], v[21:22]
	v_fma_f64 v[12:13], -v[12:13], v[36:37], v[23:24]
	v_div_fmas_f64 v[12:13], v[12:13], v[21:22], v[36:37]
	v_div_fixup_f64 v[14:15], v[12:13], v[19:20], -v[14:15]
	v_fma_f64 v[12:13], v[14:15], v[14:15], 1.0
	v_cmp_gt_f64_e32 vcc, s[64:65], v[12:13]
	v_cndmask_b32_e32 v19, 0, v32, vcc
	v_ldexp_f64 v[12:13], v[12:13], v19
	v_rsq_f64_e32 v[19:20], v[12:13]
	v_mul_f64 v[21:22], v[12:13], v[19:20]
	v_mul_f64 v[19:20], v[19:20], 0.5
	v_fma_f64 v[23:24], -v[19:20], v[21:22], 0.5
	v_fma_f64 v[21:22], v[21:22], v[23:24], v[21:22]
	v_fma_f64 v[19:20], v[19:20], v[23:24], v[19:20]
	v_fma_f64 v[23:24], -v[21:22], v[21:22], v[12:13]
	v_fma_f64 v[21:22], v[23:24], v[19:20], v[21:22]
	v_fma_f64 v[23:24], -v[21:22], v[21:22], v[12:13]
	v_fma_f64 v[19:20], v[23:24], v[19:20], v[21:22]
	v_cndmask_b32_e32 v21, 0, v33, vcc
	v_cmp_class_f64_e32 vcc, v[12:13], v30
	v_ldexp_f64 v[19:20], v[19:20], v21
	v_cndmask_b32_e32 v13, v20, v13, vcc
	v_cndmask_b32_e32 v12, v19, v12, vcc
	v_div_scale_f64 v[19:20], s[86:87], v[12:13], v[12:13], 1.0
	v_div_scale_f64 v[36:37], vcc, 1.0, v[12:13], 1.0
	v_rcp_f64_e32 v[21:22], v[19:20]
	v_fma_f64 v[23:24], -v[19:20], v[21:22], 1.0
	v_fma_f64 v[21:22], v[21:22], v[23:24], v[21:22]
	v_fma_f64 v[23:24], -v[19:20], v[21:22], 1.0
	v_fma_f64 v[21:22], v[21:22], v[23:24], v[21:22]
	v_mul_f64 v[23:24], v[36:37], v[21:22]
	v_fma_f64 v[19:20], -v[19:20], v[23:24], v[36:37]
	v_div_fmas_f64 v[19:20], v[19:20], v[21:22], v[23:24]
	v_div_fixup_f64 v[12:13], v[19:20], v[12:13], 1.0
                                        ; implicit-def: $vgpr19_vgpr20
	v_mul_f64 v[21:22], v[14:15], v[12:13]
                                        ; implicit-def: $vgpr14_vgpr15
.LBB46_64:                              ;   in Loop: Header=BB46_50 Depth=3
	s_andn2_saveexec_b64 s[74:75], s[74:75]
	s_cbranch_execz .LBB46_66
; %bb.65:                               ;   in Loop: Header=BB46_50 Depth=3
	v_div_scale_f64 v[12:13], s[86:87], v[14:15], v[14:15], -v[19:20]
	v_rcp_f64_e32 v[21:22], v[12:13]
	v_fma_f64 v[23:24], -v[12:13], v[21:22], 1.0
	v_fma_f64 v[21:22], v[21:22], v[23:24], v[21:22]
	v_div_scale_f64 v[23:24], vcc, -v[19:20], v[14:15], -v[19:20]
	v_fma_f64 v[36:37], -v[12:13], v[21:22], 1.0
	v_fma_f64 v[21:22], v[21:22], v[36:37], v[21:22]
	v_mul_f64 v[36:37], v[23:24], v[21:22]
	v_fma_f64 v[12:13], -v[12:13], v[36:37], v[23:24]
	v_div_fmas_f64 v[12:13], v[12:13], v[21:22], v[36:37]
	v_div_fixup_f64 v[12:13], v[12:13], v[14:15], -v[19:20]
	v_fma_f64 v[14:15], v[12:13], v[12:13], 1.0
	v_cmp_gt_f64_e32 vcc, s[64:65], v[14:15]
	v_cndmask_b32_e32 v19, 0, v32, vcc
	v_ldexp_f64 v[14:15], v[14:15], v19
	v_rsq_f64_e32 v[19:20], v[14:15]
	v_mul_f64 v[21:22], v[14:15], v[19:20]
	v_mul_f64 v[19:20], v[19:20], 0.5
	v_fma_f64 v[23:24], -v[19:20], v[21:22], 0.5
	v_fma_f64 v[21:22], v[21:22], v[23:24], v[21:22]
	v_fma_f64 v[19:20], v[19:20], v[23:24], v[19:20]
	v_fma_f64 v[23:24], -v[21:22], v[21:22], v[14:15]
	v_fma_f64 v[21:22], v[23:24], v[19:20], v[21:22]
	v_fma_f64 v[23:24], -v[21:22], v[21:22], v[14:15]
	v_fma_f64 v[19:20], v[23:24], v[19:20], v[21:22]
	v_cndmask_b32_e32 v21, 0, v33, vcc
	v_cmp_class_f64_e32 vcc, v[14:15], v30
	v_ldexp_f64 v[19:20], v[19:20], v21
	v_cndmask_b32_e32 v15, v20, v15, vcc
	v_cndmask_b32_e32 v14, v19, v14, vcc
	v_div_scale_f64 v[19:20], s[86:87], v[14:15], v[14:15], 1.0
	v_div_scale_f64 v[36:37], vcc, 1.0, v[14:15], 1.0
	v_rcp_f64_e32 v[21:22], v[19:20]
	v_fma_f64 v[23:24], -v[19:20], v[21:22], 1.0
	v_fma_f64 v[21:22], v[21:22], v[23:24], v[21:22]
	v_fma_f64 v[23:24], -v[19:20], v[21:22], 1.0
	v_fma_f64 v[21:22], v[21:22], v[23:24], v[21:22]
	v_mul_f64 v[23:24], v[36:37], v[21:22]
	v_fma_f64 v[19:20], -v[19:20], v[23:24], v[36:37]
	v_div_fmas_f64 v[19:20], v[19:20], v[21:22], v[23:24]
	v_div_fixup_f64 v[21:22], v[19:20], v[14:15], 1.0
	v_mul_f64 v[12:13], v[12:13], v[21:22]
.LBB46_66:                              ;   in Loop: Header=BB46_50 Depth=3
	s_or_b64 exec, exec, s[74:75]
.LBB46_67:                              ;   in Loop: Header=BB46_50 Depth=3
	s_or_b64 exec, exec, s[72:73]
.LBB46_68:                              ;   in Loop: Header=BB46_50 Depth=3
	s_or_b64 exec, exec, s[12:13]
	v_mul_f64 v[14:15], v[17:18], v[21:22]
	v_and_b32_e32 v20, 0x7fffffff, v18
	v_mov_b32_e32 v19, v17
	v_div_scale_f64 v[21:22], s[12:13], v[19:20], v[19:20], v[14:15]
	v_div_scale_f64 v[19:20], vcc, v[14:15], v[19:20], v[14:15]
	v_rcp_f64_e32 v[23:24], v[21:22]
	v_fma_f64 v[36:37], -v[21:22], v[23:24], 1.0
	v_fma_f64 v[23:24], v[23:24], v[36:37], v[23:24]
	v_fma_f64 v[36:37], -v[21:22], v[23:24], 1.0
	v_fma_f64 v[23:24], v[23:24], v[36:37], v[23:24]
	v_mul_f64 v[36:37], v[19:20], v[23:24]
	v_fma_f64 v[19:20], -v[21:22], v[36:37], v[19:20]
	v_div_fmas_f64 v[19:20], v[19:20], v[23:24], v[36:37]
	v_div_fixup_f64 v[14:15], v[19:20], |v[17:18]|, v[14:15]
.LBB46_69:                              ;   in Loop: Header=BB46_50 Depth=3
	s_or_b64 exec, exec, s[70:71]
	ds_write_b64 v25, v[12:13]
	ds_write_b64 v26, v[14:15]
.LBB46_70:                              ;   in Loop: Header=BB46_50 Depth=3
	s_or_b64 exec, exec, s[68:69]
	s_and_b64 s[8:9], s[8:9], s[10:11]
	s_mov_b64 s[12:13], 0
	s_waitcnt lgkmcnt(0)
	s_barrier
	s_and_saveexec_b64 s[10:11], s[8:9]
	s_cbranch_execz .LBB46_82
; %bb.71:                               ;   in Loop: Header=BB46_50 Depth=3
	ds_read_b64 v[12:13], v25
	ds_read_b64 v[14:15], v26
	s_mov_b64 s[8:9], 0
	s_and_saveexec_b64 s[12:13], s[2:3]
	s_cbranch_execz .LBB46_81
; %bb.72:                               ;   in Loop: Header=BB46_50 Depth=3
	v_mad_u64_u32 v[10:11], s[8:9], v2, s19, v[0:1]
	v_mad_u64_u32 v[17:18], s[8:9], v16, s19, v[0:1]
	v_mul_lo_u32 v23, v16, s23
	v_mul_lo_u32 v24, v2, s23
	v_ashrrev_i32_e32 v11, 31, v10
	v_ashrrev_i32_e32 v18, 31, v17
	v_lshlrev_b64 v[10:11], 3, v[10:11]
	v_lshlrev_b64 v[17:18], 3, v[17:18]
	s_mov_b64 s[68:69], 0
	s_mov_b64 s[70:71], s[40:41]
	v_mov_b32_e32 v36, v0
	v_mov_b32_e32 v37, v5
	s_branch .LBB46_75
.LBB46_73:                              ;   in Loop: Header=BB46_75 Depth=4
	s_or_b64 exec, exec, s[72:73]
.LBB46_74:                              ;   in Loop: Header=BB46_75 Depth=4
	v_add_u32_e32 v37, s33, v37
	s_add_u32 s70, s70, s58
	s_addc_u32 s71, s71, s59
	v_cmp_le_i32_e32 vcc, s36, v37
	s_or_b64 s[68:69], vcc, s[68:69]
	v_add_u32_e32 v36, s56, v36
	s_andn2_b64 exec, exec, s[68:69]
	s_cbranch_execz .LBB46_80
.LBB46_75:                              ;   Parent Loop BB46_45 Depth=1
                                        ;     Parent Loop BB46_48 Depth=2
                                        ;       Parent Loop BB46_50 Depth=3
                                        ; =>      This Inner Loop Header: Depth=4
	v_mov_b32_e32 v22, s71
	v_add_co_u32_e32 v19, vcc, s70, v17
	v_addc_co_u32_e32 v20, vcc, v22, v18, vcc
	v_add_co_u32_e32 v21, vcc, s70, v10
	v_addc_co_u32_e32 v22, vcc, v22, v11, vcc
	global_load_dwordx2 v[38:39], v[21:22], off
	global_load_dwordx2 v[40:41], v[19:20], off
	s_waitcnt vmcnt(1) lgkmcnt(0)
	v_mul_f64 v[42:43], v[14:15], v[38:39]
	s_waitcnt vmcnt(0)
	v_mul_f64 v[44:45], v[14:15], v[40:41]
	v_fma_f64 v[40:41], v[12:13], v[40:41], v[42:43]
	v_fma_f64 v[38:39], v[12:13], v[38:39], -v[44:45]
	v_add_u32_e32 v42, 1, v36
	v_cmp_gt_i32_e64 s[8:9], s19, v42
	global_store_dwordx2 v[19:20], v[40:41], off
	global_store_dwordx2 v[21:22], v[38:39], off
	s_and_saveexec_b64 s[72:73], s[8:9]
	s_cbranch_execz .LBB46_77
; %bb.76:                               ;   in Loop: Header=BB46_75 Depth=4
	global_load_dwordx2 v[38:39], v[21:22], off offset:8
	global_load_dwordx2 v[40:41], v[19:20], off offset:8
	s_waitcnt vmcnt(1)
	v_mul_f64 v[42:43], v[14:15], v[38:39]
	s_waitcnt vmcnt(0)
	v_mul_f64 v[44:45], v[14:15], v[40:41]
	v_fma_f64 v[40:41], v[12:13], v[40:41], v[42:43]
	v_fma_f64 v[38:39], v[12:13], v[38:39], -v[44:45]
	global_store_dwordx2 v[19:20], v[40:41], off offset:8
	global_store_dwordx2 v[21:22], v[38:39], off offset:8
.LBB46_77:                              ;   in Loop: Header=BB46_75 Depth=4
	s_or_b64 exec, exec, s[72:73]
	s_andn2_b64 vcc, exec, s[50:51]
	s_cbranch_vccnz .LBB46_74
; %bb.78:                               ;   in Loop: Header=BB46_75 Depth=4
	v_add_u32_e32 v19, v23, v36
	v_ashrrev_i32_e32 v20, 31, v19
	v_lshlrev_b64 v[19:20], 3, v[19:20]
	v_mov_b32_e32 v21, s35
	v_add_co_u32_e32 v19, vcc, s34, v19
	v_addc_co_u32_e32 v20, vcc, v21, v20, vcc
	v_add_u32_e32 v21, v24, v36
	v_ashrrev_i32_e32 v22, 31, v21
	v_lshlrev_b64 v[21:22], 3, v[21:22]
	v_mov_b32_e32 v38, s35
	v_add_co_u32_e32 v21, vcc, s34, v21
	v_addc_co_u32_e32 v22, vcc, v38, v22, vcc
	global_load_dwordx2 v[38:39], v[21:22], off
	global_load_dwordx2 v[40:41], v[19:20], off
	s_waitcnt vmcnt(1)
	v_mul_f64 v[42:43], v[14:15], v[38:39]
	s_waitcnt vmcnt(0)
	v_mul_f64 v[44:45], v[14:15], v[40:41]
	v_fma_f64 v[40:41], v[12:13], v[40:41], v[42:43]
	v_fma_f64 v[38:39], v[12:13], v[38:39], -v[44:45]
	global_store_dwordx2 v[19:20], v[40:41], off
	global_store_dwordx2 v[21:22], v[38:39], off
	s_and_saveexec_b64 s[72:73], s[8:9]
	s_cbranch_execz .LBB46_73
; %bb.79:                               ;   in Loop: Header=BB46_75 Depth=4
	global_load_dwordx2 v[38:39], v[21:22], off offset:8
	global_load_dwordx2 v[40:41], v[19:20], off offset:8
	s_waitcnt vmcnt(1)
	v_mul_f64 v[42:43], v[14:15], v[38:39]
	s_waitcnt vmcnt(0)
	v_mul_f64 v[44:45], v[14:15], v[40:41]
	v_fma_f64 v[40:41], v[12:13], v[40:41], v[42:43]
	v_fma_f64 v[38:39], v[12:13], v[38:39], -v[44:45]
	global_store_dwordx2 v[19:20], v[40:41], off offset:8
	global_store_dwordx2 v[21:22], v[38:39], off offset:8
	s_branch .LBB46_73
.LBB46_80:                              ;   in Loop: Header=BB46_50 Depth=3
	s_or_b64 exec, exec, s[68:69]
	s_mov_b64 s[8:9], exec
.LBB46_81:                              ;   in Loop: Header=BB46_50 Depth=3
	s_or_b64 exec, exec, s[12:13]
	s_waitcnt lgkmcnt(0)
	v_mov_b32_e32 v10, v14
	s_and_b64 s[12:13], s[8:9], exec
	v_mov_b32_e32 v11, v15
.LBB46_82:                              ;   in Loop: Header=BB46_50 Depth=3
	s_or_b64 exec, exec, s[10:11]
	s_waitcnt vmcnt(0)
	s_barrier
	s_and_saveexec_b64 s[8:9], s[12:13]
	s_cbranch_execz .LBB46_87
; %bb.83:                               ;   in Loop: Header=BB46_50 Depth=3
	v_add_u32_e32 v17, v29, v16
	v_add_u32_e32 v18, v29, v2
	;; [unrolled: 1-line block ×4, first 2 shown]
	s_mov_b32 s45, 0
	s_mov_b64 s[10:11], 0
	v_mov_b32_e32 v21, v27
	v_mov_b32_e32 v22, v5
	s_branch .LBB46_85
.LBB46_84:                              ;   in Loop: Header=BB46_85 Depth=4
	s_or_b64 exec, exec, s[12:13]
	v_add_u32_e32 v22, s33, v22
	s_add_i32 s45, s45, s83
	v_cmp_le_i32_e32 vcc, s36, v22
	s_or_b64 s[10:11], vcc, s[10:11]
	v_add_u32_e32 v21, s56, v21
	s_andn2_b64 exec, exec, s[10:11]
	s_cbranch_execz .LBB46_87
.LBB46_85:                              ;   Parent Loop BB46_45 Depth=1
                                        ;     Parent Loop BB46_48 Depth=2
                                        ;       Parent Loop BB46_50 Depth=3
                                        ; =>      This Inner Loop Header: Depth=4
	v_add_u32_e32 v23, s45, v20
	v_ashrrev_i32_e32 v24, 31, v23
	v_lshlrev_b64 v[23:24], 3, v[23:24]
	v_mov_b32_e32 v36, s41
	v_add_co_u32_e32 v23, vcc, s40, v23
	v_addc_co_u32_e32 v24, vcc, v36, v24, vcc
	v_add_u32_e32 v36, s45, v19
	v_ashrrev_i32_e32 v37, 31, v36
	v_lshlrev_b64 v[36:37], 3, v[36:37]
	v_mov_b32_e32 v38, s41
	v_add_co_u32_e32 v36, vcc, s40, v36
	v_addc_co_u32_e32 v37, vcc, v38, v37, vcc
	global_load_dwordx2 v[38:39], v[36:37], off
	global_load_dwordx2 v[40:41], v[23:24], off
	v_cmp_gt_i32_e32 vcc, s19, v21
	s_waitcnt vmcnt(1)
	v_mul_f64 v[42:43], v[14:15], v[38:39]
	s_waitcnt vmcnt(0)
	v_mul_f64 v[44:45], v[10:11], v[40:41]
	v_fma_f64 v[40:41], v[12:13], v[40:41], v[42:43]
	v_fma_f64 v[38:39], v[12:13], v[38:39], -v[44:45]
	global_store_dwordx2 v[23:24], v[40:41], off
	global_store_dwordx2 v[36:37], v[38:39], off
	s_and_saveexec_b64 s[12:13], vcc
	s_cbranch_execz .LBB46_84
; %bb.86:                               ;   in Loop: Header=BB46_85 Depth=4
	v_add_u32_e32 v23, s45, v17
	v_ashrrev_i32_e32 v24, 31, v23
	v_lshlrev_b64 v[23:24], 3, v[23:24]
	v_mov_b32_e32 v36, s41
	v_add_co_u32_e32 v23, vcc, s40, v23
	v_addc_co_u32_e32 v24, vcc, v36, v24, vcc
	v_add_u32_e32 v36, s45, v18
	v_ashrrev_i32_e32 v37, 31, v36
	v_lshlrev_b64 v[36:37], 3, v[36:37]
	v_mov_b32_e32 v38, s41
	v_add_co_u32_e32 v36, vcc, s40, v36
	v_addc_co_u32_e32 v37, vcc, v38, v37, vcc
	global_load_dwordx2 v[38:39], v[36:37], off
	global_load_dwordx2 v[40:41], v[23:24], off
	s_waitcnt vmcnt(1)
	v_mul_f64 v[42:43], v[14:15], v[38:39]
	s_waitcnt vmcnt(0)
	v_mul_f64 v[44:45], v[10:11], v[40:41]
	v_fma_f64 v[40:41], v[12:13], v[40:41], v[42:43]
	v_fma_f64 v[38:39], v[12:13], v[38:39], -v[44:45]
	global_store_dwordx2 v[23:24], v[40:41], off
	global_store_dwordx2 v[36:37], v[38:39], off
	s_branch .LBB46_84
.LBB46_87:                              ;   in Loop: Header=BB46_50 Depth=3
	s_or_b64 exec, exec, s[8:9]
	s_waitcnt vmcnt(0)
	s_barrier
	s_and_saveexec_b64 s[8:9], s[66:67]
	s_cbranch_execz .LBB46_89
; %bb.88:                               ;   in Loop: Header=BB46_50 Depth=3
	v_mad_u64_u32 v[17:18], s[10:11], v2, s19, v[16:17]
	v_mov_b32_e32 v19, s41
	s_mov_b32 s45, s44
	v_ashrrev_i32_e32 v18, 31, v17
	v_lshlrev_b64 v[17:18], 3, v[17:18]
	v_mov_b32_e32 v21, s44
	v_add_co_u32_e32 v17, vcc, s40, v17
	v_addc_co_u32_e32 v18, vcc, v19, v18, vcc
	v_mad_u64_u32 v[19:20], s[10:11], v16, s19, v[2:3]
	v_mov_b32_e32 v22, s45
	global_store_dwordx2 v[17:18], v[21:22], off
	v_ashrrev_i32_e32 v20, 31, v19
	v_lshlrev_b64 v[17:18], 3, v[19:20]
	v_mov_b32_e32 v19, s41
	v_add_co_u32_e32 v17, vcc, s40, v17
	v_addc_co_u32_e32 v18, vcc, v19, v18, vcc
	global_store_dwordx2 v[17:18], v[21:22], off
.LBB46_89:                              ;   in Loop: Header=BB46_50 Depth=3
	s_or_b64 exec, exec, s[8:9]
	s_and_b64 s[6:7], s[0:1], s[6:7]
	s_waitcnt vmcnt(0)
	s_barrier
	s_and_saveexec_b64 s[8:9], s[6:7]
	s_cbranch_execz .LBB46_101
; %bb.90:                               ;   in Loop: Header=BB46_50 Depth=3
	v_cmp_lt_i32_e32 vcc, 0, v16
	s_and_saveexec_b64 s[10:11], vcc
	s_cbranch_execz .LBB46_96
; %bb.91:                               ;   in Loop: Header=BB46_50 Depth=3
	v_cmp_ne_u32_e32 vcc, 2, v16
	v_cmp_ne_u32_e64 s[6:7], s78, v16
	s_and_b64 s[6:7], vcc, s[6:7]
                                        ; implicit-def: $vgpr17
	s_and_saveexec_b64 s[12:13], s[6:7]
	s_xor_b64 s[6:7], exec, s[12:13]
; %bb.92:                               ;   in Loop: Header=BB46_50 Depth=3
	v_and_b32_e32 v17, 1, v16
	v_cmp_eq_u32_e32 vcc, 0, v17
	v_cndmask_b32_e64 v17, 2, -2, vcc
	v_add_u32_e32 v17, v17, v16
                                        ; implicit-def: $vgpr16
; %bb.93:                               ;   in Loop: Header=BB46_50 Depth=3
	s_andn2_saveexec_b64 s[6:7], s[6:7]
; %bb.94:                               ;   in Loop: Header=BB46_50 Depth=3
	v_add_u32_e32 v17, -1, v16
; %bb.95:                               ;   in Loop: Header=BB46_50 Depth=3
	s_or_b64 exec, exec, s[6:7]
	v_lshl_add_u32 v16, v35, 2, s76
	ds_write_b32 v16, v17
.LBB46_96:                              ;   in Loop: Header=BB46_50 Depth=3
	s_or_b64 exec, exec, s[10:11]
	v_cmp_ne_u32_e32 vcc, 2, v2
	v_cmp_ne_u32_e64 s[6:7], s78, v2
	s_and_b64 s[6:7], vcc, s[6:7]
                                        ; implicit-def: $vgpr16
	s_and_saveexec_b64 s[10:11], s[6:7]
	s_xor_b64 s[6:7], exec, s[10:11]
; %bb.97:                               ;   in Loop: Header=BB46_50 Depth=3
	v_and_b32_e32 v16, 1, v2
	v_cmp_eq_u32_e32 vcc, 0, v16
	v_cndmask_b32_e64 v16, 2, -2, vcc
	v_add_u32_e32 v16, v16, v2
                                        ; implicit-def: $vgpr2
; %bb.98:                               ;   in Loop: Header=BB46_50 Depth=3
	s_andn2_saveexec_b64 s[6:7], s[6:7]
; %bb.99:                               ;   in Loop: Header=BB46_50 Depth=3
	v_add_u32_e32 v16, -1, v2
; %bb.100:                              ;   in Loop: Header=BB46_50 Depth=3
	s_or_b64 exec, exec, s[6:7]
	ds_write_b32 v34, v16
.LBB46_101:                             ;   in Loop: Header=BB46_50 Depth=3
	s_or_b64 exec, exec, s[8:9]
	s_add_i32 s6, s84, 1
	s_cmp_eq_u32 s84, s79
	s_waitcnt lgkmcnt(0)
	s_barrier
	s_cbranch_scc1 .LBB46_47
; %bb.102:                              ;   in Loop: Header=BB46_50 Depth=3
	s_mov_b32 s84, s6
	s_branch .LBB46_50
.LBB46_103:                             ;   in Loop: Header=BB46_45 Depth=1
	s_and_saveexec_b64 s[8:9], s[0:1]
	s_cbranch_execz .LBB46_113
; %bb.104:                              ;   in Loop: Header=BB46_45 Depth=1
	v_mov_b32_e32 v16, 0
	v_mov_b32_e32 v17, 0
	s_and_saveexec_b64 s[10:11], s[4:5]
	s_cbranch_execz .LBB46_112
; %bb.105:                              ;   in Loop: Header=BB46_45 Depth=1
	v_mov_b32_e32 v16, 0
	v_mov_b32_e32 v19, v7
	v_mov_b32_e32 v17, 0
	s_mov_b64 s[12:13], 0
	v_mov_b32_e32 v18, v6
	v_mov_b32_e32 v2, v1
	s_branch .LBB46_107
.LBB46_106:                             ;   in Loop: Header=BB46_107 Depth=2
	s_or_b64 exec, exec, s[66:67]
	v_add_u32_e32 v2, s22, v2
	v_cmp_le_i32_e32 vcc, s19, v2
	v_mov_b32_e32 v20, s61
	s_or_b64 s[12:13], vcc, s[12:13]
	v_add_co_u32_e32 v18, vcc, s60, v18
	v_addc_co_u32_e32 v19, vcc, v19, v20, vcc
	s_andn2_b64 exec, exec, s[12:13]
	s_cbranch_execz .LBB46_111
.LBB46_107:                             ;   Parent Loop BB46_45 Depth=1
                                        ; =>  This Loop Header: Depth=2
                                        ;       Child Loop BB46_109 Depth 3
	v_cmp_lt_i32_e32 vcc, 0, v2
	s_and_saveexec_b64 s[66:67], vcc
	s_cbranch_execz .LBB46_106
; %bb.108:                              ;   in Loop: Header=BB46_107 Depth=2
	v_mov_b32_e32 v21, v19
	s_mov_b32 s45, 0
	s_mov_b64 s[68:69], 0
	v_mov_b32_e32 v20, v18
.LBB46_109:                             ;   Parent Loop BB46_45 Depth=1
                                        ;     Parent Loop BB46_107 Depth=2
                                        ; =>    This Inner Loop Header: Depth=3
	global_load_dwordx2 v[22:23], v[20:21], off
	s_add_i32 s45, s45, 1
	v_add_co_u32_e32 v20, vcc, s62, v20
	v_cmp_eq_u32_e64 s[6:7], s45, v2
	s_or_b64 s[68:69], s[6:7], s[68:69]
	s_waitcnt vmcnt(0)
	v_mul_f64 v[22:23], v[22:23], v[22:23]
	v_fma_f64 v[16:17], v[22:23], 2.0, v[16:17]
	v_mov_b32_e32 v22, s63
	v_addc_co_u32_e32 v21, vcc, v21, v22, vcc
	s_andn2_b64 exec, exec, s[68:69]
	s_cbranch_execnz .LBB46_109
; %bb.110:                              ;   in Loop: Header=BB46_107 Depth=2
	s_or_b64 exec, exec, s[68:69]
	s_branch .LBB46_106
.LBB46_111:                             ;   in Loop: Header=BB46_45 Depth=1
	s_or_b64 exec, exec, s[12:13]
.LBB46_112:                             ;   in Loop: Header=BB46_45 Depth=1
	s_or_b64 exec, exec, s[10:11]
	ds_write_b64 v25, v[16:17]
.LBB46_113:                             ;   in Loop: Header=BB46_45 Depth=1
	s_or_b64 exec, exec, s[8:9]
	s_andn2_b64 vcc, exec, s[20:21]
	s_waitcnt lgkmcnt(0)
	s_barrier
	s_cbranch_vccnz .LBB46_43
; %bb.114:                              ;   in Loop: Header=BB46_45 Depth=1
	s_andn2_b64 vcc, exec, s[52:53]
	s_cbranch_vccnz .LBB46_118
; %bb.115:                              ;   in Loop: Header=BB46_45 Depth=1
	v_mov_b32_e32 v16, 0
	s_mov_b32 s6, 0
	v_mov_b32_e32 v17, 0
	s_mov_b32 s7, 0
.LBB46_116:                             ;   Parent Loop BB46_45 Depth=1
                                        ; =>  This Inner Loop Header: Depth=2
	v_mov_b32_e32 v2, s7
	ds_read2_b64 v[18:21], v2 offset1:1
	ds_read2_b64 v[34:37], v2 offset0:2 offset1:3
	s_add_i32 s6, s6, 8
	s_add_i32 s7, s7, 64
	s_cmp_lg_u32 s82, s6
	s_waitcnt lgkmcnt(1)
	v_add_f64 v[16:17], v[16:17], v[18:19]
	v_add_f64 v[16:17], v[16:17], v[20:21]
	s_waitcnt lgkmcnt(0)
	v_add_f64 v[16:17], v[16:17], v[34:35]
	v_add_f64 v[34:35], v[16:17], v[36:37]
	ds_read2_b64 v[16:19], v2 offset0:4 offset1:5
	ds_read2_b64 v[20:23], v2 offset0:6 offset1:7
	s_waitcnt lgkmcnt(1)
	v_add_f64 v[16:17], v[34:35], v[16:17]
	v_add_f64 v[16:17], v[16:17], v[18:19]
	s_waitcnt lgkmcnt(0)
	v_add_f64 v[16:17], v[16:17], v[20:21]
	v_add_f64 v[16:17], v[16:17], v[22:23]
	s_cbranch_scc1 .LBB46_116
; %bb.117:                              ;   in Loop: Header=BB46_45 Depth=1
	s_mov_b32 s6, s82
	s_andn2_b64 vcc, exec, s[54:55]
	s_cbranch_vccz .LBB46_119
	s_branch .LBB46_44
.LBB46_118:                             ;   in Loop: Header=BB46_45 Depth=1
	v_mov_b32_e32 v16, 0
	v_mov_b32_e32 v17, 0
	s_mov_b32 s6, 0
	s_andn2_b64 vcc, exec, s[54:55]
	s_cbranch_vccnz .LBB46_44
.LBB46_119:                             ;   in Loop: Header=BB46_45 Depth=1
	s_lshl_b32 s6, s6, 3
	s_add_i32 s6, s6, 0
	s_mov_b32 s7, s81
.LBB46_120:                             ;   Parent Loop BB46_45 Depth=1
                                        ; =>  This Inner Loop Header: Depth=2
	v_mov_b32_e32 v2, s6
	ds_read_b64 v[18:19], v2
	s_add_i32 s6, s6, 8
	s_add_i32 s7, s7, -1
	s_cmp_lg_u32 s7, 0
	s_waitcnt lgkmcnt(0)
	v_add_f64 v[16:17], v[16:17], v[18:19]
	s_cbranch_scc1 .LBB46_120
	s_branch .LBB46_44
.LBB46_121:
	s_mul_i32 s2, s28, s43
	s_mul_hi_u32 s3, s28, s42
	s_add_i32 s2, s3, s2
	s_mul_i32 s3, s29, s42
	s_add_i32 s5, s2, s3
	s_mul_i32 s4, s28, s42
	s_and_saveexec_b64 s[6:7], s[0:1]
	s_cbranch_execz .LBB46_127
; %bb.122:
	v_cmp_eq_u32_e32 vcc, 0, v1
	s_and_saveexec_b64 s[2:3], vcc
	s_cbranch_execz .LBB46_124
; %bb.123:
	s_mov_b32 s12, 0
	s_lshl_b64 s[8:9], s[42:43], 3
	s_brev_b32 s13, 8
	s_add_u32 s8, s14, s8
	v_cmp_gt_f64_e32 vcc, s[12:13], v[16:17]
	s_addc_u32 s9, s15, s9
	s_lshl_b64 s[10:11], s[42:43], 2
	s_add_u32 s12, s24, s10
	s_addc_u32 s13, s25, s11
	s_add_u32 s10, s30, s10
	s_addc_u32 s11, s31, s11
	s_cmp_gt_i32 s37, s18
	s_cselect_b64 s[14:15], -1, 0
	s_min_i32 s18, s37, s18
	s_and_b64 s[20:21], vcc, exec
	s_cselect_b32 s20, 0x100, 0
	v_ldexp_f64 v[2:3], v[16:17], s20
	v_mov_b32_e32 v0, 0x260
	s_cselect_b32 s20, 0xffffff80, 0
	v_rsq_f64_e32 v[4:5], v[2:3]
	v_cmp_class_f64_e32 vcc, v[2:3], v0
	v_mov_b32_e32 v0, 0
	v_mul_f64 v[6:7], v[2:3], v[4:5]
	v_mul_f64 v[4:5], v[4:5], 0.5
	v_fma_f64 v[8:9], -v[4:5], v[6:7], 0.5
	v_fma_f64 v[6:7], v[6:7], v[8:9], v[6:7]
	v_fma_f64 v[4:5], v[4:5], v[8:9], v[4:5]
	v_fma_f64 v[8:9], -v[6:7], v[6:7], v[2:3]
	v_fma_f64 v[6:7], v[8:9], v[4:5], v[6:7]
	v_fma_f64 v[8:9], -v[6:7], v[6:7], v[2:3]
	v_fma_f64 v[4:5], v[8:9], v[4:5], v[6:7]
	v_mov_b32_e32 v7, s18
	v_cndmask_b32_e64 v6, 0, 1, s[14:15]
	global_store_dword v0, v7, s[12:13]
	v_ldexp_f64 v[4:5], v[4:5], s20
	v_cndmask_b32_e32 v3, v5, v3, vcc
	v_cndmask_b32_e32 v2, v4, v2, vcc
	global_store_dwordx2 v0, v[2:3], s[8:9]
	global_store_dword v0, v6, s[10:11]
.LBB46_124:
	s_or_b64 exec, exec, s[2:3]
	v_cmp_gt_i32_e32 vcc, s19, v1
	s_and_b64 exec, exec, vcc
	s_cbranch_execz .LBB46_127
; %bb.125:
	s_add_i32 s10, s19, 1
	s_lshl_b64 s[2:3], s[4:5], 3
	s_add_u32 s2, s26, s2
	v_ashrrev_i32_e32 v2, 31, v1
	s_addc_u32 s3, s27, s3
	s_ashr_i32 s39, s38, 31
	v_mov_b32_e32 v4, s38
	v_lshlrev_b64 v[2:3], 3, v[1:2]
	s_ashr_i32 s37, s36, 31
	v_mov_b32_e32 v5, s39
	v_cmp_lt_i64_e32 vcc, s[36:37], v[4:5]
	v_mov_b32_e32 v0, s3
	v_add_co_u32_e64 v2, s[2:3], s2, v2
	v_addc_co_u32_e64 v3, s[2:3], v0, v3, s[2:3]
	s_and_b64 s[2:3], vcc, exec
	v_mad_u64_u32 v[4:5], s[8:9], v1, s19, v[1:2]
	s_cselect_b32 s3, s37, s39
	s_cselect_b32 s2, s36, s38
	s_lshl_b64 s[2:3], s[2:3], 3
	s_mul_i32 s10, s22, s10
	s_mov_b64 s[8:9], 0
	v_mov_b32_e32 v0, s41
	v_mov_b32_e32 v6, s3
	;; [unrolled: 1-line block ×3, first 2 shown]
.LBB46_126:                             ; =>This Inner Loop Header: Depth=1
	v_ashrrev_i32_e32 v5, 31, v4
	v_lshlrev_b64 v[8:9], 3, v[4:5]
	v_add_u32_e32 v7, s22, v7
	v_add_co_u32_e32 v8, vcc, s40, v8
	v_addc_co_u32_e32 v9, vcc, v0, v9, vcc
	global_load_dwordx2 v[8:9], v[8:9], off
	v_cmp_le_i32_e32 vcc, s19, v7
	s_or_b64 s[8:9], vcc, s[8:9]
	v_add_u32_e32 v4, s10, v4
	s_waitcnt vmcnt(0)
	global_store_dwordx2 v[2:3], v[8:9], off
	v_add_co_u32_e32 v2, vcc, s2, v2
	v_addc_co_u32_e32 v3, vcc, v3, v6, vcc
	s_andn2_b64 exec, exec, s[8:9]
	s_cbranch_execnz .LBB46_126
.LBB46_127:
	s_or_b64 exec, exec, s[6:7]
	s_cmpk_eq_i32 s16, 0xfb
	s_cselect_b64 s[2:3], -1, 0
	s_cmp_lt_i32 s19, 2
	s_cselect_b64 s[6:7], -1, 0
	s_or_b64 s[2:3], s[2:3], s[6:7]
	s_and_b64 vcc, exec, s[2:3]
	s_waitcnt vmcnt(0)
	s_barrier
	s_cbranch_vccnz .LBB46_138
; %bb.128:
	s_lshl_b64 s[2:3], s[4:5], 3
	s_add_u32 s18, s26, s2
	s_addc_u32 s24, s27, s3
	s_cmpk_lg_i32 s17, 0xd5
	s_cselect_b64 s[2:3], -1, 0
	v_cmp_gt_i32_e32 vcc, s19, v1
	s_and_b64 s[8:9], s[2:3], vcc
	s_add_i32 s25, s19, -2
	s_add_u32 s10, s18, 8
	s_addc_u32 s11, s24, 0
	s_ashr_i32 s39, s38, 31
	v_mov_b32_e32 v2, s38
	s_ashr_i32 s37, s36, 31
	v_mov_b32_e32 v3, s39
	v_cmp_lt_i64_e64 s[2:3], s[36:37], v[2:3]
	s_mov_b32 s7, 0
	s_and_b64 s[2:3], s[2:3], exec
	s_cselect_b32 s3, s37, s39
	s_cselect_b32 s2, s36, s38
	v_cmp_eq_u32_e32 vcc, 0, v1
	s_lshl_b64 s[12:13], s[2:3], 3
	v_mov_b32_e32 v0, 0
	v_mov_b32_e32 v2, v1
	s_mov_b32 s6, s7
	s_branch .LBB46_130
.LBB46_129:                             ;   in Loop: Header=BB46_130 Depth=1
	s_or_b64 exec, exec, s[14:15]
	s_add_u32 s10, s10, 8
	s_addc_u32 s11, s11, 0
	v_add_u32_e32 v2, s23, v2
	s_cmp_lg_u32 s6, s25
	s_mov_b32 s6, s26
	s_waitcnt vmcnt(0)
	s_barrier
	s_cbranch_scc0 .LBB46_138
.LBB46_130:                             ; =>This Loop Header: Depth=1
                                        ;     Child Loop BB46_131 Depth 2
                                        ;     Child Loop BB46_137 Depth 2
	s_lshl_b64 s[2:3], s[6:7], 3
	s_add_u32 s16, s18, s2
	s_addc_u32 s17, s24, s3
	global_load_dwordx2 v[3:4], v0, s[16:17]
	s_add_i32 s26, s6, 1
	s_mov_b64 s[14:15], s[10:11]
	s_mov_b32 s4, s6
	s_mov_b32 s5, s26
.LBB46_131:                             ;   Parent Loop BB46_130 Depth=1
                                        ; =>  This Inner Loop Header: Depth=2
	global_load_dwordx2 v[5:6], v0, s[14:15]
	s_waitcnt vmcnt(0)
	v_cmp_lt_f64_e64 s[2:3], v[5:6], v[3:4]
	s_and_b64 s[20:21], s[2:3], exec
	s_cselect_b32 s4, s5, s4
	s_add_i32 s5, s5, 1
	s_add_u32 s14, s14, 8
	s_addc_u32 s15, s15, 0
	v_cndmask_b32_e64 v4, v4, v6, s[2:3]
	s_cmp_lg_u32 s19, s5
	v_cndmask_b32_e64 v3, v3, v5, s[2:3]
	s_cbranch_scc1 .LBB46_131
; %bb.132:                              ;   in Loop: Header=BB46_130 Depth=1
	s_cmp_lg_u32 s4, s6
	s_cselect_b64 s[2:3], -1, 0
	s_and_b64 s[2:3], s[0:1], s[2:3]
	s_barrier
	s_and_saveexec_b64 s[14:15], s[2:3]
	s_cbranch_execz .LBB46_129
; %bb.133:                              ;   in Loop: Header=BB46_130 Depth=1
	s_and_saveexec_b64 s[2:3], vcc
	s_cbranch_execz .LBB46_135
; %bb.134:                              ;   in Loop: Header=BB46_130 Depth=1
	global_load_dwordx2 v[5:6], v0, s[16:17]
	s_ashr_i32 s5, s4, 31
	s_lshl_b64 s[20:21], s[4:5], 3
	s_add_u32 s20, s18, s20
	s_addc_u32 s21, s24, s21
	s_waitcnt vmcnt(0)
	global_store_dwordx2 v0, v[5:6], s[20:21]
	global_store_dwordx2 v0, v[3:4], s[16:17]
.LBB46_135:                             ;   in Loop: Header=BB46_130 Depth=1
	s_or_b64 exec, exec, s[2:3]
	s_and_b64 exec, exec, s[8:9]
	s_cbranch_execz .LBB46_129
; %bb.136:                              ;   in Loop: Header=BB46_130 Depth=1
	s_mul_i32 s2, s4, s23
	v_add_u32_e32 v5, s2, v1
	v_ashrrev_i32_e32 v3, 31, v2
	v_ashrrev_i32_e32 v6, 31, v5
	v_lshlrev_b64 v[3:4], 3, v[2:3]
	v_lshlrev_b64 v[5:6], 3, v[5:6]
	s_mov_b64 s[16:17], 0
	s_mov_b64 s[20:21], s[34:35]
	v_mov_b32_e32 v7, v1
.LBB46_137:                             ;   Parent Loop BB46_130 Depth=1
                                        ; =>  This Inner Loop Header: Depth=2
	v_mov_b32_e32 v9, s21
	v_add_co_u32_e64 v8, s[2:3], s20, v3
	v_add_co_u32_e64 v10, s[4:5], s20, v5
	v_addc_co_u32_e64 v11, s[4:5], v9, v6, s[4:5]
	v_addc_co_u32_e64 v9, s[2:3], v9, v4, s[2:3]
	global_load_dwordx2 v[12:13], v[8:9], off
	global_load_dwordx2 v[14:15], v[10:11], off
	v_add_u32_e32 v7, s22, v7
	s_add_u32 s20, s20, s12
	s_addc_u32 s21, s21, s13
	v_cmp_le_i32_e64 s[2:3], s19, v7
	s_or_b64 s[16:17], s[2:3], s[16:17]
	s_waitcnt vmcnt(1)
	global_store_dwordx2 v[10:11], v[12:13], off
	s_waitcnt vmcnt(1)
	global_store_dwordx2 v[8:9], v[14:15], off
	s_andn2_b64 exec, exec, s[16:17]
	s_cbranch_execnz .LBB46_137
	s_branch .LBB46_129
.LBB46_138:
	s_endpgm
	.section	.rodata,"a",@progbits
	.p2align	6, 0x0
	.amdhsa_kernel _ZN9rocsolver6v33100L18syevj_small_kernelIddPdEEv14rocblas_esort_14rocblas_evect_13rocblas_fill_iT1_iilT0_S7_PS7_iPiS8_lS9_PT_
		.amdhsa_group_segment_fixed_size 0
		.amdhsa_private_segment_fixed_size 0
		.amdhsa_kernarg_size 112
		.amdhsa_user_sgpr_count 6
		.amdhsa_user_sgpr_private_segment_buffer 1
		.amdhsa_user_sgpr_dispatch_ptr 0
		.amdhsa_user_sgpr_queue_ptr 0
		.amdhsa_user_sgpr_kernarg_segment_ptr 1
		.amdhsa_user_sgpr_dispatch_id 0
		.amdhsa_user_sgpr_flat_scratch_init 0
		.amdhsa_user_sgpr_private_segment_size 0
		.amdhsa_uses_dynamic_stack 0
		.amdhsa_system_sgpr_private_segment_wavefront_offset 0
		.amdhsa_system_sgpr_workgroup_id_x 1
		.amdhsa_system_sgpr_workgroup_id_y 0
		.amdhsa_system_sgpr_workgroup_id_z 1
		.amdhsa_system_sgpr_workgroup_info 0
		.amdhsa_system_vgpr_workitem_id 0
		.amdhsa_next_free_vgpr 46
		.amdhsa_next_free_sgpr 88
		.amdhsa_reserve_vcc 1
		.amdhsa_reserve_flat_scratch 0
		.amdhsa_float_round_mode_32 0
		.amdhsa_float_round_mode_16_64 0
		.amdhsa_float_denorm_mode_32 3
		.amdhsa_float_denorm_mode_16_64 3
		.amdhsa_dx10_clamp 1
		.amdhsa_ieee_mode 1
		.amdhsa_fp16_overflow 0
		.amdhsa_exception_fp_ieee_invalid_op 0
		.amdhsa_exception_fp_denorm_src 0
		.amdhsa_exception_fp_ieee_div_zero 0
		.amdhsa_exception_fp_ieee_overflow 0
		.amdhsa_exception_fp_ieee_underflow 0
		.amdhsa_exception_fp_ieee_inexact 0
		.amdhsa_exception_int_div_zero 0
	.end_amdhsa_kernel
	.section	.text._ZN9rocsolver6v33100L18syevj_small_kernelIddPdEEv14rocblas_esort_14rocblas_evect_13rocblas_fill_iT1_iilT0_S7_PS7_iPiS8_lS9_PT_,"axG",@progbits,_ZN9rocsolver6v33100L18syevj_small_kernelIddPdEEv14rocblas_esort_14rocblas_evect_13rocblas_fill_iT1_iilT0_S7_PS7_iPiS8_lS9_PT_,comdat
.Lfunc_end46:
	.size	_ZN9rocsolver6v33100L18syevj_small_kernelIddPdEEv14rocblas_esort_14rocblas_evect_13rocblas_fill_iT1_iilT0_S7_PS7_iPiS8_lS9_PT_, .Lfunc_end46-_ZN9rocsolver6v33100L18syevj_small_kernelIddPdEEv14rocblas_esort_14rocblas_evect_13rocblas_fill_iT1_iilT0_S7_PS7_iPiS8_lS9_PT_
                                        ; -- End function
	.set _ZN9rocsolver6v33100L18syevj_small_kernelIddPdEEv14rocblas_esort_14rocblas_evect_13rocblas_fill_iT1_iilT0_S7_PS7_iPiS8_lS9_PT_.num_vgpr, 46
	.set _ZN9rocsolver6v33100L18syevj_small_kernelIddPdEEv14rocblas_esort_14rocblas_evect_13rocblas_fill_iT1_iilT0_S7_PS7_iPiS8_lS9_PT_.num_agpr, 0
	.set _ZN9rocsolver6v33100L18syevj_small_kernelIddPdEEv14rocblas_esort_14rocblas_evect_13rocblas_fill_iT1_iilT0_S7_PS7_iPiS8_lS9_PT_.numbered_sgpr, 88
	.set _ZN9rocsolver6v33100L18syevj_small_kernelIddPdEEv14rocblas_esort_14rocblas_evect_13rocblas_fill_iT1_iilT0_S7_PS7_iPiS8_lS9_PT_.num_named_barrier, 0
	.set _ZN9rocsolver6v33100L18syevj_small_kernelIddPdEEv14rocblas_esort_14rocblas_evect_13rocblas_fill_iT1_iilT0_S7_PS7_iPiS8_lS9_PT_.private_seg_size, 0
	.set _ZN9rocsolver6v33100L18syevj_small_kernelIddPdEEv14rocblas_esort_14rocblas_evect_13rocblas_fill_iT1_iilT0_S7_PS7_iPiS8_lS9_PT_.uses_vcc, 1
	.set _ZN9rocsolver6v33100L18syevj_small_kernelIddPdEEv14rocblas_esort_14rocblas_evect_13rocblas_fill_iT1_iilT0_S7_PS7_iPiS8_lS9_PT_.uses_flat_scratch, 0
	.set _ZN9rocsolver6v33100L18syevj_small_kernelIddPdEEv14rocblas_esort_14rocblas_evect_13rocblas_fill_iT1_iilT0_S7_PS7_iPiS8_lS9_PT_.has_dyn_sized_stack, 0
	.set _ZN9rocsolver6v33100L18syevj_small_kernelIddPdEEv14rocblas_esort_14rocblas_evect_13rocblas_fill_iT1_iilT0_S7_PS7_iPiS8_lS9_PT_.has_recursion, 0
	.set _ZN9rocsolver6v33100L18syevj_small_kernelIddPdEEv14rocblas_esort_14rocblas_evect_13rocblas_fill_iT1_iilT0_S7_PS7_iPiS8_lS9_PT_.has_indirect_call, 0
	.section	.AMDGPU.csdata,"",@progbits
; Kernel info:
; codeLenInByte = 7060
; TotalNumSgprs: 92
; NumVgprs: 46
; ScratchSize: 0
; MemoryBound: 0
; FloatMode: 240
; IeeeMode: 1
; LDSByteSize: 0 bytes/workgroup (compile time only)
; SGPRBlocks: 11
; VGPRBlocks: 11
; NumSGPRsForWavesPerEU: 92
; NumVGPRsForWavesPerEU: 46
; Occupancy: 5
; WaveLimiterHint : 0
; COMPUTE_PGM_RSRC2:SCRATCH_EN: 0
; COMPUTE_PGM_RSRC2:USER_SGPR: 6
; COMPUTE_PGM_RSRC2:TRAP_HANDLER: 0
; COMPUTE_PGM_RSRC2:TGID_X_EN: 1
; COMPUTE_PGM_RSRC2:TGID_Y_EN: 0
; COMPUTE_PGM_RSRC2:TGID_Z_EN: 1
; COMPUTE_PGM_RSRC2:TIDIG_COMP_CNT: 0
	.section	.text._ZN9rocsolver6v33100L10syevj_initIddPdEEv14rocblas_evect_13rocblas_fill_iiT1_iilT0_PS6_PT_S7_PiSA_SA_,"axG",@progbits,_ZN9rocsolver6v33100L10syevj_initIddPdEEv14rocblas_evect_13rocblas_fill_iiT1_iilT0_PS6_PT_S7_PiSA_SA_,comdat
	.globl	_ZN9rocsolver6v33100L10syevj_initIddPdEEv14rocblas_evect_13rocblas_fill_iiT1_iilT0_PS6_PT_S7_PiSA_SA_ ; -- Begin function _ZN9rocsolver6v33100L10syevj_initIddPdEEv14rocblas_evect_13rocblas_fill_iiT1_iilT0_PS6_PT_S7_PiSA_SA_
	.p2align	8
	.type	_ZN9rocsolver6v33100L10syevj_initIddPdEEv14rocblas_evect_13rocblas_fill_iiT1_iilT0_PS6_PT_S7_PiSA_SA_,@function
_ZN9rocsolver6v33100L10syevj_initIddPdEEv14rocblas_evect_13rocblas_fill_iiT1_iilT0_PS6_PT_S7_PiSA_SA_: ; @_ZN9rocsolver6v33100L10syevj_initIddPdEEv14rocblas_evect_13rocblas_fill_iiT1_iilT0_PS6_PT_S7_PiSA_SA_
; %bb.0:
	s_load_dword s0, s[4:5], 0x6c
	s_load_dwordx8 s[24:31], s[4:5], 0x0
	s_load_dwordx16 s[8:23], s[4:5], 0x20
	s_mov_b32 s6, s7
	s_ashr_i32 s7, s7, 31
	s_waitcnt lgkmcnt(0)
	s_and_b32 s33, s0, 0xffff
	s_ashr_i32 s1, s30, 31
	s_mul_hi_u32 s2, s8, s6
	s_mul_i32 s3, s8, s7
	s_add_i32 s2, s2, s3
	s_mul_i32 s3, s9, s6
	s_add_i32 s3, s2, s3
	s_mul_i32 s2, s8, s6
	s_lshl_b64 s[2:3], s[2:3], 3
	s_mov_b32 s0, s30
	s_add_u32 s4, s28, s2
	s_addc_u32 s5, s29, s3
	s_lshl_b64 s[38:39], s[0:1], 3
	s_mul_i32 s0, s27, s6
	s_add_u32 s30, s4, s38
	s_mul_i32 s0, s0, s27
	s_addc_u32 s44, s5, s39
	s_ashr_i32 s1, s0, 31
	s_lshl_b64 s[4:5], s[0:1], 3
	s_add_u32 s45, s14, s4
	s_addc_u32 s46, s15, s5
	s_cmpk_eq_i32 s25, 0x79
	v_cmp_gt_i32_e64 s[0:1], s27, v0
	s_cbranch_scc1 .LBB47_12
; %bb.1:
	v_mov_b32_e32 v1, 0
	v_mov_b32_e32 v3, 0
	;; [unrolled: 1-line block ×4, first 2 shown]
	s_and_saveexec_b64 s[8:9], s[0:1]
	s_cbranch_execz .LBB47_14
; %bb.2:
	s_add_i32 s25, s27, 1
	s_cmpk_lg_i32 s24, 0xd5
	s_cselect_b64 s[40:41], -1, 0
	s_add_u32 s48, s14, s4
	s_addc_u32 s49, s15, s5
	s_ashr_i32 s37, s27, 31
	s_mov_b32 s36, s27
	s_lshl_b32 s51, s33, 3
	s_lshl_b64 s[36:37], s[36:37], 3
	s_add_u32 s2, s2, s38
	v_lshlrev_b32_e32 v1, 3, v0
	s_addc_u32 s3, s3, s39
	v_mov_b32_e32 v2, s49
	v_add_co_u32_e32 v7, vcc, s48, v1
	s_add_u32 s2, s28, s2
	v_mul_lo_u32 v24, v0, s31
	v_mul_lo_u32 v5, v0, s27
	v_addc_co_u32_e32 v8, vcc, 0, v2, vcc
	s_addc_u32 s3, s29, s3
	v_mov_b32_e32 v2, s3
	v_add_co_u32_e32 v9, vcc, s2, v1
	s_ashr_i32 s3, s31, 31
	s_mov_b32 s2, s31
	v_cndmask_b32_e64 v3, 0, 1, s[40:41]
	v_addc_co_u32_e32 v10, vcc, 0, v2, vcc
	s_lshl_b64 s[28:29], s[2:3], 3
	v_mov_b32_e32 v1, 0
	v_cmp_ne_u32_e64 s[2:3], 1, v3
	v_mov_b32_e32 v3, 0
	s_mul_i32 s47, s31, s33
	s_mul_i32 s50, s27, s33
	s_mov_b32 s34, 0
	v_mov_b32_e32 v2, 0
	s_mov_b64 s[38:39], 0
	v_mov_b32_e32 v25, s44
	v_mov_b32_e32 v26, s46
	;; [unrolled: 1-line block ×6, first 2 shown]
	s_branch .LBB47_5
.LBB47_3:                               ;   in Loop: Header=BB47_5 Depth=1
	s_or_b64 exec, exec, s[42:43]
.LBB47_4:                               ;   in Loop: Header=BB47_5 Depth=1
	s_or_b64 exec, exec, s[40:41]
	v_fma_f64 v[1:2], v[14:15], v[14:15], v[1:2]
	v_add_co_u32_e32 v7, vcc, s51, v7
	v_add_u32_e32 v13, s33, v13
	v_addc_co_u32_e32 v8, vcc, 0, v8, vcc
	v_cmp_le_i32_e32 vcc, s27, v13
	s_or_b64 s[38:39], vcc, s[38:39]
	v_add_co_u32_e32 v9, vcc, s51, v9
	v_add_u32_e32 v24, s47, v24
	v_add_u32_e32 v5, s50, v5
	v_addc_co_u32_e32 v10, vcc, 0, v10, vcc
	s_andn2_b64 exec, exec, s[38:39]
	s_cbranch_execz .LBB47_13
.LBB47_5:                               ; =>This Loop Header: Depth=1
                                        ;     Child Loop BB47_10 Depth 2
	v_mad_u64_u32 v[14:15], s[40:41], v13, s31, v[13:14]
	v_mul_lo_u32 v18, v13, s25
	v_ashrrev_i32_e32 v15, 31, v14
	v_lshlrev_b64 v[14:15], 3, v[14:15]
	v_ashrrev_i32_e32 v19, 31, v18
	v_add_co_u32_e32 v16, vcc, s30, v14
	v_addc_co_u32_e32 v17, vcc, v25, v15, vcc
	global_load_dwordx2 v[14:15], v[16:17], off
	v_lshlrev_b64 v[18:19], 3, v[18:19]
	v_add_co_u32_e32 v18, vcc, s45, v18
	v_addc_co_u32_e32 v19, vcc, v26, v19, vcc
	s_and_b64 vcc, exec, s[2:3]
	s_waitcnt vmcnt(0)
	global_store_dwordx2 v[18:19], v[14:15], off
	s_cbranch_vccnz .LBB47_7
; %bb.6:                                ;   in Loop: Header=BB47_5 Depth=1
	global_store_dwordx2 v[16:17], v[11:12], off
.LBB47_7:                               ;   in Loop: Header=BB47_5 Depth=1
	v_cmp_ne_u32_e32 vcc, 0, v13
	s_and_saveexec_b64 s[40:41], vcc
	s_cbranch_execz .LBB47_4
; %bb.8:                                ;   in Loop: Header=BB47_5 Depth=1
	v_ashrrev_i32_e32 v6, 31, v5
	v_lshlrev_b64 v[16:17], 3, v[5:6]
	v_mov_b32_e32 v6, s49
	v_add_co_u32_e32 v16, vcc, s48, v16
	v_mov_b32_e32 v19, v10
	v_mov_b32_e32 v21, v8
	v_addc_co_u32_e32 v17, vcc, v6, v17, vcc
	s_mov_b32 s52, 0
	s_mov_b64 s[42:43], 0
	v_mov_b32_e32 v18, v9
	v_mov_b32_e32 v20, v7
	s_branch .LBB47_10
.LBB47_9:                               ;   in Loop: Header=BB47_10 Depth=2
	v_mul_f64 v[22:23], v[22:23], v[22:23]
	v_add_co_u32_e32 v16, vcc, 8, v16
	v_addc_co_u32_e32 v17, vcc, 0, v17, vcc
	v_mov_b32_e32 v6, s37
	v_add_co_u32_e32 v20, vcc, s36, v20
	v_fma_f64 v[3:4], v[22:23], 2.0, v[3:4]
	s_add_i32 s52, s52, 1
	v_addc_co_u32_e32 v21, vcc, v21, v6, vcc
	v_cmp_eq_u32_e32 vcc, s52, v13
	v_mov_b32_e32 v6, s29
	s_or_b64 s[42:43], vcc, s[42:43]
	v_add_co_u32_e32 v18, vcc, s28, v18
	v_addc_co_u32_e32 v19, vcc, v19, v6, vcc
	s_andn2_b64 exec, exec, s[42:43]
	s_cbranch_execz .LBB47_3
.LBB47_10:                              ;   Parent Loop BB47_5 Depth=1
                                        ; =>  This Inner Loop Header: Depth=2
	global_load_dwordx2 v[22:23], v[18:19], off
	s_and_b64 vcc, exec, s[2:3]
	s_waitcnt vmcnt(0)
	global_store_dwordx2 v[20:21], v[22:23], off
	global_store_dwordx2 v[16:17], v[22:23], off
	s_cbranch_vccnz .LBB47_9
; %bb.11:                               ;   in Loop: Header=BB47_10 Depth=2
	v_add_u32_e32 v27, s52, v24
	v_ashrrev_i32_e32 v28, 31, v27
	v_lshlrev_b64 v[27:28], 3, v[27:28]
	s_mov_b32 s35, s34
	v_mov_b32_e32 v29, s34
	v_mov_b32_e32 v6, s44
	v_add_co_u32_e32 v27, vcc, s30, v27
	v_mov_b32_e32 v30, s35
	v_addc_co_u32_e32 v28, vcc, v6, v28, vcc
	global_store_dwordx2 v[18:19], v[29:30], off
	global_store_dwordx2 v[27:28], v[29:30], off
	s_branch .LBB47_9
.LBB47_12:
                                        ; implicit-def: $vgpr1_vgpr2
                                        ; implicit-def: $vgpr3_vgpr4
	s_branch .LBB47_15
.LBB47_13:
	s_or_b64 exec, exec, s[38:39]
.LBB47_14:
	s_or_b64 exec, exec, s[8:9]
	s_cbranch_execnz .LBB47_28
.LBB47_15:
	v_mov_b32_e32 v1, 0
	v_mov_b32_e32 v3, 0
	;; [unrolled: 1-line block ×4, first 2 shown]
	s_and_saveexec_b64 s[8:9], s[0:1]
	s_cbranch_execz .LBB47_27
; %bb.16:
	s_add_i32 s34, s27, 1
	v_mul_lo_u32 v1, s27, v0
	s_cmpk_lg_i32 s24, 0xd5
	s_cselect_b64 s[0:1], -1, 0
	s_add_i32 s35, s27, -1
	v_mul_lo_u32 v23, v0, s31
	s_mul_i32 s2, s31, s35
	v_cndmask_b32_e64 v3, 0, 1, s[0:1]
	v_add_u32_e32 v21, s2, v0
	s_mul_i32 s2, s27, s35
	s_add_u32 s36, s14, s4
	v_add_u32_e32 v5, s35, v1
	v_mov_b32_e32 v1, 0
	v_cmp_ne_u32_e64 s[0:1], 1, v3
	v_mov_b32_e32 v3, 0
	v_add_u32_e32 v22, s2, v0
	s_addc_u32 s37, s15, s5
	s_mul_i32 s38, s27, s33
	s_mul_i32 s39, s31, s33
	v_mov_b32_e32 v2, 0
	s_mov_b64 s[4:5], 0
	v_mov_b32_e32 v24, s44
	v_mov_b32_e32 v25, s46
	s_mov_b32 s14, 0
	v_mov_b32_e32 v7, 0
	v_mov_b32_e32 v8, 0x3ff00000
	;; [unrolled: 1-line block ×4, first 2 shown]
	s_branch .LBB47_19
.LBB47_17:                              ;   in Loop: Header=BB47_19 Depth=1
	s_or_b64 exec, exec, s[28:29]
.LBB47_18:                              ;   in Loop: Header=BB47_19 Depth=1
	s_or_b64 exec, exec, s[24:25]
	v_fma_f64 v[1:2], v[10:11], v[10:11], v[1:2]
	v_add_u32_e32 v9, s33, v9
	v_cmp_le_i32_e32 vcc, s27, v9
	v_add_u32_e32 v21, s33, v21
	v_add_u32_e32 v22, s33, v22
	;; [unrolled: 1-line block ×3, first 2 shown]
	s_or_b64 s[4:5], vcc, s[4:5]
	v_add_u32_e32 v23, s39, v23
	s_andn2_b64 exec, exec, s[4:5]
	s_cbranch_execz .LBB47_26
.LBB47_19:                              ; =>This Loop Header: Depth=1
                                        ;     Child Loop BB47_24 Depth 2
	v_mad_u64_u32 v[10:11], s[2:3], v9, s31, v[9:10]
	v_mul_lo_u32 v14, v9, s34
	v_ashrrev_i32_e32 v11, 31, v10
	v_lshlrev_b64 v[10:11], 3, v[10:11]
	v_ashrrev_i32_e32 v15, 31, v14
	v_add_co_u32_e32 v12, vcc, s30, v10
	v_addc_co_u32_e32 v13, vcc, v24, v11, vcc
	global_load_dwordx2 v[10:11], v[12:13], off
	v_lshlrev_b64 v[14:15], 3, v[14:15]
	v_add_co_u32_e32 v14, vcc, s45, v14
	v_addc_co_u32_e32 v15, vcc, v25, v15, vcc
	s_and_b64 vcc, exec, s[0:1]
	s_waitcnt vmcnt(0)
	global_store_dwordx2 v[14:15], v[10:11], off
	s_cbranch_vccnz .LBB47_21
; %bb.20:                               ;   in Loop: Header=BB47_19 Depth=1
	global_store_dwordx2 v[12:13], v[7:8], off
.LBB47_21:                              ;   in Loop: Header=BB47_19 Depth=1
	v_cmp_gt_i32_e32 vcc, s35, v9
	s_and_saveexec_b64 s[24:25], vcc
	s_cbranch_execz .LBB47_18
; %bb.22:                               ;   in Loop: Header=BB47_19 Depth=1
	v_ashrrev_i32_e32 v6, 31, v5
	v_lshlrev_b64 v[12:13], 3, v[5:6]
	v_mov_b32_e32 v6, s37
	v_add_co_u32_e32 v12, vcc, s36, v12
	v_addc_co_u32_e32 v13, vcc, v6, v13, vcc
	s_mov_b64 s[28:29], 0
	v_mov_b32_e32 v14, v22
	v_mov_b32_e32 v16, v21
	s_mov_b32 s40, s35
	s_branch .LBB47_24
.LBB47_23:                              ;   in Loop: Header=BB47_24 Depth=2
	v_mul_f64 v[17:18], v[19:20], v[19:20]
	s_add_i32 s40, s40, -1
	v_cmp_le_i32_e32 vcc, s40, v9
	s_or_b64 s[28:29], vcc, s[28:29]
	v_add_co_u32_e32 v12, vcc, -8, v12
	v_subrev_u32_e32 v16, s31, v16
	v_subrev_u32_e32 v14, s27, v14
	v_fma_f64 v[3:4], v[17:18], 2.0, v[3:4]
	v_addc_co_u32_e32 v13, vcc, -1, v13, vcc
	s_andn2_b64 exec, exec, s[28:29]
	s_cbranch_execz .LBB47_17
.LBB47_24:                              ;   Parent Loop BB47_19 Depth=1
                                        ; =>  This Inner Loop Header: Depth=2
	v_ashrrev_i32_e32 v17, 31, v16
	v_lshlrev_b64 v[17:18], 3, v[16:17]
	v_mov_b32_e32 v6, s44
	v_add_co_u32_e32 v17, vcc, s30, v17
	v_addc_co_u32_e32 v18, vcc, v6, v18, vcc
	global_load_dwordx2 v[19:20], v[17:18], off
	v_ashrrev_i32_e32 v15, 31, v14
	v_lshlrev_b64 v[26:27], 3, v[14:15]
	v_mov_b32_e32 v6, s46
	v_add_co_u32_e64 v26, s[2:3], s45, v26
	s_and_b64 vcc, exec, s[0:1]
	v_addc_co_u32_e64 v27, s[2:3], v6, v27, s[2:3]
	s_waitcnt vmcnt(0)
	global_store_dwordx2 v[26:27], v[19:20], off
	global_store_dwordx2 v[12:13], v[19:20], off
	s_cbranch_vccnz .LBB47_23
; %bb.25:                               ;   in Loop: Header=BB47_24 Depth=2
	v_add_u32_e32 v26, s40, v23
	v_ashrrev_i32_e32 v27, 31, v26
	v_lshlrev_b64 v[26:27], 3, v[26:27]
	s_mov_b32 s15, s14
	v_mov_b32_e32 v29, s15
	v_mov_b32_e32 v6, s44
	v_add_co_u32_e32 v26, vcc, s30, v26
	v_mov_b32_e32 v28, s14
	v_addc_co_u32_e32 v27, vcc, v6, v27, vcc
	global_store_dwordx2 v[17:18], v[28:29], off
	global_store_dwordx2 v[26:27], v[28:29], off
	s_branch .LBB47_23
.LBB47_26:
	s_or_b64 exec, exec, s[4:5]
.LBB47_27:
	s_or_b64 exec, exec, s[8:9]
.LBB47_28:
	s_lshl_b32 s2, s33, 3
	s_add_i32 s0, s2, 0
	v_lshlrev_b32_e32 v5, 3, v0
	v_add_u32_e32 v6, 0, v5
	v_add_u32_e32 v5, s0, v5
	v_cmp_eq_u32_e32 vcc, 0, v0
	ds_write_b64 v6, v[3:4]
	ds_write_b64 v5, v[1:2]
	s_waitcnt vmcnt(0) lgkmcnt(0)
	s_barrier
	s_and_saveexec_b64 s[0:1], vcc
	s_cbranch_execz .LBB47_40
; %bb.29:
	s_min_i32 s4, s27, s33
	s_cmp_lt_i32 s4, 2
	s_cbranch_scc1 .LBB47_37
; %bb.30:
	s_add_i32 s3, s4, -1
	s_add_i32 s4, s4, -2
	s_cmp_lt_u32 s4, 7
	s_cbranch_scc1 .LBB47_34
; %bb.31:
	s_and_b32 s4, s3, -8
	s_mov_b32 s8, 0
	s_add_i32 s5, 0, 8
.LBB47_32:                              ; =>This Inner Loop Header: Depth=1
	v_mov_b32_e32 v21, s5
	s_add_i32 s9, s5, s2
	ds_read2_b64 v[5:8], v21 offset1:1
	v_mov_b32_e32 v22, s9
	ds_read2_b64 v[9:12], v22 offset1:1
	ds_read2_b64 v[13:16], v21 offset0:2 offset1:3
	ds_read2_b64 v[17:20], v22 offset0:2 offset1:3
	s_mov_b32 s9, s8
	s_add_i32 s5, s5, 64
	s_waitcnt lgkmcnt(3)
	v_add_f64 v[3:4], v[3:4], v[5:6]
	s_waitcnt lgkmcnt(2)
	v_add_f64 v[1:2], v[1:2], v[9:10]
	s_add_i32 s8, s8, 8
	s_cmp_lg_u32 s4, s8
	v_add_f64 v[3:4], v[3:4], v[7:8]
	v_add_f64 v[1:2], v[1:2], v[11:12]
	s_waitcnt lgkmcnt(1)
	v_add_f64 v[3:4], v[3:4], v[13:14]
	s_waitcnt lgkmcnt(0)
	v_add_f64 v[1:2], v[1:2], v[17:18]
	v_add_f64 v[17:18], v[3:4], v[15:16]
	;; [unrolled: 1-line block ×3, first 2 shown]
	ds_read2_b64 v[1:4], v21 offset0:4 offset1:5
	ds_read2_b64 v[5:8], v22 offset0:4 offset1:5
	;; [unrolled: 1-line block ×4, first 2 shown]
	s_waitcnt lgkmcnt(3)
	v_add_f64 v[1:2], v[17:18], v[1:2]
	s_waitcnt lgkmcnt(2)
	v_add_f64 v[5:6], v[19:20], v[5:6]
	v_add_f64 v[1:2], v[1:2], v[3:4]
	v_add_f64 v[3:4], v[5:6], v[7:8]
	s_waitcnt lgkmcnt(1)
	v_add_f64 v[1:2], v[1:2], v[9:10]
	s_waitcnt lgkmcnt(0)
	v_add_f64 v[5:6], v[3:4], v[13:14]
	v_add_f64 v[3:4], v[1:2], v[11:12]
	;; [unrolled: 1-line block ×3, first 2 shown]
	s_cbranch_scc1 .LBB47_32
; %bb.33:
	s_add_i32 s4, s9, 9
	s_and_b32 s3, s3, 7
	s_cmp_eq_u32 s3, 0
	s_cbranch_scc0 .LBB47_35
	s_branch .LBB47_37
.LBB47_34:
	s_mov_b32 s4, 1
	s_and_b32 s3, s3, 7
	s_cmp_eq_u32 s3, 0
	s_cbranch_scc1 .LBB47_37
.LBB47_35:
	s_lshl_b32 s4, s4, 3
	s_add_i32 s4, s4, 0
.LBB47_36:                              ; =>This Inner Loop Header: Depth=1
	s_add_i32 s5, s4, s2
	v_mov_b32_e32 v5, s4
	v_mov_b32_e32 v7, s5
	ds_read_b64 v[5:6], v5
	ds_read_b64 v[7:8], v7
	s_add_i32 s4, s4, 8
	s_add_i32 s3, s3, -1
	s_cmp_lg_u32 s3, 0
	s_waitcnt lgkmcnt(1)
	v_add_f64 v[3:4], v[3:4], v[5:6]
	s_waitcnt lgkmcnt(0)
	v_add_f64 v[1:2], v[1:2], v[7:8]
	s_cbranch_scc1 .LBB47_36
.LBB47_37:
	v_add_f64 v[1:2], v[3:4], v[1:2]
	s_lshl_b64 s[2:3], s[6:7], 3
	s_add_u32 s4, s16, s2
	s_addc_u32 s5, s17, s3
	s_add_u32 s2, s12, s2
	s_addc_u32 s3, s13, s3
	v_mul_f64 v[1:2], s[10:11], v[1:2]
	v_mul_f64 v[5:6], s[10:11], v[1:2]
	v_mov_b32_e32 v1, 0
	global_store_dwordx2 v1, v[5:6], s[4:5]
	global_store_dwordx2 v1, v[3:4], s[2:3]
	global_load_dwordx2 v[5:6], v1, s[4:5]
	s_waitcnt vmcnt(0)
	v_cmp_lt_f64_e32 vcc, v[3:4], v[5:6]
	s_and_b64 exec, exec, vcc
	s_cbranch_execz .LBB47_40
; %bb.38:
	s_lshl_b64 s[4:5], s[6:7], 2
	s_add_u32 s4, s22, s4
	s_mov_b64 s[2:3], exec
	s_addc_u32 s5, s23, s5
	v_mov_b32_e32 v2, 1
	global_store_dword v1, v2, s[4:5] offset:4
	v_mbcnt_lo_u32_b32 v1, s2, 0
	v_mbcnt_hi_u32_b32 v1, s3, v1
	v_cmp_eq_u32_e32 vcc, 0, v1
	s_and_b64 s[4:5], exec, vcc
	s_mov_b64 exec, s[4:5]
	s_cbranch_execz .LBB47_40
; %bb.39:
	s_bcnt1_i32_b64 s2, s[2:3]
	v_mov_b32_e32 v1, 0
	v_mov_b32_e32 v2, s2
	global_atomic_add v1, v2, s[22:23]
.LBB47_40:
	s_or_b64 exec, exec, s[0:1]
	s_cmp_eq_u32 s6, 0
	s_cselect_b64 s[2:3], -1, 0
	s_cmp_lg_u64 s[18:19], 0
	s_cselect_b64 s[4:5], -1, 0
	s_cmp_lg_u64 s[20:21], 0
	s_cselect_b64 s[6:7], -1, 0
	s_and_b64 s[4:5], s[4:5], s[6:7]
	s_and_b64 s[2:3], s[4:5], s[2:3]
	v_cmp_gt_i32_e32 vcc, s26, v0
	s_mov_b64 s[0:1], 0
	s_and_b64 s[2:3], s[2:3], vcc
	s_and_saveexec_b64 s[4:5], s[2:3]
	s_cbranch_execz .LBB47_43
; %bb.41:
	v_lshlrev_b32_e32 v1, 1, v0
	s_lshl_b32 s2, s33, 1
	v_lshlrev_b32_e32 v2, 2, v0
	v_mov_b32_e32 v3, 0
	s_lshl_b32 s3, s33, 2
	v_mov_b32_e32 v4, s19
	v_mov_b32_e32 v5, s21
.LBB47_42:                              ; =>This Inner Loop Header: Depth=1
	v_add_co_u32_e32 v6, vcc, s18, v2
	v_addc_co_u32_e32 v7, vcc, v4, v3, vcc
	v_add_co_u32_e32 v8, vcc, s20, v2
	v_addc_co_u32_e32 v9, vcc, v5, v3, vcc
	v_add_co_u32_e32 v2, vcc, s3, v2
	v_add_u32_e32 v0, s33, v0
	v_addc_co_u32_e32 v3, vcc, 0, v3, vcc
	v_cmp_le_i32_e32 vcc, s26, v0
	v_add_u32_e32 v10, 1, v1
	global_store_dword v[6:7], v1, off
	global_store_dword v[8:9], v10, off
	s_or_b64 s[0:1], vcc, s[0:1]
	v_add_u32_e32 v1, s2, v1
	s_andn2_b64 exec, exec, s[0:1]
	s_cbranch_execnz .LBB47_42
.LBB47_43:
	s_endpgm
	.section	.rodata,"a",@progbits
	.p2align	6, 0x0
	.amdhsa_kernel _ZN9rocsolver6v33100L10syevj_initIddPdEEv14rocblas_evect_13rocblas_fill_iiT1_iilT0_PS6_PT_S7_PiSA_SA_
		.amdhsa_group_segment_fixed_size 0
		.amdhsa_private_segment_fixed_size 0
		.amdhsa_kernarg_size 352
		.amdhsa_user_sgpr_count 6
		.amdhsa_user_sgpr_private_segment_buffer 1
		.amdhsa_user_sgpr_dispatch_ptr 0
		.amdhsa_user_sgpr_queue_ptr 0
		.amdhsa_user_sgpr_kernarg_segment_ptr 1
		.amdhsa_user_sgpr_dispatch_id 0
		.amdhsa_user_sgpr_flat_scratch_init 0
		.amdhsa_user_sgpr_private_segment_size 0
		.amdhsa_uses_dynamic_stack 0
		.amdhsa_system_sgpr_private_segment_wavefront_offset 0
		.amdhsa_system_sgpr_workgroup_id_x 1
		.amdhsa_system_sgpr_workgroup_id_y 1
		.amdhsa_system_sgpr_workgroup_id_z 0
		.amdhsa_system_sgpr_workgroup_info 0
		.amdhsa_system_vgpr_workitem_id 0
		.amdhsa_next_free_vgpr 31
		.amdhsa_next_free_sgpr 53
		.amdhsa_reserve_vcc 1
		.amdhsa_reserve_flat_scratch 0
		.amdhsa_float_round_mode_32 0
		.amdhsa_float_round_mode_16_64 0
		.amdhsa_float_denorm_mode_32 3
		.amdhsa_float_denorm_mode_16_64 3
		.amdhsa_dx10_clamp 1
		.amdhsa_ieee_mode 1
		.amdhsa_fp16_overflow 0
		.amdhsa_exception_fp_ieee_invalid_op 0
		.amdhsa_exception_fp_denorm_src 0
		.amdhsa_exception_fp_ieee_div_zero 0
		.amdhsa_exception_fp_ieee_overflow 0
		.amdhsa_exception_fp_ieee_underflow 0
		.amdhsa_exception_fp_ieee_inexact 0
		.amdhsa_exception_int_div_zero 0
	.end_amdhsa_kernel
	.section	.text._ZN9rocsolver6v33100L10syevj_initIddPdEEv14rocblas_evect_13rocblas_fill_iiT1_iilT0_PS6_PT_S7_PiSA_SA_,"axG",@progbits,_ZN9rocsolver6v33100L10syevj_initIddPdEEv14rocblas_evect_13rocblas_fill_iiT1_iilT0_PS6_PT_S7_PiSA_SA_,comdat
.Lfunc_end47:
	.size	_ZN9rocsolver6v33100L10syevj_initIddPdEEv14rocblas_evect_13rocblas_fill_iiT1_iilT0_PS6_PT_S7_PiSA_SA_, .Lfunc_end47-_ZN9rocsolver6v33100L10syevj_initIddPdEEv14rocblas_evect_13rocblas_fill_iiT1_iilT0_PS6_PT_S7_PiSA_SA_
                                        ; -- End function
	.set _ZN9rocsolver6v33100L10syevj_initIddPdEEv14rocblas_evect_13rocblas_fill_iiT1_iilT0_PS6_PT_S7_PiSA_SA_.num_vgpr, 31
	.set _ZN9rocsolver6v33100L10syevj_initIddPdEEv14rocblas_evect_13rocblas_fill_iiT1_iilT0_PS6_PT_S7_PiSA_SA_.num_agpr, 0
	.set _ZN9rocsolver6v33100L10syevj_initIddPdEEv14rocblas_evect_13rocblas_fill_iiT1_iilT0_PS6_PT_S7_PiSA_SA_.numbered_sgpr, 53
	.set _ZN9rocsolver6v33100L10syevj_initIddPdEEv14rocblas_evect_13rocblas_fill_iiT1_iilT0_PS6_PT_S7_PiSA_SA_.num_named_barrier, 0
	.set _ZN9rocsolver6v33100L10syevj_initIddPdEEv14rocblas_evect_13rocblas_fill_iiT1_iilT0_PS6_PT_S7_PiSA_SA_.private_seg_size, 0
	.set _ZN9rocsolver6v33100L10syevj_initIddPdEEv14rocblas_evect_13rocblas_fill_iiT1_iilT0_PS6_PT_S7_PiSA_SA_.uses_vcc, 1
	.set _ZN9rocsolver6v33100L10syevj_initIddPdEEv14rocblas_evect_13rocblas_fill_iiT1_iilT0_PS6_PT_S7_PiSA_SA_.uses_flat_scratch, 0
	.set _ZN9rocsolver6v33100L10syevj_initIddPdEEv14rocblas_evect_13rocblas_fill_iiT1_iilT0_PS6_PT_S7_PiSA_SA_.has_dyn_sized_stack, 0
	.set _ZN9rocsolver6v33100L10syevj_initIddPdEEv14rocblas_evect_13rocblas_fill_iiT1_iilT0_PS6_PT_S7_PiSA_SA_.has_recursion, 0
	.set _ZN9rocsolver6v33100L10syevj_initIddPdEEv14rocblas_evect_13rocblas_fill_iiT1_iilT0_PS6_PT_S7_PiSA_SA_.has_indirect_call, 0
	.section	.AMDGPU.csdata,"",@progbits
; Kernel info:
; codeLenInByte = 2104
; TotalNumSgprs: 57
; NumVgprs: 31
; ScratchSize: 0
; MemoryBound: 0
; FloatMode: 240
; IeeeMode: 1
; LDSByteSize: 0 bytes/workgroup (compile time only)
; SGPRBlocks: 7
; VGPRBlocks: 7
; NumSGPRsForWavesPerEU: 57
; NumVGPRsForWavesPerEU: 31
; Occupancy: 8
; WaveLimiterHint : 0
; COMPUTE_PGM_RSRC2:SCRATCH_EN: 0
; COMPUTE_PGM_RSRC2:USER_SGPR: 6
; COMPUTE_PGM_RSRC2:TRAP_HANDLER: 0
; COMPUTE_PGM_RSRC2:TGID_X_EN: 1
; COMPUTE_PGM_RSRC2:TGID_Y_EN: 1
; COMPUTE_PGM_RSRC2:TGID_Z_EN: 0
; COMPUTE_PGM_RSRC2:TIDIG_COMP_CNT: 0
	.section	.text._ZN9rocsolver6v33100L17syevj_diag_kernelIddPdEEviT1_iilT0_PT_Pi,"axG",@progbits,_ZN9rocsolver6v33100L17syevj_diag_kernelIddPdEEviT1_iilT0_PT_Pi,comdat
	.globl	_ZN9rocsolver6v33100L17syevj_diag_kernelIddPdEEviT1_iilT0_PT_Pi ; -- Begin function _ZN9rocsolver6v33100L17syevj_diag_kernelIddPdEEviT1_iilT0_PT_Pi
	.p2align	8
	.type	_ZN9rocsolver6v33100L17syevj_diag_kernelIddPdEEviT1_iilT0_PT_Pi,@function
_ZN9rocsolver6v33100L17syevj_diag_kernelIddPdEEviT1_iilT0_PT_Pi: ; @_ZN9rocsolver6v33100L17syevj_diag_kernelIddPdEEviT1_iilT0_PT_Pi
; %bb.0:
	s_load_dwordx8 s[8:15], s[4:5], 0x18
	s_mov_b32 s2, s7
	s_ashr_i32 s3, s7, 31
	s_lshl_b64 s[0:1], s[2:3], 2
	s_waitcnt lgkmcnt(0)
	s_add_u32 s0, s14, s0
	s_addc_u32 s1, s15, s1
	s_load_dword s0, s[0:1], 0x4
	s_waitcnt lgkmcnt(0)
	s_cmp_lg_u32 s0, 0
	s_cbranch_scc1 .LBB48_48
; %bb.1:
	s_load_dword s7, s[4:5], 0x44
	s_load_dword s30, s[4:5], 0x0
	s_add_u32 s0, s4, 56
	s_addc_u32 s1, s5, 0
	v_max_i32_e32 v2, v0, v1
	s_waitcnt lgkmcnt(0)
	s_and_b32 s7, s7, 0xffff
	s_add_i32 s14, s30, -1
	s_lshl_b32 s23, s7, 1
	s_lshr_b32 s7, s14, 31
	s_add_i32 s14, s14, s7
	s_mul_i32 s31, s23, s6
	s_and_b32 s7, s14, -2
	s_sub_i32 s7, s7, s31
	s_add_i32 s7, s7, 2
	s_min_i32 s21, s23, s7
	s_ashr_i32 s22, s21, 1
	v_cmp_gt_i32_e32 vcc, s22, v2
	s_and_saveexec_b64 s[14:15], vcc
	s_cbranch_execz .LBB48_48
; %bb.2:
	s_cmp_eq_u64 s[12:13], 0
	s_mov_b64 s[16:17], 0
	s_cbranch_scc1 .LBB48_4
; %bb.3:
	s_load_dword s0, s[0:1], 0x0
	s_waitcnt lgkmcnt(0)
	s_mul_i32 s0, s0, s2
	s_add_i32 s0, s0, s6
	s_mul_i32 s0, s23, s0
	s_mul_i32 s0, s0, s23
	s_ashr_i32 s1, s0, 31
	s_lshl_b64 s[0:1], s[0:1], 3
	s_add_u32 s16, s12, s0
	s_addc_u32 s17, s13, s1
.LBB48_4:
	s_cmp_lg_u64 s[16:17], 0
	v_lshlrev_b32_e32 v2, 1, v0
	s_cselect_b64 s[18:19], -1, 0
	s_cmp_eq_u64 s[16:17], 0
	v_lshlrev_b32_e32 v4, 1, v1
	s_cbranch_scc1 .LBB48_6
; %bb.5:
	v_mov_b32_e32 v5, 0
	v_mad_u32_u24 v7, s23, v4, v2
	v_mov_b32_e32 v8, v5
	v_lshlrev_b64 v[8:9], 3, v[7:8]
	v_mov_b32_e32 v3, 0x3ff00000
	v_cmp_eq_u32_e32 vcc, v2, v4
	v_add_u32_e32 v10, s23, v7
	v_mov_b32_e32 v11, v5
	s_mov_b32 s0, 0
	v_cndmask_b32_e32 v6, 0, v3, vcc
	v_mov_b32_e32 v3, s17
	v_add_co_u32_e32 v8, vcc, s16, v8
	v_lshlrev_b64 v[10:11], 3, v[10:11]
	v_addc_co_u32_e32 v9, vcc, v3, v9, vcc
	s_mov_b32 s1, s0
	v_add_co_u32_e32 v10, vcc, s16, v10
	v_mov_b32_e32 v13, s1
	v_addc_co_u32_e32 v11, vcc, v3, v11, vcc
	v_mov_b32_e32 v12, s0
	global_store_dwordx2 v[8:9], v[5:6], off
	global_store_dwordx2 v[10:11], v[12:13], off
	global_store_dwordx2 v[8:9], v[12:13], off offset:8
	global_store_dwordx2 v[10:11], v[5:6], off offset:8
.LBB48_6:
	s_lshl_b32 s0, s22, 3
	s_add_i32 s24, s0, 0
	s_add_i32 s25, s24, s0
	s_lshl_b32 s0, s22, 2
	v_add_u32_e32 v2, s31, v2
	s_add_i32 s33, s25, s0
	v_or_b32_e32 v3, 1, v2
	v_cmp_eq_u32_e64 s[0:1], 0, v1
	v_lshlrev_b32_e32 v5, 2, v0
	s_and_saveexec_b64 s[6:7], s[0:1]
	s_cbranch_execz .LBB48_8
; %bb.7:
	v_add_u32_e32 v6, s25, v5
	v_add_u32_e32 v1, s33, v5
	ds_write_b32 v6, v2
	ds_write_b32 v1, v3
.LBB48_8:
	s_or_b64 exec, exec, s[6:7]
	s_cmp_lt_i32 s21, 2
	s_cbranch_scc1 .LBB48_48
; %bb.9:
	v_mov_b32_e32 v6, 0
	v_mov_b32_e32 v7, 0x100000
	v_div_scale_f64 v[8:9], s[6:7], s[10:11], s[10:11], v[6:7]
	s_mov_b32 s6, 0
	s_mov_b32 s7, 0x100000
	v_add_u32_e32 v1, s31, v4
	v_mul_u32_u24_e32 v20, s23, v4
	v_mad_u32_u24 v21, s23, v4, s23
	v_add_u32_e32 v22, s25, v5
	v_add_u32_e32 v23, s33, v5
	s_load_dwordx4 s[12:15], s[4:5], 0x8
	s_mul_i32 s3, s8, s3
	s_mul_hi_u32 s5, s8, s2
	s_mul_i32 s4, s8, s2
	v_lshlrev_b32_e32 v16, 3, v0
	s_waitcnt lgkmcnt(0)
	v_mul_lo_u32 v26, v1, s15
	v_or_b32_e32 v17, 1, v1
	v_rcp_f64_e32 v[10:11], v[8:9]
	s_mov_b32 s20, 0
	s_movk_i32 s34, 0x204
	v_add_u32_e32 v24, 0, v16
	v_add_u32_e32 v25, s24, v16
	;; [unrolled: 1-line block ×3, first 2 shown]
	v_mov_b32_e32 v29, 0x260
	v_mov_b32_e32 v30, 0xfff80000
	;; [unrolled: 1-line block ×5, first 2 shown]
	v_fma_f64 v[12:13], -v[8:9], v[10:11], 1.0
	v_fma_f64 v[10:11], v[10:11], v[12:13], v[10:11]
	v_mov_b32_e32 v13, s11
	v_mov_b32_e32 v12, s10
	v_div_scale_f64 v[12:13], vcc, s[6:7], v[12:13], s[6:7]
	s_mul_i32 s6, s9, s2
	s_add_i32 s2, s5, s3
	s_add_i32 s5, s2, s6
	v_fma_f64 v[14:15], -v[8:9], v[10:11], 1.0
	s_lshl_b64 s[4:5], s[4:5], 3
	s_ashr_i32 s7, s14, 31
	s_mov_b32 s6, s14
	s_add_u32 s8, s12, s4
	s_addc_u32 s9, s13, s5
	s_lshl_b64 s[4:5], s[6:7], 3
	s_add_u32 s14, s8, s4
	v_fma_f64 v[10:11], v[10:11], v[14:15], v[10:11]
	s_addc_u32 s35, s9, s5
	s_add_i32 s22, s22, -1
	s_add_i32 s4, s33, -4
	v_cmp_gt_i32_e64 s[2:3], s30, v17
	s_add_i32 s36, s15, 1
	s_add_i32 s37, s21, -1
	v_mul_f64 v[14:15], v[12:13], v[10:11]
	v_fma_f64 v[4:5], -v[8:9], v[14:15], v[12:13]
	v_add_u32_e32 v8, 4, v23
	v_mov_b32_e32 v9, s4
                                        ; implicit-def: $vgpr12_vgpr13
	v_div_fmas_f64 v[4:5], v[4:5], v[10:11], v[14:15]
	v_cmp_eq_u32_e32 vcc, s22, v0
	v_cndmask_b32_e32 v28, v8, v9, vcc
                                        ; implicit-def: $vgpr8_vgpr9
	v_div_fixup_f64 v[4:5], v[4:5], s[10:11], v[6:7]
	s_mov_b32 s10, 0
	s_brev_b32 s11, 8
                                        ; implicit-def: $vgpr6_vgpr7
	s_branch .LBB48_11
.LBB48_10:                              ;   in Loop: Header=BB48_11 Depth=1
	s_or_b64 exec, exec, s[4:5]
	s_add_i32 s37, s37, -1
	s_cmp_lg_u32 s37, 0
	s_cbranch_scc0 .LBB48_48
.LBB48_11:                              ; =>This Inner Loop Header: Depth=1
	v_cmp_gt_i32_e64 s[4:5], s30, v2
	s_and_b64 s[8:9], s[0:1], s[4:5]
	v_cmp_gt_i32_e64 s[6:7], s30, v3
	s_and_b64 s[12:13], s[8:9], s[6:7]
	s_and_saveexec_b64 s[22:23], s[12:13]
	s_cbranch_execz .LBB48_27
; %bb.12:                               ;   in Loop: Header=BB48_11 Depth=1
	v_mul_lo_u32 v14, v3, s15
	v_mov_b32_e32 v10, s35
	v_mov_b32_e32 v12, 0
	;; [unrolled: 1-line block ×3, first 2 shown]
	v_add_u32_e32 v8, v2, v14
	v_ashrrev_i32_e32 v9, 31, v8
	v_lshlrev_b64 v[8:9], 3, v[8:9]
	v_add_co_u32_e32 v8, vcc, s14, v8
	v_addc_co_u32_e32 v9, vcc, v10, v9, vcc
	global_load_dwordx2 v[10:11], v[8:9], off
	s_waitcnt vmcnt(0)
	v_mul_f64 v[8:9], v[10:11], v[10:11]
	v_cmp_nlt_f64_e32 vcc, v[8:9], v[4:5]
	v_mov_b32_e32 v8, 0
	v_mov_b32_e32 v9, 0x3ff00000
	s_and_saveexec_b64 s[24:25], vcc
	s_cbranch_execz .LBB48_26
; %bb.13:                               ;   in Loop: Header=BB48_11 Depth=1
	v_add_u32_e32 v8, v14, v3
	v_ashrrev_i32_e32 v9, 31, v8
	v_mul_lo_u32 v12, v2, s36
	v_lshlrev_b64 v[8:9], 3, v[8:9]
	v_mov_b32_e32 v13, s35
	v_add_co_u32_e32 v8, vcc, s14, v8
	v_addc_co_u32_e32 v9, vcc, v13, v9, vcc
	v_ashrrev_i32_e32 v13, 31, v12
	v_lshlrev_b64 v[12:13], 3, v[12:13]
	v_mov_b32_e32 v14, s35
	v_add_co_u32_e32 v12, vcc, s14, v12
	v_addc_co_u32_e32 v13, vcc, v14, v13, vcc
	global_load_dwordx2 v[14:15], v[8:9], off
	global_load_dwordx2 v[16:17], v[12:13], off
	v_add_f64 v[12:13], |v[10:11]|, |v[10:11]|
	v_cmp_class_f64_e64 s[26:27], v[12:13], s34
	s_waitcnt vmcnt(0)
	v_add_f64 v[14:15], v[14:15], -v[16:17]
	v_max_f64 v[8:9], |v[14:15]|, |v[12:13]|
	v_cmp_ngt_f64_e32 vcc, 0, v[14:15]
	v_cmp_class_f64_e64 s[28:29], v[14:15], s34
	v_frexp_exp_i32_f64_e32 v16, v[8:9]
	v_sub_u32_e32 v17, 0, v16
	v_ldexp_f64 v[8:9], |v[12:13]|, v17
	v_ldexp_f64 v[17:18], |v[14:15]|, v17
	v_mul_f64 v[8:9], v[8:9], v[8:9]
	v_fma_f64 v[8:9], v[17:18], v[17:18], v[8:9]
	v_rsq_f64_e32 v[17:18], v[8:9]
	v_cmp_eq_f64_e64 s[8:9], 0, v[8:9]
	v_mul_f64 v[34:35], v[8:9], v[17:18]
	v_mul_f64 v[17:18], v[17:18], 0.5
	v_fma_f64 v[36:37], -v[17:18], v[34:35], 0.5
	v_fma_f64 v[34:35], v[34:35], v[36:37], v[34:35]
	v_fma_f64 v[17:18], v[17:18], v[36:37], v[17:18]
	v_fma_f64 v[36:37], -v[34:35], v[34:35], v[8:9]
	v_fma_f64 v[17:18], v[36:37], v[17:18], v[34:35]
	v_cndmask_b32_e64 v9, v18, v9, s[8:9]
	v_cndmask_b32_e64 v8, v17, v8, s[8:9]
                                        ; implicit-def: $vgpr18_vgpr19
	s_and_saveexec_b64 s[8:9], vcc
	s_xor_b64 s[8:9], exec, s[8:9]
	s_cbranch_execz .LBB48_15
; %bb.14:                               ;   in Loop: Header=BB48_11 Depth=1
	v_ldexp_f64 v[8:9], v[8:9], v16
	v_cmp_o_f64_e32 vcc, v[14:15], v[12:13]
	v_mov_b32_e32 v16, 0x7ff80000
	v_mov_b32_e32 v17, 0x7ff00000
	v_cndmask_b32_e32 v8, 0, v8, vcc
	v_cndmask_b32_e32 v9, v16, v9, vcc
	s_or_b64 vcc, s[26:27], s[28:29]
	v_cndmask_b32_e32 v19, v9, v17, vcc
	v_cndmask_b32_e64 v18, v8, 0, vcc
                                        ; implicit-def: $vgpr8_vgpr9
                                        ; implicit-def: $vgpr16
.LBB48_15:                              ;   in Loop: Header=BB48_11 Depth=1
	s_andn2_saveexec_b64 s[8:9], s[8:9]
	s_cbranch_execz .LBB48_17
; %bb.16:                               ;   in Loop: Header=BB48_11 Depth=1
	v_ldexp_f64 v[8:9], -v[8:9], v16
	v_cmp_o_f64_e32 vcc, v[12:13], v[12:13]
	v_cndmask_b32_e32 v8, 0, v8, vcc
	v_cndmask_b32_e32 v9, v30, v9, vcc
	s_or_b64 vcc, s[26:27], s[28:29]
	v_cndmask_b32_e32 v19, v9, v31, vcc
	v_cndmask_b32_e64 v18, v8, 0, vcc
.LBB48_17:                              ;   in Loop: Header=BB48_11 Depth=1
	s_or_b64 exec, exec, s[8:9]
	v_cmp_neq_f64_e32 vcc, 0, v[12:13]
	v_mov_b32_e32 v16, 0
	v_mov_b32_e32 v8, 0
	;; [unrolled: 1-line block ×4, first 2 shown]
	s_and_saveexec_b64 s[8:9], vcc
	s_cbranch_execz .LBB48_25
; %bb.18:                               ;   in Loop: Header=BB48_11 Depth=1
	v_add_f64 v[14:15], v[14:15], v[18:19]
	v_mov_b32_e32 v8, 0
	v_mov_b32_e32 v16, 0
	;; [unrolled: 1-line block ×4, first 2 shown]
	v_cmp_neq_f64_e32 vcc, 0, v[14:15]
	s_and_saveexec_b64 s[26:27], vcc
	s_cbranch_execz .LBB48_24
; %bb.19:                               ;   in Loop: Header=BB48_11 Depth=1
	v_cmp_ngt_f64_e64 s[28:29], |v[12:13]|, |v[14:15]|
                                        ; implicit-def: $vgpr8_vgpr9
                                        ; implicit-def: $vgpr16_vgpr17
	s_and_saveexec_b64 s[38:39], s[28:29]
	s_xor_b64 s[28:29], exec, s[38:39]
	s_cbranch_execz .LBB48_21
; %bb.20:                               ;   in Loop: Header=BB48_11 Depth=1
	v_div_scale_f64 v[8:9], s[38:39], v[14:15], v[14:15], -v[12:13]
	v_rcp_f64_e32 v[16:17], v[8:9]
	v_fma_f64 v[18:19], -v[8:9], v[16:17], 1.0
	v_fma_f64 v[16:17], v[16:17], v[18:19], v[16:17]
	v_div_scale_f64 v[18:19], vcc, -v[12:13], v[14:15], -v[12:13]
	v_fma_f64 v[34:35], -v[8:9], v[16:17], 1.0
	v_fma_f64 v[16:17], v[16:17], v[34:35], v[16:17]
	v_mul_f64 v[34:35], v[18:19], v[16:17]
	v_fma_f64 v[8:9], -v[8:9], v[34:35], v[18:19]
	v_div_fmas_f64 v[8:9], v[8:9], v[16:17], v[34:35]
	v_div_fixup_f64 v[12:13], v[8:9], v[14:15], -v[12:13]
	v_fma_f64 v[8:9], v[12:13], v[12:13], 1.0
	v_cmp_gt_f64_e32 vcc, s[10:11], v[8:9]
	v_cndmask_b32_e32 v14, 0, v32, vcc
	v_ldexp_f64 v[8:9], v[8:9], v14
	v_rsq_f64_e32 v[14:15], v[8:9]
	v_mul_f64 v[16:17], v[8:9], v[14:15]
	v_mul_f64 v[14:15], v[14:15], 0.5
	v_fma_f64 v[18:19], -v[14:15], v[16:17], 0.5
	v_fma_f64 v[16:17], v[16:17], v[18:19], v[16:17]
	v_fma_f64 v[14:15], v[14:15], v[18:19], v[14:15]
	v_fma_f64 v[18:19], -v[16:17], v[16:17], v[8:9]
	v_fma_f64 v[16:17], v[18:19], v[14:15], v[16:17]
	v_fma_f64 v[18:19], -v[16:17], v[16:17], v[8:9]
	v_fma_f64 v[14:15], v[18:19], v[14:15], v[16:17]
	v_cndmask_b32_e32 v16, 0, v33, vcc
	v_cmp_class_f64_e32 vcc, v[8:9], v29
	v_ldexp_f64 v[14:15], v[14:15], v16
	v_cndmask_b32_e32 v9, v15, v9, vcc
	v_cndmask_b32_e32 v8, v14, v8, vcc
	v_div_scale_f64 v[14:15], s[38:39], v[8:9], v[8:9], 1.0
	v_div_scale_f64 v[34:35], vcc, 1.0, v[8:9], 1.0
	v_rcp_f64_e32 v[16:17], v[14:15]
	v_fma_f64 v[18:19], -v[14:15], v[16:17], 1.0
	v_fma_f64 v[16:17], v[16:17], v[18:19], v[16:17]
	v_fma_f64 v[18:19], -v[14:15], v[16:17], 1.0
	v_fma_f64 v[16:17], v[16:17], v[18:19], v[16:17]
	v_mul_f64 v[18:19], v[34:35], v[16:17]
	v_fma_f64 v[14:15], -v[14:15], v[18:19], v[34:35]
	v_div_fmas_f64 v[14:15], v[14:15], v[16:17], v[18:19]
	v_div_fixup_f64 v[8:9], v[14:15], v[8:9], 1.0
                                        ; implicit-def: $vgpr14_vgpr15
	v_mul_f64 v[16:17], v[12:13], v[8:9]
                                        ; implicit-def: $vgpr12_vgpr13
.LBB48_21:                              ;   in Loop: Header=BB48_11 Depth=1
	s_andn2_saveexec_b64 s[28:29], s[28:29]
	s_cbranch_execz .LBB48_23
; %bb.22:                               ;   in Loop: Header=BB48_11 Depth=1
	v_div_scale_f64 v[8:9], s[38:39], v[12:13], v[12:13], -v[14:15]
	v_rcp_f64_e32 v[16:17], v[8:9]
	v_fma_f64 v[18:19], -v[8:9], v[16:17], 1.0
	v_fma_f64 v[16:17], v[16:17], v[18:19], v[16:17]
	v_div_scale_f64 v[18:19], vcc, -v[14:15], v[12:13], -v[14:15]
	v_fma_f64 v[34:35], -v[8:9], v[16:17], 1.0
	v_fma_f64 v[16:17], v[16:17], v[34:35], v[16:17]
	v_mul_f64 v[34:35], v[18:19], v[16:17]
	v_fma_f64 v[8:9], -v[8:9], v[34:35], v[18:19]
	v_div_fmas_f64 v[8:9], v[8:9], v[16:17], v[34:35]
	v_div_fixup_f64 v[8:9], v[8:9], v[12:13], -v[14:15]
	v_fma_f64 v[12:13], v[8:9], v[8:9], 1.0
	v_cmp_gt_f64_e32 vcc, s[10:11], v[12:13]
	v_cndmask_b32_e32 v14, 0, v32, vcc
	v_ldexp_f64 v[12:13], v[12:13], v14
	v_rsq_f64_e32 v[14:15], v[12:13]
	v_mul_f64 v[16:17], v[12:13], v[14:15]
	v_mul_f64 v[14:15], v[14:15], 0.5
	v_fma_f64 v[18:19], -v[14:15], v[16:17], 0.5
	v_fma_f64 v[16:17], v[16:17], v[18:19], v[16:17]
	v_fma_f64 v[14:15], v[14:15], v[18:19], v[14:15]
	v_fma_f64 v[18:19], -v[16:17], v[16:17], v[12:13]
	v_fma_f64 v[16:17], v[18:19], v[14:15], v[16:17]
	v_fma_f64 v[18:19], -v[16:17], v[16:17], v[12:13]
	v_fma_f64 v[14:15], v[18:19], v[14:15], v[16:17]
	v_cndmask_b32_e32 v16, 0, v33, vcc
	v_cmp_class_f64_e32 vcc, v[12:13], v29
	v_ldexp_f64 v[14:15], v[14:15], v16
	v_cndmask_b32_e32 v13, v15, v13, vcc
	v_cndmask_b32_e32 v12, v14, v12, vcc
	v_div_scale_f64 v[14:15], s[38:39], v[12:13], v[12:13], 1.0
	v_div_scale_f64 v[34:35], vcc, 1.0, v[12:13], 1.0
	v_rcp_f64_e32 v[16:17], v[14:15]
	v_fma_f64 v[18:19], -v[14:15], v[16:17], 1.0
	v_fma_f64 v[16:17], v[16:17], v[18:19], v[16:17]
	v_fma_f64 v[18:19], -v[14:15], v[16:17], 1.0
	v_fma_f64 v[16:17], v[16:17], v[18:19], v[16:17]
	v_mul_f64 v[18:19], v[34:35], v[16:17]
	v_fma_f64 v[14:15], -v[14:15], v[18:19], v[34:35]
	v_div_fmas_f64 v[14:15], v[14:15], v[16:17], v[18:19]
	v_div_fixup_f64 v[16:17], v[14:15], v[12:13], 1.0
	v_mul_f64 v[8:9], v[8:9], v[16:17]
.LBB48_23:                              ;   in Loop: Header=BB48_11 Depth=1
	s_or_b64 exec, exec, s[28:29]
.LBB48_24:                              ;   in Loop: Header=BB48_11 Depth=1
	s_or_b64 exec, exec, s[26:27]
.LBB48_25:                              ;   in Loop: Header=BB48_11 Depth=1
	s_or_b64 exec, exec, s[8:9]
	v_mul_f64 v[12:13], v[10:11], v[16:17]
	v_and_b32_e32 v15, 0x7fffffff, v11
	v_mov_b32_e32 v14, v10
	v_div_scale_f64 v[16:17], s[8:9], v[14:15], v[14:15], v[12:13]
	v_div_scale_f64 v[14:15], vcc, v[12:13], v[14:15], v[12:13]
	v_rcp_f64_e32 v[18:19], v[16:17]
	v_fma_f64 v[34:35], -v[16:17], v[18:19], 1.0
	v_fma_f64 v[18:19], v[18:19], v[34:35], v[18:19]
	v_fma_f64 v[34:35], -v[16:17], v[18:19], 1.0
	v_fma_f64 v[18:19], v[18:19], v[34:35], v[18:19]
	v_mul_f64 v[34:35], v[14:15], v[18:19]
	v_fma_f64 v[14:15], -v[16:17], v[34:35], v[14:15]
	v_div_fmas_f64 v[14:15], v[14:15], v[18:19], v[34:35]
	v_div_fixup_f64 v[12:13], v[14:15], |v[10:11]|, v[12:13]
.LBB48_26:                              ;   in Loop: Header=BB48_11 Depth=1
	s_or_b64 exec, exec, s[24:25]
	ds_write_b64 v24, v[8:9]
	ds_write_b64 v25, v[12:13]
.LBB48_27:                              ;   in Loop: Header=BB48_11 Depth=1
	s_or_b64 exec, exec, s[22:23]
	s_and_b64 s[4:5], s[4:5], s[6:7]
	s_waitcnt vmcnt(0) lgkmcnt(0)
	s_barrier
	s_and_saveexec_b64 s[6:7], s[4:5]
	s_cbranch_execz .LBB48_35
; %bb.28:                               ;   in Loop: Header=BB48_11 Depth=1
	ds_read_b64 v[8:9], v24
	ds_read_b64 v[6:7], v25
	s_andn2_b64 vcc, exec, s[18:19]
	s_cbranch_vccnz .LBB48_32
; %bb.29:                               ;   in Loop: Header=BB48_11 Depth=1
	v_subrev_u32_e32 v11, s31, v2
	v_add_u32_e32 v12, v11, v20
	v_subrev_u32_e32 v10, s31, v3
	v_ashrrev_i32_e32 v13, 31, v12
	v_lshlrev_b64 v[12:13], 3, v[12:13]
	v_add_u32_e32 v14, v10, v20
	v_ashrrev_i32_e32 v15, 31, v14
	v_mov_b32_e32 v16, s17
	v_add_co_u32_e32 v12, vcc, s16, v12
	v_lshlrev_b64 v[14:15], 3, v[14:15]
	v_addc_co_u32_e32 v13, vcc, v16, v13, vcc
	v_add_co_u32_e32 v14, vcc, s16, v14
	v_addc_co_u32_e32 v15, vcc, v16, v15, vcc
	global_load_dwordx2 v[16:17], v[14:15], off
	global_load_dwordx2 v[18:19], v[12:13], off
	s_waitcnt vmcnt(1) lgkmcnt(0)
	v_mul_f64 v[34:35], v[6:7], v[16:17]
	s_waitcnt vmcnt(0)
	v_mul_f64 v[36:37], v[6:7], v[18:19]
	v_fma_f64 v[18:19], v[8:9], v[18:19], v[34:35]
	v_fma_f64 v[16:17], v[8:9], v[16:17], -v[36:37]
	global_store_dwordx2 v[12:13], v[18:19], off
	global_store_dwordx2 v[14:15], v[16:17], off
	s_and_saveexec_b64 s[8:9], s[2:3]
	s_cbranch_execz .LBB48_31
; %bb.30:                               ;   in Loop: Header=BB48_11 Depth=1
	v_add_u32_e32 v11, v11, v21
	v_ashrrev_i32_e32 v12, 31, v11
	v_lshlrev_b64 v[11:12], 3, v[11:12]
	v_add_u32_e32 v13, v10, v21
	v_ashrrev_i32_e32 v14, 31, v13
	v_mov_b32_e32 v15, s17
	v_add_co_u32_e32 v11, vcc, s16, v11
	v_lshlrev_b64 v[13:14], 3, v[13:14]
	v_addc_co_u32_e32 v12, vcc, v15, v12, vcc
	v_add_co_u32_e32 v13, vcc, s16, v13
	v_addc_co_u32_e32 v14, vcc, v15, v14, vcc
	global_load_dwordx2 v[15:16], v[13:14], off
	global_load_dwordx2 v[17:18], v[11:12], off
	s_waitcnt vmcnt(1)
	v_mul_f64 v[34:35], v[6:7], v[15:16]
	s_waitcnt vmcnt(0)
	v_mul_f64 v[36:37], v[6:7], v[17:18]
	v_fma_f64 v[17:18], v[8:9], v[17:18], v[34:35]
	v_fma_f64 v[15:16], v[8:9], v[15:16], -v[36:37]
	global_store_dwordx2 v[11:12], v[17:18], off
	global_store_dwordx2 v[13:14], v[15:16], off
.LBB48_31:                              ;   in Loop: Header=BB48_11 Depth=1
	s_or_b64 exec, exec, s[8:9]
.LBB48_32:                              ;   in Loop: Header=BB48_11 Depth=1
	v_mad_u64_u32 v[10:11], s[8:9], v2, s15, v[1:2]
	v_mad_u64_u32 v[12:13], s[8:9], v3, s15, v[1:2]
	v_ashrrev_i32_e32 v11, 31, v10
	v_lshlrev_b64 v[10:11], 3, v[10:11]
	v_ashrrev_i32_e32 v13, 31, v12
	v_mov_b32_e32 v14, s35
	v_add_co_u32_e32 v10, vcc, s14, v10
	v_lshlrev_b64 v[12:13], 3, v[12:13]
	v_addc_co_u32_e32 v11, vcc, v14, v11, vcc
	v_add_co_u32_e32 v12, vcc, s14, v12
	v_addc_co_u32_e32 v13, vcc, v14, v13, vcc
	global_load_dwordx2 v[14:15], v[12:13], off
	global_load_dwordx2 v[16:17], v[10:11], off
	s_waitcnt vmcnt(1) lgkmcnt(0)
	v_mul_f64 v[18:19], v[6:7], v[14:15]
	s_waitcnt vmcnt(0)
	v_mul_f64 v[34:35], v[6:7], v[16:17]
	v_fma_f64 v[16:17], v[8:9], v[16:17], v[18:19]
	v_fma_f64 v[14:15], v[8:9], v[14:15], -v[34:35]
	global_store_dwordx2 v[10:11], v[16:17], off
	global_store_dwordx2 v[12:13], v[14:15], off
	s_and_saveexec_b64 s[8:9], s[2:3]
	s_cbranch_execz .LBB48_34
; %bb.33:                               ;   in Loop: Header=BB48_11 Depth=1
	global_load_dwordx2 v[14:15], v[12:13], off offset:8
	global_load_dwordx2 v[16:17], v[10:11], off offset:8
	s_waitcnt vmcnt(1)
	v_mul_f64 v[18:19], v[6:7], v[14:15]
	s_waitcnt vmcnt(0)
	v_mul_f64 v[34:35], v[6:7], v[16:17]
	v_fma_f64 v[16:17], v[8:9], v[16:17], v[18:19]
	v_fma_f64 v[14:15], v[8:9], v[14:15], -v[34:35]
	global_store_dwordx2 v[10:11], v[16:17], off offset:8
	global_store_dwordx2 v[12:13], v[14:15], off offset:8
.LBB48_34:                              ;   in Loop: Header=BB48_11 Depth=1
	s_or_b64 exec, exec, s[8:9]
	v_mov_b32_e32 v13, v7
	v_mov_b32_e32 v12, v6
.LBB48_35:                              ;   in Loop: Header=BB48_11 Depth=1
	s_or_b64 exec, exec, s[6:7]
	s_waitcnt vmcnt(0)
	s_barrier
	s_and_saveexec_b64 s[6:7], s[4:5]
	s_cbranch_execz .LBB48_38
; %bb.36:                               ;   in Loop: Header=BB48_11 Depth=1
	v_add_u32_e32 v10, v2, v26
	v_ashrrev_i32_e32 v11, 31, v10
	v_lshlrev_b64 v[10:11], 3, v[10:11]
	v_mov_b32_e32 v14, s35
	v_add_co_u32_e32 v10, vcc, s14, v10
	v_addc_co_u32_e32 v11, vcc, v14, v11, vcc
	v_add_u32_e32 v14, v3, v26
	v_ashrrev_i32_e32 v15, 31, v14
	v_lshlrev_b64 v[14:15], 3, v[14:15]
	v_mov_b32_e32 v16, s35
	v_add_co_u32_e32 v14, vcc, s14, v14
	v_addc_co_u32_e32 v15, vcc, v16, v15, vcc
	global_load_dwordx2 v[16:17], v[14:15], off
	global_load_dwordx2 v[18:19], v[10:11], off
	s_waitcnt vmcnt(1)
	v_mul_f64 v[34:35], v[12:13], v[16:17]
	s_waitcnt vmcnt(0)
	v_mul_f64 v[36:37], v[6:7], v[18:19]
	v_fma_f64 v[18:19], v[8:9], v[18:19], v[34:35]
	v_fma_f64 v[16:17], v[8:9], v[16:17], -v[36:37]
	global_store_dwordx2 v[10:11], v[18:19], off
	global_store_dwordx2 v[14:15], v[16:17], off
	s_and_b64 exec, exec, s[2:3]
	s_cbranch_execz .LBB48_38
; %bb.37:                               ;   in Loop: Header=BB48_11 Depth=1
	v_add_u32_e32 v10, v2, v27
	v_ashrrev_i32_e32 v11, 31, v10
	v_lshlrev_b64 v[10:11], 3, v[10:11]
	v_mov_b32_e32 v14, s35
	v_add_co_u32_e32 v10, vcc, s14, v10
	v_addc_co_u32_e32 v11, vcc, v14, v11, vcc
	v_add_u32_e32 v14, v3, v27
	v_ashrrev_i32_e32 v15, 31, v14
	v_lshlrev_b64 v[14:15], 3, v[14:15]
	v_mov_b32_e32 v16, s35
	v_add_co_u32_e32 v14, vcc, s14, v14
	v_addc_co_u32_e32 v15, vcc, v16, v15, vcc
	global_load_dwordx2 v[16:17], v[14:15], off
	global_load_dwordx2 v[18:19], v[10:11], off
	s_waitcnt vmcnt(1)
	v_mul_f64 v[34:35], v[12:13], v[16:17]
	s_waitcnt vmcnt(0)
	v_mul_f64 v[36:37], v[6:7], v[18:19]
	v_fma_f64 v[18:19], v[8:9], v[18:19], v[34:35]
	v_fma_f64 v[16:17], v[8:9], v[16:17], -v[36:37]
	global_store_dwordx2 v[10:11], v[18:19], off
	global_store_dwordx2 v[14:15], v[16:17], off
.LBB48_38:                              ;   in Loop: Header=BB48_11 Depth=1
	s_or_b64 exec, exec, s[6:7]
	s_waitcnt vmcnt(0)
	s_barrier
	s_and_saveexec_b64 s[4:5], s[12:13]
	s_cbranch_execz .LBB48_40
; %bb.39:                               ;   in Loop: Header=BB48_11 Depth=1
	v_mad_u64_u32 v[10:11], s[6:7], v3, s15, v[2:3]
	v_mov_b32_e32 v14, s35
	s_mov_b32 s21, s20
	v_ashrrev_i32_e32 v11, 31, v10
	v_lshlrev_b64 v[10:11], 3, v[10:11]
	v_mov_b32_e32 v16, s20
	v_add_co_u32_e32 v10, vcc, s14, v10
	v_addc_co_u32_e32 v11, vcc, v14, v11, vcc
	v_mad_u64_u32 v[14:15], s[6:7], v2, s15, v[3:4]
	v_mov_b32_e32 v17, s21
	global_store_dwordx2 v[10:11], v[16:17], off
	v_ashrrev_i32_e32 v15, 31, v14
	v_lshlrev_b64 v[10:11], 3, v[14:15]
	v_mov_b32_e32 v3, s35
	v_add_co_u32_e32 v10, vcc, s14, v10
	v_addc_co_u32_e32 v11, vcc, v3, v11, vcc
	global_store_dwordx2 v[10:11], v[16:17], off
.LBB48_40:                              ;   in Loop: Header=BB48_11 Depth=1
	s_or_b64 exec, exec, s[4:5]
	v_cmp_lt_i32_e32 vcc, 0, v0
	s_and_saveexec_b64 s[4:5], vcc
	s_cbranch_execz .LBB48_46
; %bb.41:                               ;   in Loop: Header=BB48_11 Depth=1
	v_cmp_ne_u32_e32 vcc, 1, v0
                                        ; implicit-def: $vgpr2
	s_and_saveexec_b64 s[6:7], vcc
	s_xor_b64 s[6:7], exec, s[6:7]
; %bb.42:                               ;   in Loop: Header=BB48_11 Depth=1
	v_add_u32_e32 v2, -4, v22
	ds_read_b32 v2, v2
; %bb.43:                               ;   in Loop: Header=BB48_11 Depth=1
	s_andn2_saveexec_b64 s[6:7], s[6:7]
	s_cbranch_execz .LBB48_45
; %bb.44:                               ;   in Loop: Header=BB48_11 Depth=1
	s_waitcnt lgkmcnt(0)
	v_mov_b32_e32 v2, s33
	ds_read_b32 v2, v2
.LBB48_45:                              ;   in Loop: Header=BB48_11 Depth=1
	s_or_b64 exec, exec, s[6:7]
.LBB48_46:                              ;   in Loop: Header=BB48_11 Depth=1
	s_or_b64 exec, exec, s[4:5]
	ds_read_b32 v3, v28
	s_waitcnt vmcnt(0) lgkmcnt(0)
	s_barrier
	s_and_saveexec_b64 s[4:5], s[0:1]
	s_cbranch_execz .LBB48_10
; %bb.47:                               ;   in Loop: Header=BB48_11 Depth=1
	ds_write_b32 v22, v2
	ds_write_b32 v23, v3
	s_branch .LBB48_10
.LBB48_48:
	s_endpgm
	.section	.rodata,"a",@progbits
	.p2align	6, 0x0
	.amdhsa_kernel _ZN9rocsolver6v33100L17syevj_diag_kernelIddPdEEviT1_iilT0_PT_Pi
		.amdhsa_group_segment_fixed_size 0
		.amdhsa_private_segment_fixed_size 0
		.amdhsa_kernarg_size 312
		.amdhsa_user_sgpr_count 6
		.amdhsa_user_sgpr_private_segment_buffer 1
		.amdhsa_user_sgpr_dispatch_ptr 0
		.amdhsa_user_sgpr_queue_ptr 0
		.amdhsa_user_sgpr_kernarg_segment_ptr 1
		.amdhsa_user_sgpr_dispatch_id 0
		.amdhsa_user_sgpr_flat_scratch_init 0
		.amdhsa_user_sgpr_private_segment_size 0
		.amdhsa_uses_dynamic_stack 0
		.amdhsa_system_sgpr_private_segment_wavefront_offset 0
		.amdhsa_system_sgpr_workgroup_id_x 1
		.amdhsa_system_sgpr_workgroup_id_y 0
		.amdhsa_system_sgpr_workgroup_id_z 1
		.amdhsa_system_sgpr_workgroup_info 0
		.amdhsa_system_vgpr_workitem_id 1
		.amdhsa_next_free_vgpr 38
		.amdhsa_next_free_sgpr 40
		.amdhsa_reserve_vcc 1
		.amdhsa_reserve_flat_scratch 0
		.amdhsa_float_round_mode_32 0
		.amdhsa_float_round_mode_16_64 0
		.amdhsa_float_denorm_mode_32 3
		.amdhsa_float_denorm_mode_16_64 3
		.amdhsa_dx10_clamp 1
		.amdhsa_ieee_mode 1
		.amdhsa_fp16_overflow 0
		.amdhsa_exception_fp_ieee_invalid_op 0
		.amdhsa_exception_fp_denorm_src 0
		.amdhsa_exception_fp_ieee_div_zero 0
		.amdhsa_exception_fp_ieee_overflow 0
		.amdhsa_exception_fp_ieee_underflow 0
		.amdhsa_exception_fp_ieee_inexact 0
		.amdhsa_exception_int_div_zero 0
	.end_amdhsa_kernel
	.section	.text._ZN9rocsolver6v33100L17syevj_diag_kernelIddPdEEviT1_iilT0_PT_Pi,"axG",@progbits,_ZN9rocsolver6v33100L17syevj_diag_kernelIddPdEEviT1_iilT0_PT_Pi,comdat
.Lfunc_end48:
	.size	_ZN9rocsolver6v33100L17syevj_diag_kernelIddPdEEviT1_iilT0_PT_Pi, .Lfunc_end48-_ZN9rocsolver6v33100L17syevj_diag_kernelIddPdEEviT1_iilT0_PT_Pi
                                        ; -- End function
	.set _ZN9rocsolver6v33100L17syevj_diag_kernelIddPdEEviT1_iilT0_PT_Pi.num_vgpr, 38
	.set _ZN9rocsolver6v33100L17syevj_diag_kernelIddPdEEviT1_iilT0_PT_Pi.num_agpr, 0
	.set _ZN9rocsolver6v33100L17syevj_diag_kernelIddPdEEviT1_iilT0_PT_Pi.numbered_sgpr, 40
	.set _ZN9rocsolver6v33100L17syevj_diag_kernelIddPdEEviT1_iilT0_PT_Pi.num_named_barrier, 0
	.set _ZN9rocsolver6v33100L17syevj_diag_kernelIddPdEEviT1_iilT0_PT_Pi.private_seg_size, 0
	.set _ZN9rocsolver6v33100L17syevj_diag_kernelIddPdEEviT1_iilT0_PT_Pi.uses_vcc, 1
	.set _ZN9rocsolver6v33100L17syevj_diag_kernelIddPdEEviT1_iilT0_PT_Pi.uses_flat_scratch, 0
	.set _ZN9rocsolver6v33100L17syevj_diag_kernelIddPdEEviT1_iilT0_PT_Pi.has_dyn_sized_stack, 0
	.set _ZN9rocsolver6v33100L17syevj_diag_kernelIddPdEEviT1_iilT0_PT_Pi.has_recursion, 0
	.set _ZN9rocsolver6v33100L17syevj_diag_kernelIddPdEEviT1_iilT0_PT_Pi.has_indirect_call, 0
	.section	.AMDGPU.csdata,"",@progbits
; Kernel info:
; codeLenInByte = 3156
; TotalNumSgprs: 44
; NumVgprs: 38
; ScratchSize: 0
; MemoryBound: 0
; FloatMode: 240
; IeeeMode: 1
; LDSByteSize: 0 bytes/workgroup (compile time only)
; SGPRBlocks: 5
; VGPRBlocks: 9
; NumSGPRsForWavesPerEU: 44
; NumVGPRsForWavesPerEU: 38
; Occupancy: 6
; WaveLimiterHint : 0
; COMPUTE_PGM_RSRC2:SCRATCH_EN: 0
; COMPUTE_PGM_RSRC2:USER_SGPR: 6
; COMPUTE_PGM_RSRC2:TRAP_HANDLER: 0
; COMPUTE_PGM_RSRC2:TGID_X_EN: 1
; COMPUTE_PGM_RSRC2:TGID_Y_EN: 0
; COMPUTE_PGM_RSRC2:TGID_Z_EN: 1
; COMPUTE_PGM_RSRC2:TIDIG_COMP_CNT: 1
	.section	.text._ZN9rocsolver6v33100L21syevj_diag_rotate_orgILb0EddPdEEvbiT2_iilPT0_Pi,"axG",@progbits,_ZN9rocsolver6v33100L21syevj_diag_rotate_orgILb0EddPdEEvbiT2_iilPT0_Pi,comdat
	.globl	_ZN9rocsolver6v33100L21syevj_diag_rotate_orgILb0EddPdEEvbiT2_iilPT0_Pi ; -- Begin function _ZN9rocsolver6v33100L21syevj_diag_rotate_orgILb0EddPdEEvbiT2_iilPT0_Pi
	.p2align	8
	.type	_ZN9rocsolver6v33100L21syevj_diag_rotate_orgILb0EddPdEEvbiT2_iilPT0_Pi,@function
_ZN9rocsolver6v33100L21syevj_diag_rotate_orgILb0EddPdEEvbiT2_iilPT0_Pi: ; @_ZN9rocsolver6v33100L21syevj_diag_rotate_orgILb0EddPdEEvbiT2_iilPT0_Pi
; %bb.0:
	s_load_dwordx2 s[0:1], s[4:5], 0x0
	s_load_dwordx2 s[2:3], s[4:5], 0x28
	s_waitcnt lgkmcnt(0)
	s_bitcmp1_b32 s0, 0
	s_cselect_b64 s[10:11], -1, 0
	s_ashr_i32 s9, s8, 31
	s_lshl_b64 s[12:13], s[8:9], 2
	s_add_u32 s2, s2, s12
	s_addc_u32 s3, s3, s13
	s_load_dword s0, s[2:3], 0x4
	s_waitcnt lgkmcnt(0)
	s_cmp_lg_u32 s0, 0
	s_cselect_b64 s[2:3], -1, 0
	s_cmp_eq_u32 s6, s7
	s_cselect_b64 s[12:13], -1, 0
	s_and_b64 s[10:11], s[12:13], s[10:11]
	s_or_b64 s[2:3], s[10:11], s[2:3]
	s_and_b64 vcc, exec, s[2:3]
	s_cbranch_vccnz .LBB49_7
; %bb.1:
	s_load_dword s0, s[4:5], 0x3c
	s_add_u32 s2, s4, 48
	s_addc_u32 s3, s5, 0
	s_waitcnt lgkmcnt(0)
	s_and_b32 s10, s0, 0xffff
	s_mul_i32 s0, s6, s10
	s_mul_i32 s11, s7, s10
	v_add_u32_e32 v7, s0, v0
	v_add_u32_e32 v2, s11, v1
	v_max_i32_e32 v3, v7, v2
	v_cmp_gt_i32_e32 vcc, s1, v3
	s_and_saveexec_b64 s[12:13], vcc
	s_cbranch_execz .LBB49_7
; %bb.2:
	s_load_dwordx8 s[12:19], s[4:5], 0x8
	s_sub_i32 s0, s1, s0
	s_min_i32 s4, s0, s10
	s_waitcnt lgkmcnt(0)
	s_mul_i32 s5, s16, s9
	s_mul_hi_u32 s9, s16, s8
	s_add_i32 s5, s9, s5
	s_mul_i32 s9, s17, s8
	s_add_i32 s17, s5, s9
	s_mul_i32 s16, s16, s8
	s_ashr_i32 s1, s14, 31
	s_lshl_b64 s[16:17], s[16:17], 3
	s_mov_b32 s0, s14
	s_add_u32 s5, s12, s16
	s_addc_u32 s9, s13, s17
	s_lshl_b64 s[0:1], s[0:1], 3
	s_add_u32 s0, s5, s0
	s_addc_u32 s1, s9, s1
	s_cmp_lt_i32 s4, 1
	s_cbranch_scc1 .LBB49_5
; %bb.3:
	s_load_dword s2, s[2:3], 0x0
	s_mul_i32 s3, s6, s15
	s_add_i32 s3, s7, s3
	s_mul_i32 s3, s3, s10
	v_add_u32_e32 v3, s3, v1
	s_waitcnt lgkmcnt(0)
	s_mul_i32 s2, s2, s8
	s_add_i32 s2, s2, s6
	s_mul_i32 s2, s2, s10
	s_mul_i32 s2, s2, s10
	s_ashr_i32 s3, s2, 31
	s_lshl_b64 s[2:3], s[2:3], 3
	s_add_u32 s2, s18, s2
	v_lshlrev_b32_e32 v0, 3, v0
	s_addc_u32 s3, s19, s3
	v_mov_b32_e32 v1, s3
	v_add_co_u32_e32 v5, vcc, s2, v0
	v_addc_co_u32_e32 v6, vcc, 0, v1, vcc
	v_mov_b32_e32 v0, 0
	s_lshl_b32 s2, s10, 3
	v_mov_b32_e32 v1, 0
	v_mov_b32_e32 v8, s1
.LBB49_4:                               ; =>This Inner Loop Header: Depth=1
	v_ashrrev_i32_e32 v4, 31, v3
	v_lshlrev_b64 v[11:12], 3, v[3:4]
	global_load_dwordx2 v[9:10], v[5:6], off
	v_add_co_u32_e32 v11, vcc, s0, v11
	v_addc_co_u32_e32 v12, vcc, v8, v12, vcc
	global_load_dwordx2 v[11:12], v[11:12], off
	s_add_i32 s4, s4, -1
	v_add_co_u32_e32 v5, vcc, s2, v5
	v_addc_co_u32_e32 v6, vcc, 0, v6, vcc
	s_cmp_lg_u32 s4, 0
	v_add_u32_e32 v3, s15, v3
	s_waitcnt vmcnt(0)
	v_fma_f64 v[0:1], v[9:10], v[11:12], v[0:1]
	s_cbranch_scc1 .LBB49_4
	s_branch .LBB49_6
.LBB49_5:
	v_mov_b32_e32 v0, 0
	v_mov_b32_e32 v1, 0
.LBB49_6:
	v_mad_u64_u32 v[2:3], s[2:3], v7, s15, v[2:3]
	v_mov_b32_e32 v4, s1
	v_ashrrev_i32_e32 v3, 31, v2
	v_lshlrev_b64 v[2:3], 3, v[2:3]
	s_barrier
	v_add_co_u32_e32 v2, vcc, s0, v2
	v_addc_co_u32_e32 v3, vcc, v4, v3, vcc
	global_store_dwordx2 v[2:3], v[0:1], off
.LBB49_7:
	s_endpgm
	.section	.rodata,"a",@progbits
	.p2align	6, 0x0
	.amdhsa_kernel _ZN9rocsolver6v33100L21syevj_diag_rotate_orgILb0EddPdEEvbiT2_iilPT0_Pi
		.amdhsa_group_segment_fixed_size 0
		.amdhsa_private_segment_fixed_size 0
		.amdhsa_kernarg_size 304
		.amdhsa_user_sgpr_count 6
		.amdhsa_user_sgpr_private_segment_buffer 1
		.amdhsa_user_sgpr_dispatch_ptr 0
		.amdhsa_user_sgpr_queue_ptr 0
		.amdhsa_user_sgpr_kernarg_segment_ptr 1
		.amdhsa_user_sgpr_dispatch_id 0
		.amdhsa_user_sgpr_flat_scratch_init 0
		.amdhsa_user_sgpr_private_segment_size 0
		.amdhsa_uses_dynamic_stack 0
		.amdhsa_system_sgpr_private_segment_wavefront_offset 0
		.amdhsa_system_sgpr_workgroup_id_x 1
		.amdhsa_system_sgpr_workgroup_id_y 1
		.amdhsa_system_sgpr_workgroup_id_z 1
		.amdhsa_system_sgpr_workgroup_info 0
		.amdhsa_system_vgpr_workitem_id 1
		.amdhsa_next_free_vgpr 13
		.amdhsa_next_free_sgpr 20
		.amdhsa_reserve_vcc 1
		.amdhsa_reserve_flat_scratch 0
		.amdhsa_float_round_mode_32 0
		.amdhsa_float_round_mode_16_64 0
		.amdhsa_float_denorm_mode_32 3
		.amdhsa_float_denorm_mode_16_64 3
		.amdhsa_dx10_clamp 1
		.amdhsa_ieee_mode 1
		.amdhsa_fp16_overflow 0
		.amdhsa_exception_fp_ieee_invalid_op 0
		.amdhsa_exception_fp_denorm_src 0
		.amdhsa_exception_fp_ieee_div_zero 0
		.amdhsa_exception_fp_ieee_overflow 0
		.amdhsa_exception_fp_ieee_underflow 0
		.amdhsa_exception_fp_ieee_inexact 0
		.amdhsa_exception_int_div_zero 0
	.end_amdhsa_kernel
	.section	.text._ZN9rocsolver6v33100L21syevj_diag_rotate_orgILb0EddPdEEvbiT2_iilPT0_Pi,"axG",@progbits,_ZN9rocsolver6v33100L21syevj_diag_rotate_orgILb0EddPdEEvbiT2_iilPT0_Pi,comdat
.Lfunc_end49:
	.size	_ZN9rocsolver6v33100L21syevj_diag_rotate_orgILb0EddPdEEvbiT2_iilPT0_Pi, .Lfunc_end49-_ZN9rocsolver6v33100L21syevj_diag_rotate_orgILb0EddPdEEvbiT2_iilPT0_Pi
                                        ; -- End function
	.set _ZN9rocsolver6v33100L21syevj_diag_rotate_orgILb0EddPdEEvbiT2_iilPT0_Pi.num_vgpr, 13
	.set _ZN9rocsolver6v33100L21syevj_diag_rotate_orgILb0EddPdEEvbiT2_iilPT0_Pi.num_agpr, 0
	.set _ZN9rocsolver6v33100L21syevj_diag_rotate_orgILb0EddPdEEvbiT2_iilPT0_Pi.numbered_sgpr, 20
	.set _ZN9rocsolver6v33100L21syevj_diag_rotate_orgILb0EddPdEEvbiT2_iilPT0_Pi.num_named_barrier, 0
	.set _ZN9rocsolver6v33100L21syevj_diag_rotate_orgILb0EddPdEEvbiT2_iilPT0_Pi.private_seg_size, 0
	.set _ZN9rocsolver6v33100L21syevj_diag_rotate_orgILb0EddPdEEvbiT2_iilPT0_Pi.uses_vcc, 1
	.set _ZN9rocsolver6v33100L21syevj_diag_rotate_orgILb0EddPdEEvbiT2_iilPT0_Pi.uses_flat_scratch, 0
	.set _ZN9rocsolver6v33100L21syevj_diag_rotate_orgILb0EddPdEEvbiT2_iilPT0_Pi.has_dyn_sized_stack, 0
	.set _ZN9rocsolver6v33100L21syevj_diag_rotate_orgILb0EddPdEEvbiT2_iilPT0_Pi.has_recursion, 0
	.set _ZN9rocsolver6v33100L21syevj_diag_rotate_orgILb0EddPdEEvbiT2_iilPT0_Pi.has_indirect_call, 0
	.section	.AMDGPU.csdata,"",@progbits
; Kernel info:
; codeLenInByte = 456
; TotalNumSgprs: 24
; NumVgprs: 13
; ScratchSize: 0
; MemoryBound: 0
; FloatMode: 240
; IeeeMode: 1
; LDSByteSize: 0 bytes/workgroup (compile time only)
; SGPRBlocks: 2
; VGPRBlocks: 3
; NumSGPRsForWavesPerEU: 24
; NumVGPRsForWavesPerEU: 13
; Occupancy: 10
; WaveLimiterHint : 0
; COMPUTE_PGM_RSRC2:SCRATCH_EN: 0
; COMPUTE_PGM_RSRC2:USER_SGPR: 6
; COMPUTE_PGM_RSRC2:TRAP_HANDLER: 0
; COMPUTE_PGM_RSRC2:TGID_X_EN: 1
; COMPUTE_PGM_RSRC2:TGID_Y_EN: 1
; COMPUTE_PGM_RSRC2:TGID_Z_EN: 1
; COMPUTE_PGM_RSRC2:TIDIG_COMP_CNT: 1
	.section	.text._ZN9rocsolver6v33100L21syevj_diag_rotate_orgILb1EddPdEEvbiT2_iilPT0_Pi,"axG",@progbits,_ZN9rocsolver6v33100L21syevj_diag_rotate_orgILb1EddPdEEvbiT2_iilPT0_Pi,comdat
	.globl	_ZN9rocsolver6v33100L21syevj_diag_rotate_orgILb1EddPdEEvbiT2_iilPT0_Pi ; -- Begin function _ZN9rocsolver6v33100L21syevj_diag_rotate_orgILb1EddPdEEvbiT2_iilPT0_Pi
	.p2align	8
	.type	_ZN9rocsolver6v33100L21syevj_diag_rotate_orgILb1EddPdEEvbiT2_iilPT0_Pi,@function
_ZN9rocsolver6v33100L21syevj_diag_rotate_orgILb1EddPdEEvbiT2_iilPT0_Pi: ; @_ZN9rocsolver6v33100L21syevj_diag_rotate_orgILb1EddPdEEvbiT2_iilPT0_Pi
; %bb.0:
	s_load_dwordx2 s[2:3], s[4:5], 0x0
	s_load_dwordx2 s[0:1], s[4:5], 0x28
	s_waitcnt lgkmcnt(0)
	s_bitcmp1_b32 s2, 0
	s_cselect_b64 s[10:11], -1, 0
	s_ashr_i32 s9, s8, 31
	s_lshl_b64 s[12:13], s[8:9], 2
	s_add_u32 s0, s0, s12
	s_addc_u32 s1, s1, s13
	s_load_dword s0, s[0:1], 0x4
	s_waitcnt lgkmcnt(0)
	s_cmp_lg_u32 s0, 0
	s_cselect_b64 s[0:1], -1, 0
	s_cmp_eq_u32 s6, s7
	s_cselect_b64 s[12:13], -1, 0
	s_and_b64 s[10:11], s[12:13], s[10:11]
	s_or_b64 s[0:1], s[10:11], s[0:1]
	s_and_b64 vcc, exec, s[0:1]
	s_cbranch_vccnz .LBB50_7
; %bb.1:
	s_load_dword s2, s[4:5], 0x3c
	s_add_u32 s0, s4, 48
	s_addc_u32 s1, s5, 0
	s_waitcnt lgkmcnt(0)
	s_and_b32 s11, s2, 0xffff
	s_mul_i32 s10, s6, s11
	s_mul_i32 s7, s7, s11
	v_add_u32_e32 v6, s10, v0
	v_add_u32_e32 v1, s7, v1
	v_max_i32_e32 v2, v6, v1
	v_cmp_gt_i32_e32 vcc, s3, v2
	s_and_saveexec_b64 s[12:13], vcc
	s_cbranch_execz .LBB50_7
; %bb.2:
	s_load_dwordx8 s[12:19], s[4:5], 0x8
	s_sub_i32 s2, s3, s10
	s_min_i32 s3, s2, s11
	s_waitcnt lgkmcnt(0)
	s_mul_i32 s2, s16, s9
	s_mul_hi_u32 s7, s16, s8
	s_add_i32 s2, s7, s2
	s_mul_i32 s7, s17, s8
	s_add_i32 s17, s2, s7
	s_mul_i32 s16, s16, s8
	s_ashr_i32 s5, s14, 31
	s_lshl_b64 s[16:17], s[16:17], 3
	s_mov_b32 s4, s14
	s_add_u32 s2, s12, s16
	s_addc_u32 s7, s13, s17
	s_lshl_b64 s[4:5], s[4:5], 3
	v_mul_lo_u32 v7, v1, s15
	s_add_u32 s2, s2, s4
	s_addc_u32 s4, s7, s5
	s_cmp_lt_i32 s3, 1
	s_cbranch_scc1 .LBB50_5
; %bb.3:
	s_load_dword s0, s[0:1], 0x0
	v_lshlrev_b32_e32 v0, 3, v0
	v_add_u32_e32 v4, s10, v7
	v_mov_b32_e32 v8, s4
	s_waitcnt lgkmcnt(0)
	s_mul_i32 s0, s0, s8
	s_add_i32 s0, s0, s6
	s_mul_i32 s0, s0, s11
	s_mul_i32 s0, s0, s11
	s_ashr_i32 s1, s0, 31
	s_lshl_b64 s[0:1], s[0:1], 3
	s_add_u32 s0, s18, s0
	s_addc_u32 s1, s19, s1
	v_mov_b32_e32 v1, s1
	v_add_co_u32_e32 v2, vcc, s0, v0
	v_addc_co_u32_e32 v3, vcc, 0, v1, vcc
	v_mov_b32_e32 v0, 0
	s_lshl_b32 s0, s11, 3
	v_mov_b32_e32 v1, 0
.LBB50_4:                               ; =>This Inner Loop Header: Depth=1
	v_ashrrev_i32_e32 v5, 31, v4
	v_lshlrev_b64 v[11:12], 3, v[4:5]
	global_load_dwordx2 v[9:10], v[2:3], off
	v_add_co_u32_e32 v11, vcc, s2, v11
	v_addc_co_u32_e32 v12, vcc, v8, v12, vcc
	global_load_dwordx2 v[11:12], v[11:12], off
	s_add_i32 s3, s3, -1
	v_add_co_u32_e32 v2, vcc, s0, v2
	v_addc_co_u32_e32 v3, vcc, 0, v3, vcc
	s_cmp_lg_u32 s3, 0
	v_add_u32_e32 v4, 1, v4
	s_waitcnt vmcnt(0)
	v_fma_f64 v[0:1], v[9:10], v[11:12], v[0:1]
	s_cbranch_scc1 .LBB50_4
	s_branch .LBB50_6
.LBB50_5:
	v_mov_b32_e32 v0, 0
	v_mov_b32_e32 v1, 0
.LBB50_6:
	v_add_u32_e32 v2, v7, v6
	v_ashrrev_i32_e32 v3, 31, v2
	v_lshlrev_b64 v[2:3], 3, v[2:3]
	v_mov_b32_e32 v4, s4
	v_add_co_u32_e32 v2, vcc, s2, v2
	v_addc_co_u32_e32 v3, vcc, v4, v3, vcc
	s_barrier
	global_store_dwordx2 v[2:3], v[0:1], off
.LBB50_7:
	s_endpgm
	.section	.rodata,"a",@progbits
	.p2align	6, 0x0
	.amdhsa_kernel _ZN9rocsolver6v33100L21syevj_diag_rotate_orgILb1EddPdEEvbiT2_iilPT0_Pi
		.amdhsa_group_segment_fixed_size 0
		.amdhsa_private_segment_fixed_size 0
		.amdhsa_kernarg_size 304
		.amdhsa_user_sgpr_count 6
		.amdhsa_user_sgpr_private_segment_buffer 1
		.amdhsa_user_sgpr_dispatch_ptr 0
		.amdhsa_user_sgpr_queue_ptr 0
		.amdhsa_user_sgpr_kernarg_segment_ptr 1
		.amdhsa_user_sgpr_dispatch_id 0
		.amdhsa_user_sgpr_flat_scratch_init 0
		.amdhsa_user_sgpr_private_segment_size 0
		.amdhsa_uses_dynamic_stack 0
		.amdhsa_system_sgpr_private_segment_wavefront_offset 0
		.amdhsa_system_sgpr_workgroup_id_x 1
		.amdhsa_system_sgpr_workgroup_id_y 1
		.amdhsa_system_sgpr_workgroup_id_z 1
		.amdhsa_system_sgpr_workgroup_info 0
		.amdhsa_system_vgpr_workitem_id 1
		.amdhsa_next_free_vgpr 13
		.amdhsa_next_free_sgpr 20
		.amdhsa_reserve_vcc 1
		.amdhsa_reserve_flat_scratch 0
		.amdhsa_float_round_mode_32 0
		.amdhsa_float_round_mode_16_64 0
		.amdhsa_float_denorm_mode_32 3
		.amdhsa_float_denorm_mode_16_64 3
		.amdhsa_dx10_clamp 1
		.amdhsa_ieee_mode 1
		.amdhsa_fp16_overflow 0
		.amdhsa_exception_fp_ieee_invalid_op 0
		.amdhsa_exception_fp_denorm_src 0
		.amdhsa_exception_fp_ieee_div_zero 0
		.amdhsa_exception_fp_ieee_overflow 0
		.amdhsa_exception_fp_ieee_underflow 0
		.amdhsa_exception_fp_ieee_inexact 0
		.amdhsa_exception_int_div_zero 0
	.end_amdhsa_kernel
	.section	.text._ZN9rocsolver6v33100L21syevj_diag_rotate_orgILb1EddPdEEvbiT2_iilPT0_Pi,"axG",@progbits,_ZN9rocsolver6v33100L21syevj_diag_rotate_orgILb1EddPdEEvbiT2_iilPT0_Pi,comdat
.Lfunc_end50:
	.size	_ZN9rocsolver6v33100L21syevj_diag_rotate_orgILb1EddPdEEvbiT2_iilPT0_Pi, .Lfunc_end50-_ZN9rocsolver6v33100L21syevj_diag_rotate_orgILb1EddPdEEvbiT2_iilPT0_Pi
                                        ; -- End function
	.set _ZN9rocsolver6v33100L21syevj_diag_rotate_orgILb1EddPdEEvbiT2_iilPT0_Pi.num_vgpr, 13
	.set _ZN9rocsolver6v33100L21syevj_diag_rotate_orgILb1EddPdEEvbiT2_iilPT0_Pi.num_agpr, 0
	.set _ZN9rocsolver6v33100L21syevj_diag_rotate_orgILb1EddPdEEvbiT2_iilPT0_Pi.numbered_sgpr, 20
	.set _ZN9rocsolver6v33100L21syevj_diag_rotate_orgILb1EddPdEEvbiT2_iilPT0_Pi.num_named_barrier, 0
	.set _ZN9rocsolver6v33100L21syevj_diag_rotate_orgILb1EddPdEEvbiT2_iilPT0_Pi.private_seg_size, 0
	.set _ZN9rocsolver6v33100L21syevj_diag_rotate_orgILb1EddPdEEvbiT2_iilPT0_Pi.uses_vcc, 1
	.set _ZN9rocsolver6v33100L21syevj_diag_rotate_orgILb1EddPdEEvbiT2_iilPT0_Pi.uses_flat_scratch, 0
	.set _ZN9rocsolver6v33100L21syevj_diag_rotate_orgILb1EddPdEEvbiT2_iilPT0_Pi.has_dyn_sized_stack, 0
	.set _ZN9rocsolver6v33100L21syevj_diag_rotate_orgILb1EddPdEEvbiT2_iilPT0_Pi.has_recursion, 0
	.set _ZN9rocsolver6v33100L21syevj_diag_rotate_orgILb1EddPdEEvbiT2_iilPT0_Pi.has_indirect_call, 0
	.section	.AMDGPU.csdata,"",@progbits
; Kernel info:
; codeLenInByte = 448
; TotalNumSgprs: 24
; NumVgprs: 13
; ScratchSize: 0
; MemoryBound: 0
; FloatMode: 240
; IeeeMode: 1
; LDSByteSize: 0 bytes/workgroup (compile time only)
; SGPRBlocks: 2
; VGPRBlocks: 3
; NumSGPRsForWavesPerEU: 24
; NumVGPRsForWavesPerEU: 13
; Occupancy: 10
; WaveLimiterHint : 0
; COMPUTE_PGM_RSRC2:SCRATCH_EN: 0
; COMPUTE_PGM_RSRC2:USER_SGPR: 6
; COMPUTE_PGM_RSRC2:TRAP_HANDLER: 0
; COMPUTE_PGM_RSRC2:TGID_X_EN: 1
; COMPUTE_PGM_RSRC2:TGID_Y_EN: 1
; COMPUTE_PGM_RSRC2:TGID_Z_EN: 1
; COMPUTE_PGM_RSRC2:TIDIG_COMP_CNT: 1
	.section	.text._ZN9rocsolver6v33100L17syevj_diag_rotateILb0EddPdEEvbiiT2_iilPT0_Pii,"axG",@progbits,_ZN9rocsolver6v33100L17syevj_diag_rotateILb0EddPdEEvbiiT2_iilPT0_Pii,comdat
	.globl	_ZN9rocsolver6v33100L17syevj_diag_rotateILb0EddPdEEvbiiT2_iilPT0_Pii ; -- Begin function _ZN9rocsolver6v33100L17syevj_diag_rotateILb0EddPdEEvbiiT2_iilPT0_Pii
	.p2align	8
	.type	_ZN9rocsolver6v33100L17syevj_diag_rotateILb0EddPdEEvbiiT2_iilPT0_Pii,@function
_ZN9rocsolver6v33100L17syevj_diag_rotateILb0EddPdEEvbiiT2_iilPT0_Pii: ; @_ZN9rocsolver6v33100L17syevj_diag_rotateILb0EddPdEEvbiiT2_iilPT0_Pii
; %bb.0:
	s_load_dwordx4 s[36:39], s[4:5], 0x0
	s_add_u32 flat_scratch_lo, s6, s11
	s_addc_u32 flat_scratch_hi, s7, 0
	s_add_u32 s0, s0, s11
	s_addc_u32 s1, s1, 0
	s_waitcnt lgkmcnt(0)
	s_abs_i32 s27, s37
	v_mov_b32_e32 v42, v0
	v_cvt_f32_u32_e32 v0, s27
	s_mul_i32 s50, s37, s37
	s_mov_b32 s26, s10
	s_mov_b64 s[28:29], s[4:5]
	v_rcp_iflag_f32_e32 v0, v0
	s_mov_b32 s34, s9
	s_mov_b32 s35, s8
	v_mov_b32_e32 v41, v1
	v_mul_f32_e32 v0, 0x4f7ffffe, v0
	v_cvt_u32_f32_e32 v0, v0
	s_cmpk_lt_u32 s50, 0x2001
	s_mov_b64 s[4:5], -1
	s_mov_b32 s32, 0
	v_readfirstlane_b32 s39, v0
	s_cbranch_scc1 .LBB51_2
; %bb.1:
	s_add_u32 s8, s28, 64
	s_addc_u32 s9, s29, 0
	s_getpc_b64 s[4:5]
	s_add_u32 s4, s4, __PRETTY_FUNCTION__._ZN9rocsolver6v33100L17syevj_diag_rotateILb0EddPdEEvbiiT2_iilPT0_Pii@rel32@lo+4
	s_addc_u32 s5, s5, __PRETTY_FUNCTION__._ZN9rocsolver6v33100L17syevj_diag_rotateILb0EddPdEEvbiiT2_iilPT0_Pii@rel32@hi+12
	s_getpc_b64 s[6:7]
	s_add_u32 s6, s6, __assert_fail@rel32@lo+4
	s_addc_u32 s7, s7, __assert_fail@rel32@hi+12
	v_mov_b32_e32 v0, s4
	v_mov_b32_e32 v1, s5
	s_swappc_b64 s[30:31], s[6:7]
	s_mov_b64 s[4:5], 0
	; divergent unreachable
.LBB51_2:
	s_andn2_b64 vcc, exec, s[4:5]
	s_cbranch_vccnz .LBB51_35
; %bb.3:
	s_load_dword s33, s[28:29], 0x38
	s_waitcnt lgkmcnt(0)
	s_cmp_ge_u32 s26, s33
	s_cbranch_scc1 .LBB51_35
; %bb.4:
	s_mov_b64 s[4:5], src_shared_base
	s_sub_i32 s4, 0, s27
	s_mul_i32 s4, s4, s39
	s_add_i32 s6, s38, -1
	s_mul_hi_u32 s4, s39, s4
	s_abs_i32 s7, s6
	s_add_i32 s39, s39, s4
	s_ashr_i32 s6, s6, 31
	s_ashr_i32 s8, s37, 31
	s_load_dwordx4 s[20:23], s[28:29], 0x40
	s_cmpk_lt_u32 s50, 0x1001
	s_mul_hi_u32 s4, s7, s39
	s_cselect_b64 s[24:25], -1, 0
	s_bitcmp1_b32 s36, 0
	s_cselect_b64 s[30:31], -1, 0
	s_xor_b32 s6, s6, s8
	s_mul_i32 s8, s4, s27
	s_sub_i32 s7, s7, s8
	s_waitcnt lgkmcnt(0)
	s_lshr_b32 s36, s23, 16
	s_and_b32 s23, s23, 0xffff
	s_add_i32 s8, s4, 1
	s_sub_i32 s9, s7, s27
	s_cmp_ge_u32 s7, s27
	s_cselect_b32 s4, s8, s4
	s_cselect_b32 s7, s9, s7
	s_add_i32 s8, s4, 1
	s_load_dwordx8 s[12:19], s[28:29], 0x10
	s_load_dwordx2 s[40:41], s[28:29], 0x30
	s_cmp_ge_u32 s7, s27
	s_cselect_b32 s4, s8, s4
	s_xor_b32 s4, s4, s6
	s_sub_i32 s51, s4, s6
	s_lshl_b32 s4, s50, 3
	s_add_i32 s52, s51, 1
	s_add_i32 s53, s4, 0
	s_waitcnt lgkmcnt(0)
	s_ashr_i32 s7, s14, 31
	v_mul_lo_u32 v0, v41, s37
	s_cmp_lt_u32 s35, s52
	s_mul_i32 s4, s51, s37
	s_cselect_b64 s[8:9], -1, 0
	s_sub_i32 s55, s38, s4
	s_mov_b32 s6, s14
	s_cmp_lt_u32 s34, s52
	s_cselect_b64 s[10:11], -1, 0
	s_ashr_i32 s57, s15, 31
	s_lshl_b64 s[6:7], s[6:7], 3
	v_lshlrev_b32_e32 v0, 3, v0
	v_lshlrev_b32_e32 v1, 3, v42
	s_add_u32 s59, s12, s6
	v_add3_u32 v6, v0, v1, 0
	s_mul_i32 s6, s37, s36
	v_cndmask_b32_e64 v0, 0, 1, s[8:9]
	v_mad_u32_u24 v4, v41, s23, v42
	s_mul_i32 s56, s36, s23
	s_addc_u32 s60, s13, s7
	s_lshl_b32 s62, s6, 3
	v_cmp_ne_u32_e64 s[6:7], 1, v0
	v_cndmask_b32_e64 v0, 0, 1, s[24:25]
	v_cndmask_b32_e64 v2, 0, 1, s[10:11]
	s_mov_b32 s29, 0
	s_mov_b32 s54, s5
	v_cmp_gt_u32_e64 s[4:5], s50, v4
	s_mov_b32 s58, s15
	v_lshl_add_u32 v5, v4, 3, s53
	s_lshl_b32 s61, s56, 3
	s_lshl_b32 s63, s23, 3
	s_mul_i32 s64, s34, s37
	s_mul_i32 s65, s21, s37
	v_add_u32_e32 v7, 0, v1
	s_lshl_b32 s66, s37, 3
	v_mov_b32_e32 v1, 0
	v_cmp_ne_u32_e64 s[8:9], 1, v0
	v_cmp_ne_u32_e64 s[10:11], 1, v2
	s_branch .LBB51_6
.LBB51_5:                               ;   in Loop: Header=BB51_6 Depth=1
	s_add_i32 s26, s26, s22
	s_cmp_lt_u32 s26, s33
	s_cbranch_scc0 .LBB51_35
.LBB51_6:                               ; =>This Loop Header: Depth=1
                                        ;     Child Loop BB51_10 Depth 2
                                        ;       Child Loop BB51_13 Depth 3
                                        ;       Child Loop BB51_19 Depth 3
                                        ;         Child Loop BB51_23 Depth 4
                                        ;           Child Loop BB51_25 Depth 5
                                        ;         Child Loop BB51_29 Depth 4
                                        ;           Child Loop BB51_32 Depth 5
                                        ;             Child Loop BB51_34 Depth 6
	s_mov_b32 s27, s29
	s_lshl_b64 s[12:13], s[26:27], 2
	s_add_u32 s12, s40, s12
	s_addc_u32 s13, s41, s13
	global_load_dword v0, v1, s[12:13] offset:4
	s_waitcnt vmcnt(0)
	v_cmp_ne_u32_e32 vcc, 0, v0
	s_cbranch_vccnz .LBB51_5
; %bb.7:                                ;   in Loop: Header=BB51_6 Depth=1
	s_and_b64 vcc, exec, s[6:7]
	s_cbranch_vccnz .LBB51_5
; %bb.8:                                ;   in Loop: Header=BB51_6 Depth=1
	s_mul_i32 s12, s17, s26
	s_mul_hi_u32 s13, s16, s26
	s_add_i32 s13, s13, s12
	s_mul_i32 s12, s16, s26
	s_lshl_b64 s[12:13], s[12:13], 3
	s_add_u32 s27, s59, s12
	s_addc_u32 s67, s60, s13
	s_mul_i32 s68, s26, s52
	s_mov_b32 s69, s35
	s_branch .LBB51_10
.LBB51_9:                               ;   in Loop: Header=BB51_10 Depth=2
	s_add_i32 s69, s69, s20
	s_cmp_ge_u32 s69, s52
	s_cbranch_scc1 .LBB51_5
.LBB51_10:                              ;   Parent Loop BB51_6 Depth=1
                                        ; =>  This Loop Header: Depth=2
                                        ;       Child Loop BB51_13 Depth 3
                                        ;       Child Loop BB51_19 Depth 3
                                        ;         Child Loop BB51_23 Depth 4
                                        ;           Child Loop BB51_25 Depth 5
                                        ;         Child Loop BB51_29 Depth 4
                                        ;           Child Loop BB51_32 Depth 5
                                        ;             Child Loop BB51_34 Depth 6
	s_add_i32 s12, s69, s68
	s_mul_i32 s28, s12, s50
	s_lshl_b64 s[12:13], s[28:29], 3
	s_add_u32 s38, s18, s12
	s_addc_u32 s28, s19, s13
	s_and_b64 vcc, exec, s[8:9]
	s_cbranch_vccnz .LBB51_15
; %bb.11:                               ;   in Loop: Header=BB51_10 Depth=2
	s_barrier
	s_and_saveexec_b64 s[12:13], s[4:5]
	s_cbranch_execz .LBB51_14
; %bb.12:                               ;   in Loop: Header=BB51_10 Depth=2
	s_mov_b64 s[14:15], 0
	v_mov_b32_e32 v2, s28
	v_mov_b32_e32 v3, v5
	;; [unrolled: 1-line block ×3, first 2 shown]
.LBB51_13:                              ;   Parent Loop BB51_6 Depth=1
                                        ;     Parent Loop BB51_10 Depth=2
                                        ; =>    This Inner Loop Header: Depth=3
	v_lshlrev_b64 v[8:9], 3, v[0:1]
	v_add_u32_e32 v0, s56, v0
	v_add_co_u32_e32 v8, vcc, s38, v8
	v_addc_co_u32_e32 v9, vcc, v2, v9, vcc
	global_load_dwordx2 v[8:9], v[8:9], off
	v_cmp_le_u32_e32 vcc, s50, v0
	s_or_b64 s[14:15], vcc, s[14:15]
	s_waitcnt vmcnt(0)
	ds_write_b64 v3, v[8:9]
	v_add_u32_e32 v3, s61, v3
	s_andn2_b64 exec, exec, s[14:15]
	s_cbranch_execnz .LBB51_13
.LBB51_14:                              ;   in Loop: Header=BB51_10 Depth=2
	s_or_b64 exec, exec, s[12:13]
	s_waitcnt lgkmcnt(0)
	s_barrier
.LBB51_15:                              ;   in Loop: Header=BB51_10 Depth=2
	s_and_b64 vcc, exec, s[10:11]
	s_cbranch_vccnz .LBB51_9
; %bb.16:                               ;   in Loop: Header=BB51_10 Depth=2
	s_and_b64 s[12:13], s[24:25], exec
	s_cselect_b32 s28, s54, s28
	s_cselect_b32 s70, s53, s38
	s_cmp_eq_u32 s69, s51
	s_cselect_b32 s71, s55, s37
	s_cmp_gt_i32 s71, 0
	s_mul_i32 s72, s69, s37
	v_cmp_gt_u32_e64 s[12:13], s71, v41
	s_cselect_b64 s[38:39], -1, 0
	s_mov_b32 s73, s64
	s_mov_b32 s74, s34
	s_branch .LBB51_19
.LBB51_17:                              ;   in Loop: Header=BB51_19 Depth=3
	s_or_b64 exec, exec, s[42:43]
	s_waitcnt vmcnt(0)
	s_barrier
.LBB51_18:                              ;   in Loop: Header=BB51_19 Depth=3
	s_add_i32 s74, s74, s21
	s_add_i32 s73, s73, s65
	s_cmp_ge_u32 s74, s52
	s_cbranch_scc1 .LBB51_9
.LBB51_19:                              ;   Parent Loop BB51_6 Depth=1
                                        ;     Parent Loop BB51_10 Depth=2
                                        ; =>    This Loop Header: Depth=3
                                        ;         Child Loop BB51_23 Depth 4
                                        ;           Child Loop BB51_25 Depth 5
                                        ;         Child Loop BB51_29 Depth 4
                                        ;           Child Loop BB51_32 Depth 5
                                        ;             Child Loop BB51_34 Depth 6
	s_cmp_eq_u32 s69, s74
	s_cselect_b64 s[14:15], -1, 0
	s_and_b64 s[14:15], s[30:31], s[14:15]
	s_and_b64 vcc, exec, s[14:15]
	s_cbranch_vccnz .LBB51_18
; %bb.20:                               ;   in Loop: Header=BB51_19 Depth=3
	s_cmp_eq_u32 s74, s51
	s_cselect_b32 s75, s55, s37
	s_barrier
	s_and_saveexec_b64 s[42:43], s[12:13]
	s_cbranch_execz .LBB51_26
; %bb.21:                               ;   in Loop: Header=BB51_19 Depth=3
	v_cmp_gt_u32_e32 vcc, s75, v42
	s_mov_b64 s[44:45], 0
	v_mov_b32_e32 v2, v6
	v_mov_b32_e32 v3, v41
	s_branch .LBB51_23
.LBB51_22:                              ;   in Loop: Header=BB51_23 Depth=4
	s_or_b64 exec, exec, s[46:47]
	v_add_u32_e32 v3, s36, v3
	v_cmp_le_u32_e64 s[14:15], s71, v3
	s_or_b64 s[44:45], s[14:15], s[44:45]
	v_add_u32_e32 v2, s62, v2
	s_andn2_b64 exec, exec, s[44:45]
	s_cbranch_execz .LBB51_26
.LBB51_23:                              ;   Parent Loop BB51_6 Depth=1
                                        ;     Parent Loop BB51_10 Depth=2
                                        ;       Parent Loop BB51_19 Depth=3
                                        ; =>      This Loop Header: Depth=4
                                        ;           Child Loop BB51_25 Depth 5
	s_and_saveexec_b64 s[46:47], vcc
	s_cbranch_execz .LBB51_22
; %bb.24:                               ;   in Loop: Header=BB51_23 Depth=4
	v_add_u32_e32 v10, s72, v3
	v_mad_u64_u32 v[8:9], s[14:15], v10, s58, 0
	s_mov_b64 s[48:49], 0
	v_mov_b32_e32 v11, v42
	v_mov_b32_e32 v0, v9
	v_mad_u64_u32 v[9:10], s[14:15], v10, s57, v[0:1]
	v_mov_b32_e32 v0, s67
	v_mov_b32_e32 v10, v2
	v_lshlrev_b64 v[8:9], 3, v[8:9]
	v_add_co_u32_e64 v8, s[14:15], s27, v8
	v_addc_co_u32_e64 v9, s[14:15], v0, v9, s[14:15]
.LBB51_25:                              ;   Parent Loop BB51_6 Depth=1
                                        ;     Parent Loop BB51_10 Depth=2
                                        ;       Parent Loop BB51_19 Depth=3
                                        ;         Parent Loop BB51_23 Depth=4
                                        ; =>        This Inner Loop Header: Depth=5
	v_add_u32_e32 v0, s73, v11
	v_lshlrev_b64 v[12:13], 3, v[0:1]
	v_add_u32_e32 v11, s23, v11
	v_add_co_u32_e64 v12, s[14:15], v8, v12
	v_addc_co_u32_e64 v13, s[14:15], v9, v13, s[14:15]
	global_load_dwordx2 v[12:13], v[12:13], off
	v_cmp_le_u32_e64 s[14:15], s75, v11
	s_or_b64 s[48:49], s[14:15], s[48:49]
	s_waitcnt vmcnt(0)
	ds_write_b64 v10, v[12:13]
	v_add_u32_e32 v10, s63, v10
	s_andn2_b64 exec, exec, s[48:49]
	s_cbranch_execnz .LBB51_25
	s_branch .LBB51_22
.LBB51_26:                              ;   in Loop: Header=BB51_19 Depth=3
	s_or_b64 exec, exec, s[42:43]
	s_waitcnt lgkmcnt(0)
	s_barrier
	s_and_saveexec_b64 s[42:43], s[12:13]
	s_cbranch_execz .LBB51_17
; %bb.27:                               ;   in Loop: Header=BB51_19 Depth=3
	s_mul_i32 s76, s74, s37
	v_cmp_gt_u32_e64 s[14:15], s75, v42
	s_mov_b64 s[44:45], 0
	v_mov_b32_e32 v8, v41
	s_branch .LBB51_29
.LBB51_28:                              ;   in Loop: Header=BB51_29 Depth=4
	s_or_b64 exec, exec, s[46:47]
	v_add_u32_e32 v8, s36, v8
	v_cmp_le_u32_e32 vcc, s71, v8
	s_or_b64 s[44:45], vcc, s[44:45]
	s_andn2_b64 exec, exec, s[44:45]
	s_cbranch_execz .LBB51_17
.LBB51_29:                              ;   Parent Loop BB51_6 Depth=1
                                        ;     Parent Loop BB51_10 Depth=2
                                        ;       Parent Loop BB51_19 Depth=3
                                        ; =>      This Loop Header: Depth=4
                                        ;           Child Loop BB51_32 Depth 5
                                        ;             Child Loop BB51_34 Depth 6
	s_and_saveexec_b64 s[46:47], s[14:15]
	s_cbranch_execz .LBB51_28
; %bb.30:                               ;   in Loop: Header=BB51_29 Depth=4
	v_add_u32_e32 v9, s72, v8
	v_mad_u64_u32 v[2:3], s[48:49], v9, s58, 0
	v_mov_b32_e32 v11, v7
	v_mov_b32_e32 v12, v42
	;; [unrolled: 1-line block ×3, first 2 shown]
	v_mad_u64_u32 v[9:10], s[48:49], v9, s57, v[0:1]
	v_mov_b32_e32 v0, s67
	s_mov_b64 s[48:49], 0
	v_mov_b32_e32 v3, v9
	v_lshlrev_b64 v[2:3], 3, v[2:3]
	v_add_co_u32_e32 v9, vcc, s27, v2
	v_addc_co_u32_e32 v10, vcc, v0, v3, vcc
	s_branch .LBB51_32
.LBB51_31:                              ;   in Loop: Header=BB51_32 Depth=5
	v_add_u32_e32 v0, s76, v12
	v_lshlrev_b64 v[13:14], 3, v[0:1]
	v_add_u32_e32 v12, s23, v12
	v_add_co_u32_e32 v13, vcc, v9, v13
	v_addc_co_u32_e32 v14, vcc, v10, v14, vcc
	v_cmp_le_u32_e32 vcc, s75, v12
	s_or_b64 s[48:49], vcc, s[48:49]
	v_add_u32_e32 v11, s63, v11
	global_store_dwordx2 v[13:14], v[2:3], off
	s_andn2_b64 exec, exec, s[48:49]
	s_cbranch_execz .LBB51_28
.LBB51_32:                              ;   Parent Loop BB51_6 Depth=1
                                        ;     Parent Loop BB51_10 Depth=2
                                        ;       Parent Loop BB51_19 Depth=3
                                        ;         Parent Loop BB51_29 Depth=4
                                        ; =>        This Loop Header: Depth=5
                                        ;             Child Loop BB51_34 Depth 6
	v_mov_b32_e32 v2, 0
	v_mov_b32_e32 v3, 0
	s_andn2_b64 vcc, exec, s[38:39]
	s_cbranch_vccnz .LBB51_31
; %bb.33:                               ;   in Loop: Header=BB51_32 Depth=5
	v_mov_b32_e32 v0, v8
	v_mov_b32_e32 v13, v11
	s_mov_b32 s77, s71
.LBB51_34:                              ;   Parent Loop BB51_6 Depth=1
                                        ;     Parent Loop BB51_10 Depth=2
                                        ;       Parent Loop BB51_19 Depth=3
                                        ;         Parent Loop BB51_29 Depth=4
                                        ;           Parent Loop BB51_32 Depth=5
                                        ; =>          This Inner Loop Header: Depth=6
	v_lshlrev_b64 v[14:15], 3, v[0:1]
	v_mov_b32_e32 v16, s28
	v_add_co_u32_e32 v14, vcc, s70, v14
	v_addc_co_u32_e32 v15, vcc, v16, v15, vcc
	flat_load_dwordx2 v[14:15], v[14:15]
	ds_read_b64 v[16:17], v13
	s_add_i32 s77, s77, -1
	v_add_u32_e32 v13, s66, v13
	s_cmp_eq_u32 s77, 0
	v_add_u32_e32 v0, s37, v0
	s_waitcnt vmcnt(0) lgkmcnt(0)
	v_fma_f64 v[2:3], v[16:17], v[14:15], v[2:3]
	s_cbranch_scc0 .LBB51_34
	s_branch .LBB51_31
.LBB51_35:
	s_endpgm
	.section	.rodata,"a",@progbits
	.p2align	6, 0x0
	.amdhsa_kernel _ZN9rocsolver6v33100L17syevj_diag_rotateILb0EddPdEEvbiiT2_iilPT0_Pii
		.amdhsa_group_segment_fixed_size 0
		.amdhsa_private_segment_fixed_size 64
		.amdhsa_kernarg_size 320
		.amdhsa_user_sgpr_count 8
		.amdhsa_user_sgpr_private_segment_buffer 1
		.amdhsa_user_sgpr_dispatch_ptr 0
		.amdhsa_user_sgpr_queue_ptr 0
		.amdhsa_user_sgpr_kernarg_segment_ptr 1
		.amdhsa_user_sgpr_dispatch_id 0
		.amdhsa_user_sgpr_flat_scratch_init 1
		.amdhsa_user_sgpr_private_segment_size 0
		.amdhsa_uses_dynamic_stack 0
		.amdhsa_system_sgpr_private_segment_wavefront_offset 1
		.amdhsa_system_sgpr_workgroup_id_x 1
		.amdhsa_system_sgpr_workgroup_id_y 1
		.amdhsa_system_sgpr_workgroup_id_z 1
		.amdhsa_system_sgpr_workgroup_info 0
		.amdhsa_system_vgpr_workitem_id 1
		.amdhsa_next_free_vgpr 43
		.amdhsa_next_free_sgpr 78
		.amdhsa_reserve_vcc 1
		.amdhsa_reserve_flat_scratch 1
		.amdhsa_float_round_mode_32 0
		.amdhsa_float_round_mode_16_64 0
		.amdhsa_float_denorm_mode_32 3
		.amdhsa_float_denorm_mode_16_64 3
		.amdhsa_dx10_clamp 1
		.amdhsa_ieee_mode 1
		.amdhsa_fp16_overflow 0
		.amdhsa_exception_fp_ieee_invalid_op 0
		.amdhsa_exception_fp_denorm_src 0
		.amdhsa_exception_fp_ieee_div_zero 0
		.amdhsa_exception_fp_ieee_overflow 0
		.amdhsa_exception_fp_ieee_underflow 0
		.amdhsa_exception_fp_ieee_inexact 0
		.amdhsa_exception_int_div_zero 0
	.end_amdhsa_kernel
	.section	.text._ZN9rocsolver6v33100L17syevj_diag_rotateILb0EddPdEEvbiiT2_iilPT0_Pii,"axG",@progbits,_ZN9rocsolver6v33100L17syevj_diag_rotateILb0EddPdEEvbiiT2_iilPT0_Pii,comdat
.Lfunc_end51:
	.size	_ZN9rocsolver6v33100L17syevj_diag_rotateILb0EddPdEEvbiiT2_iilPT0_Pii, .Lfunc_end51-_ZN9rocsolver6v33100L17syevj_diag_rotateILb0EddPdEEvbiiT2_iilPT0_Pii
                                        ; -- End function
	.set _ZN9rocsolver6v33100L17syevj_diag_rotateILb0EddPdEEvbiiT2_iilPT0_Pii.num_vgpr, max(43, .L__assert_fail.num_vgpr)
	.set _ZN9rocsolver6v33100L17syevj_diag_rotateILb0EddPdEEvbiiT2_iilPT0_Pii.num_agpr, max(0, .L__assert_fail.num_agpr)
	.set _ZN9rocsolver6v33100L17syevj_diag_rotateILb0EddPdEEvbiiT2_iilPT0_Pii.numbered_sgpr, max(78, .L__assert_fail.numbered_sgpr)
	.set _ZN9rocsolver6v33100L17syevj_diag_rotateILb0EddPdEEvbiiT2_iilPT0_Pii.num_named_barrier, max(0, .L__assert_fail.num_named_barrier)
	.set _ZN9rocsolver6v33100L17syevj_diag_rotateILb0EddPdEEvbiiT2_iilPT0_Pii.private_seg_size, 0+max(.L__assert_fail.private_seg_size)
	.set _ZN9rocsolver6v33100L17syevj_diag_rotateILb0EddPdEEvbiiT2_iilPT0_Pii.uses_vcc, or(1, .L__assert_fail.uses_vcc)
	.set _ZN9rocsolver6v33100L17syevj_diag_rotateILb0EddPdEEvbiiT2_iilPT0_Pii.uses_flat_scratch, or(1, .L__assert_fail.uses_flat_scratch)
	.set _ZN9rocsolver6v33100L17syevj_diag_rotateILb0EddPdEEvbiiT2_iilPT0_Pii.has_dyn_sized_stack, or(0, .L__assert_fail.has_dyn_sized_stack)
	.set _ZN9rocsolver6v33100L17syevj_diag_rotateILb0EddPdEEvbiiT2_iilPT0_Pii.has_recursion, or(0, .L__assert_fail.has_recursion)
	.set _ZN9rocsolver6v33100L17syevj_diag_rotateILb0EddPdEEvbiiT2_iilPT0_Pii.has_indirect_call, or(0, .L__assert_fail.has_indirect_call)
	.section	.AMDGPU.csdata,"",@progbits
; Kernel info:
; codeLenInByte = 1420
; TotalNumSgprs: 84
; NumVgprs: 43
; ScratchSize: 64
; MemoryBound: 0
; FloatMode: 240
; IeeeMode: 1
; LDSByteSize: 0 bytes/workgroup (compile time only)
; SGPRBlocks: 10
; VGPRBlocks: 10
; NumSGPRsForWavesPerEU: 84
; NumVGPRsForWavesPerEU: 43
; Occupancy: 5
; WaveLimiterHint : 1
; COMPUTE_PGM_RSRC2:SCRATCH_EN: 1
; COMPUTE_PGM_RSRC2:USER_SGPR: 8
; COMPUTE_PGM_RSRC2:TRAP_HANDLER: 0
; COMPUTE_PGM_RSRC2:TGID_X_EN: 1
; COMPUTE_PGM_RSRC2:TGID_Y_EN: 1
; COMPUTE_PGM_RSRC2:TGID_Z_EN: 1
; COMPUTE_PGM_RSRC2:TIDIG_COMP_CNT: 1
	.section	.text._ZN9rocsolver6v33100L17syevj_diag_rotateILb1EddPdEEvbiiT2_iilPT0_Pii,"axG",@progbits,_ZN9rocsolver6v33100L17syevj_diag_rotateILb1EddPdEEvbiiT2_iilPT0_Pii,comdat
	.globl	_ZN9rocsolver6v33100L17syevj_diag_rotateILb1EddPdEEvbiiT2_iilPT0_Pii ; -- Begin function _ZN9rocsolver6v33100L17syevj_diag_rotateILb1EddPdEEvbiiT2_iilPT0_Pii
	.p2align	8
	.type	_ZN9rocsolver6v33100L17syevj_diag_rotateILb1EddPdEEvbiiT2_iilPT0_Pii,@function
_ZN9rocsolver6v33100L17syevj_diag_rotateILb1EddPdEEvbiiT2_iilPT0_Pii: ; @_ZN9rocsolver6v33100L17syevj_diag_rotateILb1EddPdEEvbiiT2_iilPT0_Pii
; %bb.0:
	s_load_dwordx4 s[36:39], s[4:5], 0x0
	s_add_u32 flat_scratch_lo, s6, s11
	s_addc_u32 flat_scratch_hi, s7, 0
	s_add_u32 s0, s0, s11
	s_addc_u32 s1, s1, 0
	s_waitcnt lgkmcnt(0)
	s_abs_i32 s27, s37
	v_mov_b32_e32 v42, v0
	v_cvt_f32_u32_e32 v0, s27
	s_mul_i32 s50, s37, s37
	s_mov_b32 s26, s10
	s_mov_b64 s[28:29], s[4:5]
	v_rcp_iflag_f32_e32 v0, v0
	s_mov_b32 s34, s9
	s_mov_b32 s35, s8
	v_mov_b32_e32 v41, v1
	v_mul_f32_e32 v0, 0x4f7ffffe, v0
	v_cvt_u32_f32_e32 v0, v0
	s_cmpk_lt_u32 s50, 0x2001
	s_mov_b64 s[4:5], -1
	s_mov_b32 s32, 0
	v_readfirstlane_b32 s39, v0
	s_cbranch_scc1 .LBB52_2
; %bb.1:
	s_add_u32 s8, s28, 64
	s_addc_u32 s9, s29, 0
	s_getpc_b64 s[4:5]
	s_add_u32 s4, s4, __PRETTY_FUNCTION__._ZN9rocsolver6v33100L17syevj_diag_rotateILb1EddPdEEvbiiT2_iilPT0_Pii@rel32@lo+4
	s_addc_u32 s5, s5, __PRETTY_FUNCTION__._ZN9rocsolver6v33100L17syevj_diag_rotateILb1EddPdEEvbiiT2_iilPT0_Pii@rel32@hi+12
	s_getpc_b64 s[6:7]
	s_add_u32 s6, s6, __assert_fail@rel32@lo+4
	s_addc_u32 s7, s7, __assert_fail@rel32@hi+12
	v_mov_b32_e32 v0, s4
	v_mov_b32_e32 v1, s5
	s_swappc_b64 s[30:31], s[6:7]
	s_mov_b64 s[4:5], 0
	; divergent unreachable
.LBB52_2:
	s_andn2_b64 vcc, exec, s[4:5]
	s_cbranch_vccnz .LBB52_35
; %bb.3:
	s_load_dword s33, s[28:29], 0x38
	s_waitcnt lgkmcnt(0)
	s_cmp_ge_u32 s26, s33
	s_cbranch_scc1 .LBB52_35
; %bb.4:
	s_mov_b64 s[4:5], src_shared_base
	s_sub_i32 s4, 0, s27
	s_mul_i32 s4, s4, s39
	s_add_i32 s6, s38, -1
	s_mul_hi_u32 s4, s39, s4
	s_abs_i32 s7, s6
	s_add_i32 s39, s39, s4
	s_ashr_i32 s6, s6, 31
	s_ashr_i32 s8, s37, 31
	s_load_dwordx4 s[20:23], s[28:29], 0x40
	s_cmpk_lt_u32 s50, 0x1001
	s_mul_hi_u32 s4, s7, s39
	s_cselect_b64 s[24:25], -1, 0
	s_bitcmp1_b32 s36, 0
	s_cselect_b64 s[30:31], -1, 0
	s_xor_b32 s6, s6, s8
	s_mul_i32 s8, s4, s27
	s_sub_i32 s7, s7, s8
	s_waitcnt lgkmcnt(0)
	s_lshr_b32 s36, s23, 16
	s_and_b32 s23, s23, 0xffff
	s_add_i32 s8, s4, 1
	s_sub_i32 s9, s7, s27
	s_cmp_ge_u32 s7, s27
	s_cselect_b32 s4, s8, s4
	s_cselect_b32 s7, s9, s7
	s_add_i32 s8, s4, 1
	s_load_dwordx8 s[12:19], s[28:29], 0x10
	s_load_dwordx2 s[40:41], s[28:29], 0x30
	s_cmp_ge_u32 s7, s27
	s_cselect_b32 s4, s8, s4
	s_xor_b32 s4, s4, s6
	s_sub_i32 s51, s4, s6
	s_lshl_b32 s4, s50, 3
	s_add_i32 s52, s51, 1
	s_add_i32 s53, s4, 0
	s_waitcnt lgkmcnt(0)
	s_ashr_i32 s7, s14, 31
	v_mul_lo_u32 v0, v41, s37
	s_cmp_lt_u32 s35, s52
	s_mul_i32 s4, s51, s37
	s_cselect_b64 s[8:9], -1, 0
	s_sub_i32 s55, s38, s4
	s_mov_b32 s6, s14
	s_cmp_lt_u32 s34, s52
	s_cselect_b64 s[10:11], -1, 0
	s_ashr_i32 s57, s15, 31
	s_lshl_b64 s[6:7], s[6:7], 3
	v_lshlrev_b32_e32 v0, 3, v0
	v_lshlrev_b32_e32 v1, 3, v42
	s_add_u32 s59, s12, s6
	v_add3_u32 v6, v0, v1, 0
	s_mul_i32 s6, s37, s36
	v_add_u32_e32 v7, 0, v0
	v_cndmask_b32_e64 v0, 0, 1, s[8:9]
	v_mad_u32_u24 v4, v41, s23, v42
	s_mul_i32 s56, s36, s23
	s_addc_u32 s60, s13, s7
	s_lshl_b32 s62, s6, 3
	v_cmp_ne_u32_e64 s[6:7], 1, v0
	v_cndmask_b32_e64 v0, 0, 1, s[24:25]
	v_cndmask_b32_e64 v2, 0, 1, s[10:11]
	s_mov_b32 s29, 0
	s_mov_b32 s54, s5
	v_cmp_gt_u32_e64 s[4:5], s50, v4
	s_mov_b32 s58, s15
	v_lshl_add_u32 v5, v4, 3, s53
	s_lshl_b32 s61, s56, 3
	s_lshl_b32 s63, s23, 3
	s_mul_i32 s64, s35, s37
	s_mul_i32 s65, s20, s37
	v_mov_b32_e32 v1, 0
	v_cmp_ne_u32_e64 s[8:9], 1, v0
	v_cmp_ne_u32_e64 s[10:11], 1, v2
	s_branch .LBB52_6
.LBB52_5:                               ;   in Loop: Header=BB52_6 Depth=1
	s_add_i32 s26, s26, s22
	s_cmp_lt_u32 s26, s33
	s_cbranch_scc0 .LBB52_35
.LBB52_6:                               ; =>This Loop Header: Depth=1
                                        ;     Child Loop BB52_10 Depth 2
                                        ;       Child Loop BB52_13 Depth 3
                                        ;       Child Loop BB52_19 Depth 3
                                        ;         Child Loop BB52_23 Depth 4
                                        ;           Child Loop BB52_25 Depth 5
                                        ;         Child Loop BB52_29 Depth 4
                                        ;           Child Loop BB52_32 Depth 5
                                        ;             Child Loop BB52_34 Depth 6
	s_mov_b32 s27, s29
	s_lshl_b64 s[12:13], s[26:27], 2
	s_add_u32 s12, s40, s12
	s_addc_u32 s13, s41, s13
	global_load_dword v0, v1, s[12:13] offset:4
	s_waitcnt vmcnt(0)
	v_cmp_ne_u32_e32 vcc, 0, v0
	s_cbranch_vccnz .LBB52_5
; %bb.7:                                ;   in Loop: Header=BB52_6 Depth=1
	s_and_b64 vcc, exec, s[6:7]
	s_cbranch_vccnz .LBB52_5
; %bb.8:                                ;   in Loop: Header=BB52_6 Depth=1
	s_mul_i32 s12, s17, s26
	s_mul_hi_u32 s13, s16, s26
	s_add_i32 s13, s13, s12
	s_mul_i32 s12, s16, s26
	s_lshl_b64 s[12:13], s[12:13], 3
	s_add_u32 s27, s59, s12
	s_addc_u32 s66, s60, s13
	s_mul_i32 s67, s26, s52
	s_mov_b32 s68, s64
	s_mov_b32 s69, s35
	s_branch .LBB52_10
.LBB52_9:                               ;   in Loop: Header=BB52_10 Depth=2
	s_add_i32 s69, s69, s20
	s_add_i32 s68, s68, s65
	s_cmp_ge_u32 s69, s52
	s_cbranch_scc1 .LBB52_5
.LBB52_10:                              ;   Parent Loop BB52_6 Depth=1
                                        ; =>  This Loop Header: Depth=2
                                        ;       Child Loop BB52_13 Depth 3
                                        ;       Child Loop BB52_19 Depth 3
                                        ;         Child Loop BB52_23 Depth 4
                                        ;           Child Loop BB52_25 Depth 5
                                        ;         Child Loop BB52_29 Depth 4
                                        ;           Child Loop BB52_32 Depth 5
                                        ;             Child Loop BB52_34 Depth 6
	s_add_i32 s12, s69, s67
	s_mul_i32 s28, s12, s50
	s_lshl_b64 s[12:13], s[28:29], 3
	s_add_u32 s38, s18, s12
	s_addc_u32 s28, s19, s13
	s_and_b64 vcc, exec, s[8:9]
	s_cbranch_vccnz .LBB52_15
; %bb.11:                               ;   in Loop: Header=BB52_10 Depth=2
	s_barrier
	s_and_saveexec_b64 s[12:13], s[4:5]
	s_cbranch_execz .LBB52_14
; %bb.12:                               ;   in Loop: Header=BB52_10 Depth=2
	s_mov_b64 s[14:15], 0
	v_mov_b32_e32 v2, s28
	v_mov_b32_e32 v3, v5
	;; [unrolled: 1-line block ×3, first 2 shown]
.LBB52_13:                              ;   Parent Loop BB52_6 Depth=1
                                        ;     Parent Loop BB52_10 Depth=2
                                        ; =>    This Inner Loop Header: Depth=3
	v_lshlrev_b64 v[8:9], 3, v[0:1]
	v_add_u32_e32 v0, s56, v0
	v_add_co_u32_e32 v8, vcc, s38, v8
	v_addc_co_u32_e32 v9, vcc, v2, v9, vcc
	global_load_dwordx2 v[8:9], v[8:9], off
	v_cmp_le_u32_e32 vcc, s50, v0
	s_or_b64 s[14:15], vcc, s[14:15]
	s_waitcnt vmcnt(0)
	ds_write_b64 v3, v[8:9]
	v_add_u32_e32 v3, s61, v3
	s_andn2_b64 exec, exec, s[14:15]
	s_cbranch_execnz .LBB52_13
.LBB52_14:                              ;   in Loop: Header=BB52_10 Depth=2
	s_or_b64 exec, exec, s[12:13]
	s_waitcnt lgkmcnt(0)
	s_barrier
.LBB52_15:                              ;   in Loop: Header=BB52_10 Depth=2
	s_and_b64 vcc, exec, s[10:11]
	s_cbranch_vccnz .LBB52_9
; %bb.16:                               ;   in Loop: Header=BB52_10 Depth=2
	s_and_b64 s[12:13], s[24:25], exec
	s_cselect_b32 s28, s54, s28
	s_cselect_b32 s70, s53, s38
	s_cmp_eq_u32 s69, s51
	s_cselect_b32 s71, s55, s37
	s_cmp_gt_i32 s71, 0
	s_mul_i32 s72, s69, s37
	v_cmp_gt_u32_e64 s[12:13], s71, v42
	s_cselect_b64 s[38:39], -1, 0
	s_mov_b32 s73, s34
	s_branch .LBB52_19
.LBB52_17:                              ;   in Loop: Header=BB52_19 Depth=3
	s_or_b64 exec, exec, s[14:15]
	s_waitcnt vmcnt(0)
	s_barrier
.LBB52_18:                              ;   in Loop: Header=BB52_19 Depth=3
	s_add_i32 s73, s73, s21
	s_cmp_ge_u32 s73, s52
	s_cbranch_scc1 .LBB52_9
.LBB52_19:                              ;   Parent Loop BB52_6 Depth=1
                                        ;     Parent Loop BB52_10 Depth=2
                                        ; =>    This Loop Header: Depth=3
                                        ;         Child Loop BB52_23 Depth 4
                                        ;           Child Loop BB52_25 Depth 5
                                        ;         Child Loop BB52_29 Depth 4
                                        ;           Child Loop BB52_32 Depth 5
                                        ;             Child Loop BB52_34 Depth 6
	s_cmp_eq_u32 s69, s73
	s_cselect_b64 s[14:15], -1, 0
	s_and_b64 s[14:15], s[30:31], s[14:15]
	s_and_b64 vcc, exec, s[14:15]
	s_cbranch_vccnz .LBB52_18
; %bb.20:                               ;   in Loop: Header=BB52_19 Depth=3
	s_cmp_eq_u32 s73, s51
	s_cselect_b32 s75, s55, s37
	s_mul_i32 s74, s73, s37
	v_cmp_gt_u32_e32 vcc, s75, v41
	s_barrier
	s_and_saveexec_b64 s[42:43], vcc
	s_cbranch_execz .LBB52_26
; %bb.21:                               ;   in Loop: Header=BB52_19 Depth=3
	s_mov_b64 s[44:45], 0
	v_mov_b32_e32 v2, v6
	v_mov_b32_e32 v3, v41
	s_branch .LBB52_23
.LBB52_22:                              ;   in Loop: Header=BB52_23 Depth=4
	s_or_b64 exec, exec, s[46:47]
	v_add_u32_e32 v3, s36, v3
	v_cmp_le_u32_e64 s[14:15], s75, v3
	s_or_b64 s[44:45], s[14:15], s[44:45]
	v_add_u32_e32 v2, s62, v2
	s_andn2_b64 exec, exec, s[44:45]
	s_cbranch_execz .LBB52_26
.LBB52_23:                              ;   Parent Loop BB52_6 Depth=1
                                        ;     Parent Loop BB52_10 Depth=2
                                        ;       Parent Loop BB52_19 Depth=3
                                        ; =>      This Loop Header: Depth=4
                                        ;           Child Loop BB52_25 Depth 5
	s_and_saveexec_b64 s[46:47], s[12:13]
	s_cbranch_execz .LBB52_22
; %bb.24:                               ;   in Loop: Header=BB52_23 Depth=4
	v_add_u32_e32 v10, s74, v3
	v_mad_u64_u32 v[8:9], s[14:15], v10, s58, 0
	s_mov_b64 s[48:49], 0
	v_mov_b32_e32 v11, v42
	v_mov_b32_e32 v0, v9
	v_mad_u64_u32 v[9:10], s[14:15], v10, s57, v[0:1]
	v_mov_b32_e32 v0, s66
	v_mov_b32_e32 v10, v2
	v_lshlrev_b64 v[8:9], 3, v[8:9]
	v_add_co_u32_e64 v8, s[14:15], s27, v8
	v_addc_co_u32_e64 v9, s[14:15], v0, v9, s[14:15]
.LBB52_25:                              ;   Parent Loop BB52_6 Depth=1
                                        ;     Parent Loop BB52_10 Depth=2
                                        ;       Parent Loop BB52_19 Depth=3
                                        ;         Parent Loop BB52_23 Depth=4
                                        ; =>        This Inner Loop Header: Depth=5
	v_add_u32_e32 v0, s68, v11
	v_lshlrev_b64 v[12:13], 3, v[0:1]
	v_add_u32_e32 v11, s23, v11
	v_add_co_u32_e64 v12, s[14:15], v8, v12
	v_addc_co_u32_e64 v13, s[14:15], v9, v13, s[14:15]
	global_load_dwordx2 v[12:13], v[12:13], off
	v_cmp_le_u32_e64 s[14:15], s71, v11
	s_or_b64 s[48:49], s[14:15], s[48:49]
	s_waitcnt vmcnt(0)
	ds_write_b64 v10, v[12:13]
	v_add_u32_e32 v10, s63, v10
	s_andn2_b64 exec, exec, s[48:49]
	s_cbranch_execnz .LBB52_25
	s_branch .LBB52_22
.LBB52_26:                              ;   in Loop: Header=BB52_19 Depth=3
	s_or_b64 exec, exec, s[42:43]
	s_waitcnt lgkmcnt(0)
	s_barrier
	s_and_saveexec_b64 s[14:15], vcc
	s_cbranch_execz .LBB52_17
; %bb.27:                               ;   in Loop: Header=BB52_19 Depth=3
	s_mov_b64 s[42:43], 0
	v_mov_b32_e32 v8, v7
	v_mov_b32_e32 v9, v41
	s_branch .LBB52_29
.LBB52_28:                              ;   in Loop: Header=BB52_29 Depth=4
	s_or_b64 exec, exec, s[44:45]
	v_add_u32_e32 v9, s36, v9
	v_cmp_le_u32_e32 vcc, s75, v9
	s_or_b64 s[42:43], vcc, s[42:43]
	v_add_u32_e32 v8, s62, v8
	s_andn2_b64 exec, exec, s[42:43]
	s_cbranch_execz .LBB52_17
.LBB52_29:                              ;   Parent Loop BB52_6 Depth=1
                                        ;     Parent Loop BB52_10 Depth=2
                                        ;       Parent Loop BB52_19 Depth=3
                                        ; =>      This Loop Header: Depth=4
                                        ;           Child Loop BB52_32 Depth 5
                                        ;             Child Loop BB52_34 Depth 6
	s_and_saveexec_b64 s[44:45], s[12:13]
	s_cbranch_execz .LBB52_28
; %bb.30:                               ;   in Loop: Header=BB52_29 Depth=4
	v_add_u32_e32 v10, s74, v9
	v_mad_u64_u32 v[2:3], s[46:47], v10, s58, 0
	v_mov_b32_e32 v12, v42
	v_mov_b32_e32 v0, v3
	v_mad_u64_u32 v[10:11], s[46:47], v10, s57, v[0:1]
	v_mov_b32_e32 v0, s66
	s_mov_b64 s[46:47], 0
	v_mov_b32_e32 v3, v10
	v_lshlrev_b64 v[2:3], 3, v[2:3]
	v_add_co_u32_e32 v10, vcc, s27, v2
	v_addc_co_u32_e32 v11, vcc, v0, v3, vcc
	s_branch .LBB52_32
.LBB52_31:                              ;   in Loop: Header=BB52_32 Depth=5
	v_add_u32_e32 v0, s72, v12
	v_lshlrev_b64 v[13:14], 3, v[0:1]
	v_add_u32_e32 v12, s23, v12
	v_add_co_u32_e32 v13, vcc, v10, v13
	v_addc_co_u32_e32 v14, vcc, v11, v14, vcc
	v_cmp_le_u32_e32 vcc, s71, v12
	s_or_b64 s[46:47], vcc, s[46:47]
	global_store_dwordx2 v[13:14], v[2:3], off
	s_andn2_b64 exec, exec, s[46:47]
	s_cbranch_execz .LBB52_28
.LBB52_32:                              ;   Parent Loop BB52_6 Depth=1
                                        ;     Parent Loop BB52_10 Depth=2
                                        ;       Parent Loop BB52_19 Depth=3
                                        ;         Parent Loop BB52_29 Depth=4
                                        ; =>        This Loop Header: Depth=5
                                        ;             Child Loop BB52_34 Depth 6
	v_mov_b32_e32 v2, 0
	v_mov_b32_e32 v3, 0
	s_andn2_b64 vcc, exec, s[38:39]
	s_cbranch_vccnz .LBB52_31
; %bb.33:                               ;   in Loop: Header=BB52_32 Depth=5
	v_mov_b32_e32 v0, v12
	s_mov_b32 s48, s71
	v_mov_b32_e32 v13, v8
.LBB52_34:                              ;   Parent Loop BB52_6 Depth=1
                                        ;     Parent Loop BB52_10 Depth=2
                                        ;       Parent Loop BB52_19 Depth=3
                                        ;         Parent Loop BB52_29 Depth=4
                                        ;           Parent Loop BB52_32 Depth=5
                                        ; =>          This Inner Loop Header: Depth=6
	v_lshlrev_b64 v[14:15], 3, v[0:1]
	v_mov_b32_e32 v16, s28
	v_add_co_u32_e32 v14, vcc, s70, v14
	v_addc_co_u32_e32 v15, vcc, v16, v15, vcc
	flat_load_dwordx2 v[14:15], v[14:15]
	ds_read_b64 v[16:17], v13
	s_add_i32 s48, s48, -1
	v_add_u32_e32 v13, 8, v13
	s_cmp_eq_u32 s48, 0
	v_add_u32_e32 v0, s37, v0
	s_waitcnt vmcnt(0) lgkmcnt(0)
	v_fma_f64 v[2:3], v[14:15], v[16:17], v[2:3]
	s_cbranch_scc0 .LBB52_34
	s_branch .LBB52_31
.LBB52_35:
	s_endpgm
	.section	.rodata,"a",@progbits
	.p2align	6, 0x0
	.amdhsa_kernel _ZN9rocsolver6v33100L17syevj_diag_rotateILb1EddPdEEvbiiT2_iilPT0_Pii
		.amdhsa_group_segment_fixed_size 0
		.amdhsa_private_segment_fixed_size 64
		.amdhsa_kernarg_size 320
		.amdhsa_user_sgpr_count 8
		.amdhsa_user_sgpr_private_segment_buffer 1
		.amdhsa_user_sgpr_dispatch_ptr 0
		.amdhsa_user_sgpr_queue_ptr 0
		.amdhsa_user_sgpr_kernarg_segment_ptr 1
		.amdhsa_user_sgpr_dispatch_id 0
		.amdhsa_user_sgpr_flat_scratch_init 1
		.amdhsa_user_sgpr_private_segment_size 0
		.amdhsa_uses_dynamic_stack 0
		.amdhsa_system_sgpr_private_segment_wavefront_offset 1
		.amdhsa_system_sgpr_workgroup_id_x 1
		.amdhsa_system_sgpr_workgroup_id_y 1
		.amdhsa_system_sgpr_workgroup_id_z 1
		.amdhsa_system_sgpr_workgroup_info 0
		.amdhsa_system_vgpr_workitem_id 1
		.amdhsa_next_free_vgpr 43
		.amdhsa_next_free_sgpr 76
		.amdhsa_reserve_vcc 1
		.amdhsa_reserve_flat_scratch 1
		.amdhsa_float_round_mode_32 0
		.amdhsa_float_round_mode_16_64 0
		.amdhsa_float_denorm_mode_32 3
		.amdhsa_float_denorm_mode_16_64 3
		.amdhsa_dx10_clamp 1
		.amdhsa_ieee_mode 1
		.amdhsa_fp16_overflow 0
		.amdhsa_exception_fp_ieee_invalid_op 0
		.amdhsa_exception_fp_denorm_src 0
		.amdhsa_exception_fp_ieee_div_zero 0
		.amdhsa_exception_fp_ieee_overflow 0
		.amdhsa_exception_fp_ieee_underflow 0
		.amdhsa_exception_fp_ieee_inexact 0
		.amdhsa_exception_int_div_zero 0
	.end_amdhsa_kernel
	.section	.text._ZN9rocsolver6v33100L17syevj_diag_rotateILb1EddPdEEvbiiT2_iilPT0_Pii,"axG",@progbits,_ZN9rocsolver6v33100L17syevj_diag_rotateILb1EddPdEEvbiiT2_iilPT0_Pii,comdat
.Lfunc_end52:
	.size	_ZN9rocsolver6v33100L17syevj_diag_rotateILb1EddPdEEvbiiT2_iilPT0_Pii, .Lfunc_end52-_ZN9rocsolver6v33100L17syevj_diag_rotateILb1EddPdEEvbiiT2_iilPT0_Pii
                                        ; -- End function
	.set _ZN9rocsolver6v33100L17syevj_diag_rotateILb1EddPdEEvbiiT2_iilPT0_Pii.num_vgpr, max(43, .L__assert_fail.num_vgpr)
	.set _ZN9rocsolver6v33100L17syevj_diag_rotateILb1EddPdEEvbiiT2_iilPT0_Pii.num_agpr, max(0, .L__assert_fail.num_agpr)
	.set _ZN9rocsolver6v33100L17syevj_diag_rotateILb1EddPdEEvbiiT2_iilPT0_Pii.numbered_sgpr, max(76, .L__assert_fail.numbered_sgpr)
	.set _ZN9rocsolver6v33100L17syevj_diag_rotateILb1EddPdEEvbiiT2_iilPT0_Pii.num_named_barrier, max(0, .L__assert_fail.num_named_barrier)
	.set _ZN9rocsolver6v33100L17syevj_diag_rotateILb1EddPdEEvbiiT2_iilPT0_Pii.private_seg_size, 0+max(.L__assert_fail.private_seg_size)
	.set _ZN9rocsolver6v33100L17syevj_diag_rotateILb1EddPdEEvbiiT2_iilPT0_Pii.uses_vcc, or(1, .L__assert_fail.uses_vcc)
	.set _ZN9rocsolver6v33100L17syevj_diag_rotateILb1EddPdEEvbiiT2_iilPT0_Pii.uses_flat_scratch, or(1, .L__assert_fail.uses_flat_scratch)
	.set _ZN9rocsolver6v33100L17syevj_diag_rotateILb1EddPdEEvbiiT2_iilPT0_Pii.has_dyn_sized_stack, or(0, .L__assert_fail.has_dyn_sized_stack)
	.set _ZN9rocsolver6v33100L17syevj_diag_rotateILb1EddPdEEvbiiT2_iilPT0_Pii.has_recursion, or(0, .L__assert_fail.has_recursion)
	.set _ZN9rocsolver6v33100L17syevj_diag_rotateILb1EddPdEEvbiiT2_iilPT0_Pii.has_indirect_call, or(0, .L__assert_fail.has_indirect_call)
	.section	.AMDGPU.csdata,"",@progbits
; Kernel info:
; codeLenInByte = 1408
; TotalNumSgprs: 82
; NumVgprs: 43
; ScratchSize: 64
; MemoryBound: 0
; FloatMode: 240
; IeeeMode: 1
; LDSByteSize: 0 bytes/workgroup (compile time only)
; SGPRBlocks: 10
; VGPRBlocks: 10
; NumSGPRsForWavesPerEU: 82
; NumVGPRsForWavesPerEU: 43
; Occupancy: 5
; WaveLimiterHint : 1
; COMPUTE_PGM_RSRC2:SCRATCH_EN: 1
; COMPUTE_PGM_RSRC2:USER_SGPR: 8
; COMPUTE_PGM_RSRC2:TRAP_HANDLER: 0
; COMPUTE_PGM_RSRC2:TGID_X_EN: 1
; COMPUTE_PGM_RSRC2:TGID_Y_EN: 1
; COMPUTE_PGM_RSRC2:TGID_Z_EN: 1
; COMPUTE_PGM_RSRC2:TIDIG_COMP_CNT: 1
	.section	.text._ZN9rocsolver6v33100L21syevj_offd_kernel_orgIddPdEEviiT1_iilT0_PT_PiS7_S7_,"axG",@progbits,_ZN9rocsolver6v33100L21syevj_offd_kernel_orgIddPdEEviiT1_iilT0_PT_PiS7_S7_,comdat
	.globl	_ZN9rocsolver6v33100L21syevj_offd_kernel_orgIddPdEEviiT1_iilT0_PT_PiS7_S7_ ; -- Begin function _ZN9rocsolver6v33100L21syevj_offd_kernel_orgIddPdEEviiT1_iilT0_PT_PiS7_S7_
	.p2align	8
	.type	_ZN9rocsolver6v33100L21syevj_offd_kernel_orgIddPdEEviiT1_iilT0_PT_PiS7_S7_,@function
_ZN9rocsolver6v33100L21syevj_offd_kernel_orgIddPdEEviiT1_iilT0_PT_PiS7_S7_: ; @_ZN9rocsolver6v33100L21syevj_offd_kernel_orgIddPdEEviiT1_iilT0_PT_PiS7_S7_
; %bb.0:
	s_load_dwordx4 s[0:3], s[4:5], 0x38
	s_mov_b32 s24, s7
	s_ashr_i32 s25, s7, 31
	s_lshl_b64 s[8:9], s[24:25], 2
	s_mov_b32 s7, 0
	s_waitcnt lgkmcnt(0)
	s_add_u32 s2, s2, s8
	s_addc_u32 s3, s3, s9
	s_load_dword s2, s[2:3], 0x4
	s_waitcnt lgkmcnt(0)
	s_cmp_lg_u32 s2, 0
	s_cbranch_scc1 .LBB53_39
; %bb.1:
	s_load_dwordx8 s[8:15], s[4:5], 0x18
	s_lshl_b64 s[16:17], s[6:7], 2
	s_waitcnt lgkmcnt(0)
	s_add_u32 s2, s14, s16
	s_addc_u32 s3, s15, s17
	s_add_u32 s0, s0, s16
	s_load_dword s2, s[2:3], 0x0
	s_addc_u32 s1, s1, s17
	s_load_dword s3, s[0:1], 0x0
	s_load_dwordx2 s[16:17], s[4:5], 0x0
	s_waitcnt lgkmcnt(0)
	s_max_i32 s33, s2, s3
	s_cmp_ge_i32 s33, s16
	s_cbranch_scc1 .LBB53_39
; %bb.2:
	s_load_dword s7, s[4:5], 0x54
	s_add_u32 s0, s4, 0x48
	s_addc_u32 s1, s5, 0
	s_min_i32 s3, s2, s3
	s_waitcnt lgkmcnt(0)
	s_and_b32 s16, s7, 0xffff
	s_mul_i32 s3, s3, s16
	v_add_u32_e32 v35, s3, v1
	v_cmp_gt_i32_e32 vcc, s17, v35
	s_and_saveexec_b64 s[14:15], vcc
	s_cbranch_execz .LBB53_39
; %bb.3:
	s_cmp_eq_u64 s[12:13], 0
	s_mov_b64 s[18:19], 0
	s_cbranch_scc1 .LBB53_5
; %bb.4:
	s_load_dword s0, s[0:1], 0x0
	s_waitcnt lgkmcnt(0)
	s_mul_i32 s0, s0, s24
	s_add_i32 s0, s0, s6
	s_mul_i32 s0, s0, s16
	s_mul_i32 s0, s0, s16
	s_lshl_b32 s0, s0, 2
	s_ashr_i32 s1, s0, 31
	s_lshl_b64 s[0:1], s[0:1], 3
	s_add_u32 s18, s12, s0
	s_addc_u32 s19, s13, s1
.LBB53_5:
	s_lshl_b32 s6, s16, 1
	v_add_u32_e32 v21, s16, v1
	s_cmp_lg_u64 s[18:19], 0
	s_cselect_b64 s[20:21], -1, 0
	s_cmp_eq_u64 s[18:19], 0
	v_mad_u32_u24 v2, s6, v1, v0
	v_mad_u32_u24 v5, v21, s6, v0
	s_cbranch_scc1 .LBB53_7
; %bb.6:
	v_mov_b32_e32 v3, 0x3ff00000
	v_cmp_eq_u32_e32 vcc, v0, v1
	v_mov_b32_e32 v7, 0
	v_cndmask_b32_e32 v8, 0, v3, vcc
	v_mov_b32_e32 v3, v7
	v_lshlrev_b64 v[3:4], 3, v[2:3]
	v_mov_b32_e32 v12, s19
	v_add_co_u32_e32 v3, vcc, s18, v3
	v_addc_co_u32_e32 v4, vcc, v12, v4, vcc
	v_mov_b32_e32 v6, v7
	s_mov_b32 s0, 0
	global_store_dwordx2 v[3:4], v[7:8], off
	v_lshlrev_b64 v[3:4], 3, v[5:6]
	s_mov_b32 s1, s0
	v_add_co_u32_e32 v3, vcc, s18, v3
	v_mov_b32_e32 v10, s1
	v_add_u32_e32 v11, s16, v0
	v_addc_co_u32_e32 v4, vcc, v12, v4, vcc
	v_mov_b32_e32 v9, s0
	global_store_dwordx2 v[3:4], v[9:10], off
	v_mad_u32_u24 v3, s6, v1, v11
	v_mov_b32_e32 v4, v7
	v_lshlrev_b64 v[3:4], 3, v[3:4]
	v_add_co_u32_e32 v3, vcc, s18, v3
	v_addc_co_u32_e32 v4, vcc, v12, v4, vcc
	global_store_dwordx2 v[3:4], v[9:10], off
	v_mad_u32_u24 v3, v21, s6, v11
	v_mov_b32_e32 v4, v7
	v_lshlrev_b64 v[3:4], 3, v[3:4]
	v_add_co_u32_e32 v3, vcc, s18, v3
	v_addc_co_u32_e32 v4, vcc, v12, v4, vcc
	global_store_dwordx2 v[3:4], v[7:8], off
.LBB53_7:
	s_cmp_eq_u32 s16, 0
	s_mov_b32 s22, 0
	s_cbranch_scc1 .LBB53_39
; %bb.8:
	v_mov_b32_e32 v19, 0
	v_mov_b32_e32 v20, 0x100000
	v_div_scale_f64 v[11:12], s[0:1], s[10:11], s[10:11], v[19:20]
	s_mov_b32 s0, 0
	v_mov_b32_e32 v6, s10
	s_mov_b32 s1, 0x100000
	v_mov_b32_e32 v7, s11
	v_mov_b32_e32 v3, 0
	s_load_dwordx4 s[12:15], s[4:5], 0x8
	s_mul_i32 s4, s8, s25
	s_mul_hi_u32 s5, s8, s24
	v_div_scale_f64 v[13:14], vcc, s[0:1], v[6:7], s[0:1]
	v_lshlrev_b64 v[7:8], 3, v[2:3]
	s_mul_i32 s9, s9, s24
	s_add_i32 s0, s5, s4
	v_mov_b32_e32 v6, v3
	v_rcp_f64_e32 v[9:10], v[11:12]
	v_add_u32_e32 v4, s3, v0
	v_mov_b32_e32 v22, s19
	s_add_i32 s3, s0, s9
	v_lshlrev_b64 v[15:16], 3, v[5:6]
	v_add_co_u32_e64 v5, s[0:1], s18, v7
	v_addc_co_u32_e64 v6, s[0:1], v22, v8, s[0:1]
	v_add_co_u32_e64 v7, s[0:1], s18, v15
	v_addc_co_u32_e64 v8, s[0:1], v22, v16, s[0:1]
	s_waitcnt lgkmcnt(0)
	v_mul_lo_u32 v37, v4, s15
	s_lshl_b32 s7, s16, 3
	s_mul_i32 s2, s8, s24
	v_fma_f64 v[17:18], -v[11:12], v[9:10], 1.0
	s_add_i32 s7, s7, 0
	s_lshl_b64 s[2:3], s[2:3], 3
	s_ashr_i32 s1, s14, 31
	s_mov_b32 s0, s14
	s_add_u32 s2, s12, s2
	s_addc_u32 s3, s13, s3
	s_lshl_b64 s[0:1], s[0:1], 3
	v_fma_f64 v[9:10], v[9:10], v[17:18], v[9:10]
	v_add_u32_e32 v17, v37, v4
	v_ashrrev_i32_e32 v18, 31, v17
	s_add_u32 s14, s2, s0
	s_addc_u32 s34, s3, s1
	v_mov_b32_e32 v28, s34
	v_cvt_f32_u32_e32 v23, s16
	v_add_u32_e32 v22, v37, v35
	v_fma_f64 v[15:16], -v[11:12], v[9:10], 1.0
	v_mov_b32_e32 v30, s34
	v_rcp_iflag_f32_e32 v2, v23
	v_ashrrev_i32_e32 v23, 31, v22
	v_lshlrev_b64 v[22:23], 3, v[22:23]
	s_mul_i32 s33, s33, s16
	v_add_u32_e32 v36, s33, v1
	v_add_u32_e32 v24, v37, v36
	v_fma_f64 v[15:16], v[9:10], v[15:16], v[9:10]
	v_lshlrev_b64 v[9:10], 3, v[17:18]
	v_ashrrev_i32_e32 v25, 31, v24
	v_add_co_u32_e64 v9, s[0:1], s14, v9
	v_addc_co_u32_e64 v10, s[0:1], v28, v10, s[0:1]
	v_lshlrev_b64 v[24:25], 3, v[24:25]
	v_mul_f64 v[17:18], v[13:14], v[15:16]
	v_mul_f32_e32 v2, 0x4f7ffffe, v2
	v_cvt_u32_f32_e32 v2, v2
	v_mov_b32_e32 v31, s34
	v_mul_lo_u32 v38, v35, s15
	v_mul_lo_u32 v39, v36, s15
	v_mov_b32_e32 v32, s34
	v_mul_u32_u24_e32 v43, s6, v1
	v_fma_f64 v[28:29], -v[11:12], v[17:18], v[13:14]
	v_add_co_u32_e64 v11, s[0:1], s14, v22
	v_addc_co_u32_e64 v12, s[0:1], v30, v23, s[0:1]
	v_add_co_u32_e64 v13, s[0:1], s14, v24
	v_addc_co_u32_e64 v14, s[0:1], v31, v25, s[0:1]
	v_div_fmas_f64 v[22:23], v[28:29], v[15:16], v[17:18]
	s_sub_i32 s0, 0, s16
	v_mul_lo_u32 v24, s0, v2
	v_add_u32_e32 v26, v38, v4
	v_ashrrev_i32_e32 v27, 31, v26
	v_lshlrev_b64 v[26:27], 3, v[26:27]
	v_mul_hi_u32 v24, v2, v24
	v_add_u32_e32 v17, v39, v4
	v_ashrrev_i32_e32 v18, 31, v17
	v_add_co_u32_e32 v15, vcc, s14, v26
	v_add_u32_e32 v40, v2, v24
	v_lshlrev_b32_e32 v2, 3, v0
	v_lshlrev_b64 v[17:18], 3, v[17:18]
	v_add_u32_e32 v42, s7, v2
	v_mul_u32_u24_e32 v44, s6, v21
	v_div_fixup_f64 v[19:20], v[22:23], s[10:11], v[19:20]
	v_mad_u64_u32 v[21:22], s[6:7], v0, v40, 0
	v_addc_co_u32_e32 v16, vcc, v32, v27, vcc
	v_mov_b32_e32 v25, s34
	v_add_co_u32_e32 v17, vcc, s14, v17
	v_cmp_eq_u32_e64 s[0:1], 0, v1
	v_cmp_gt_i32_e64 s[2:3], s17, v4
	s_mov_b32 s12, 0
	v_addc_co_u32_e32 v18, vcc, v25, v18, vcc
	v_add_u32_e32 v41, 0, v2
	v_cmp_gt_i32_e64 s[4:5], s17, v36
	s_and_b64 s[10:11], s[0:1], s[2:3]
	s_movk_i32 s35, 0x204
	s_brev_b32 s13, 8
	s_mov_b32 s36, s16
	v_mov_b32_e32 v45, 0x260
	v_mov_b32_e32 v46, 0x7ff80000
	;; [unrolled: 1-line block ×7, first 2 shown]
                                        ; implicit-def: $vgpr23_vgpr24
                                        ; implicit-def: $vgpr27_vgpr28
                                        ; implicit-def: $vgpr25_vgpr26
	s_branch .LBB53_10
.LBB53_9:                               ;   in Loop: Header=BB53_10 Depth=1
	s_or_b64 exec, exec, s[6:7]
	s_add_i32 s36, s36, -1
	v_add_co_u32_e32 v21, vcc, v21, v40
	v_add_u32_e32 v0, 1, v0
	s_cmp_lg_u32 s36, 0
	v_addc_co_u32_e32 v22, vcc, 0, v22, vcc
	s_cbranch_scc0 .LBB53_39
.LBB53_10:                              ; =>This Inner Loop Header: Depth=1
	v_mul_lo_u32 v29, s16, v22
	v_not_b32_e32 v1, v22
	v_mad_u64_u32 v[1:2], s[6:7], s16, v1, v[0:1]
	v_sub_u32_e32 v2, v0, v29
	v_cmp_le_u32_e32 vcc, s16, v2
	v_cndmask_b32_e32 v1, v2, v1, vcc
	v_subrev_u32_e32 v2, s16, v1
	v_cmp_le_u32_e32 vcc, s16, v1
	v_cndmask_b32_e32 v54, v1, v2, vcc
	v_add_u32_e32 v52, s33, v54
	v_mul_lo_u32 v53, v52, s15
	v_cmp_gt_i32_e64 s[6:7], s17, v52
	s_and_b64 s[8:9], s[10:11], s[6:7]
	s_and_saveexec_b64 s[24:25], s[8:9]
	s_cbranch_execz .LBB53_26
; %bb.11:                               ;   in Loop: Header=BB53_10 Depth=1
	v_add_u32_e32 v1, v53, v4
	v_ashrrev_i32_e32 v2, 31, v1
	v_lshlrev_b64 v[1:2], 3, v[1:2]
	v_mov_b32_e32 v25, s34
	v_add_co_u32_e32 v1, vcc, s14, v1
	v_addc_co_u32_e32 v2, vcc, v25, v2, vcc
	global_load_dwordx2 v[1:2], v[1:2], off
	v_mov_b32_e32 v27, 0
	v_mov_b32_e32 v28, 0
	s_waitcnt vmcnt(0)
	v_mul_f64 v[25:26], v[1:2], v[1:2]
	v_cmp_nlt_f64_e32 vcc, v[25:26], v[19:20]
	v_mov_b32_e32 v25, 0
	v_mov_b32_e32 v26, 0x3ff00000
	s_and_saveexec_b64 s[26:27], vcc
	s_cbranch_execz .LBB53_25
; %bb.12:                               ;   in Loop: Header=BB53_10 Depth=1
	v_add_u32_e32 v25, v53, v52
	v_ashrrev_i32_e32 v26, 31, v25
	v_lshlrev_b64 v[25:26], 3, v[25:26]
	v_mov_b32_e32 v27, s34
	v_add_co_u32_e32 v25, vcc, s14, v25
	v_addc_co_u32_e32 v26, vcc, v27, v26, vcc
	global_load_dwordx2 v[25:26], v[25:26], off
	s_nop 0
	global_load_dwordx2 v[29:30], v[9:10], off
	v_add_f64 v[27:28], |v[1:2]|, |v[1:2]|
	v_cmp_class_f64_e64 s[28:29], v[27:28], s35
	s_waitcnt vmcnt(0)
	v_add_f64 v[29:30], v[25:26], -v[29:30]
	v_max_f64 v[25:26], |v[29:30]|, |v[27:28]|
	v_cmp_ngt_f64_e32 vcc, 0, v[29:30]
	v_cmp_class_f64_e64 s[30:31], v[29:30], s35
	v_frexp_exp_i32_f64_e32 v31, v[25:26]
	v_sub_u32_e32 v32, 0, v31
	v_ldexp_f64 v[25:26], |v[27:28]|, v32
	v_ldexp_f64 v[32:33], |v[29:30]|, v32
	v_mul_f64 v[25:26], v[25:26], v[25:26]
	v_fma_f64 v[25:26], v[32:33], v[32:33], v[25:26]
	v_rsq_f64_e32 v[32:33], v[25:26]
	v_cmp_eq_f64_e64 s[8:9], 0, v[25:26]
	v_mul_f64 v[55:56], v[25:26], v[32:33]
	v_mul_f64 v[32:33], v[32:33], 0.5
	v_fma_f64 v[57:58], -v[32:33], v[55:56], 0.5
	v_fma_f64 v[55:56], v[55:56], v[57:58], v[55:56]
	v_fma_f64 v[32:33], v[32:33], v[57:58], v[32:33]
	v_fma_f64 v[57:58], -v[55:56], v[55:56], v[25:26]
	v_fma_f64 v[32:33], v[57:58], v[32:33], v[55:56]
	v_cndmask_b32_e64 v26, v33, v26, s[8:9]
	v_cndmask_b32_e64 v25, v32, v25, s[8:9]
                                        ; implicit-def: $vgpr33_vgpr34
	s_and_saveexec_b64 s[8:9], vcc
	s_xor_b64 s[8:9], exec, s[8:9]
	s_cbranch_execz .LBB53_14
; %bb.13:                               ;   in Loop: Header=BB53_10 Depth=1
	v_ldexp_f64 v[25:26], v[25:26], v31
	v_cmp_o_f64_e32 vcc, v[29:30], v[27:28]
                                        ; implicit-def: $vgpr31
	v_cndmask_b32_e32 v25, 0, v25, vcc
	v_cndmask_b32_e32 v26, v46, v26, vcc
	s_or_b64 vcc, s[28:29], s[30:31]
	v_cndmask_b32_e32 v34, v26, v47, vcc
	v_cndmask_b32_e64 v33, v25, 0, vcc
                                        ; implicit-def: $vgpr25_vgpr26
.LBB53_14:                              ;   in Loop: Header=BB53_10 Depth=1
	s_andn2_saveexec_b64 s[8:9], s[8:9]
	s_cbranch_execz .LBB53_16
; %bb.15:                               ;   in Loop: Header=BB53_10 Depth=1
	v_ldexp_f64 v[25:26], -v[25:26], v31
	v_cmp_o_f64_e32 vcc, v[27:28], v[27:28]
	v_cndmask_b32_e32 v25, 0, v25, vcc
	v_cndmask_b32_e32 v26, v48, v26, vcc
	s_or_b64 vcc, s[28:29], s[30:31]
	v_cndmask_b32_e32 v34, v26, v49, vcc
	v_cndmask_b32_e64 v33, v25, 0, vcc
.LBB53_16:                              ;   in Loop: Header=BB53_10 Depth=1
	s_or_b64 exec, exec, s[8:9]
	v_cmp_neq_f64_e32 vcc, 0, v[27:28]
	v_mov_b32_e32 v31, 0
	v_mov_b32_e32 v25, 0
	;; [unrolled: 1-line block ×4, first 2 shown]
	s_and_saveexec_b64 s[8:9], vcc
	s_cbranch_execz .LBB53_24
; %bb.17:                               ;   in Loop: Header=BB53_10 Depth=1
	v_add_f64 v[29:30], v[29:30], v[33:34]
	v_mov_b32_e32 v25, 0
	v_mov_b32_e32 v31, 0
	;; [unrolled: 1-line block ×4, first 2 shown]
	v_cmp_neq_f64_e32 vcc, 0, v[29:30]
	s_and_saveexec_b64 s[28:29], vcc
	s_cbranch_execz .LBB53_23
; %bb.18:                               ;   in Loop: Header=BB53_10 Depth=1
	v_cmp_ngt_f64_e64 s[30:31], |v[27:28]|, |v[29:30]|
                                        ; implicit-def: $vgpr31_vgpr32
                                        ; implicit-def: $vgpr25_vgpr26
	s_and_saveexec_b64 s[38:39], s[30:31]
	s_xor_b64 s[30:31], exec, s[38:39]
	s_cbranch_execz .LBB53_20
; %bb.19:                               ;   in Loop: Header=BB53_10 Depth=1
	v_div_scale_f64 v[25:26], s[38:39], v[29:30], v[29:30], -v[27:28]
	v_rcp_f64_e32 v[31:32], v[25:26]
	v_fma_f64 v[33:34], -v[25:26], v[31:32], 1.0
	v_fma_f64 v[31:32], v[31:32], v[33:34], v[31:32]
	v_div_scale_f64 v[33:34], vcc, -v[27:28], v[29:30], -v[27:28]
	v_fma_f64 v[55:56], -v[25:26], v[31:32], 1.0
	v_fma_f64 v[31:32], v[31:32], v[55:56], v[31:32]
	v_mul_f64 v[55:56], v[33:34], v[31:32]
	v_fma_f64 v[25:26], -v[25:26], v[55:56], v[33:34]
	v_div_fmas_f64 v[25:26], v[25:26], v[31:32], v[55:56]
	v_div_fixup_f64 v[27:28], v[25:26], v[29:30], -v[27:28]
	v_fma_f64 v[25:26], v[27:28], v[27:28], 1.0
	v_cmp_gt_f64_e32 vcc, s[12:13], v[25:26]
	v_cndmask_b32_e32 v29, 0, v50, vcc
	v_ldexp_f64 v[25:26], v[25:26], v29
	v_rsq_f64_e32 v[29:30], v[25:26]
	v_mul_f64 v[31:32], v[25:26], v[29:30]
	v_mul_f64 v[29:30], v[29:30], 0.5
	v_fma_f64 v[33:34], -v[29:30], v[31:32], 0.5
	v_fma_f64 v[31:32], v[31:32], v[33:34], v[31:32]
	v_fma_f64 v[29:30], v[29:30], v[33:34], v[29:30]
	v_fma_f64 v[33:34], -v[31:32], v[31:32], v[25:26]
	v_fma_f64 v[31:32], v[33:34], v[29:30], v[31:32]
	v_fma_f64 v[33:34], -v[31:32], v[31:32], v[25:26]
	v_fma_f64 v[29:30], v[33:34], v[29:30], v[31:32]
	v_cndmask_b32_e32 v31, 0, v51, vcc
	v_cmp_class_f64_e32 vcc, v[25:26], v45
	v_ldexp_f64 v[29:30], v[29:30], v31
	v_cndmask_b32_e32 v26, v30, v26, vcc
	v_cndmask_b32_e32 v25, v29, v25, vcc
	v_div_scale_f64 v[29:30], s[38:39], v[25:26], v[25:26], 1.0
	v_div_scale_f64 v[55:56], vcc, 1.0, v[25:26], 1.0
	v_rcp_f64_e32 v[31:32], v[29:30]
	v_fma_f64 v[33:34], -v[29:30], v[31:32], 1.0
	v_fma_f64 v[31:32], v[31:32], v[33:34], v[31:32]
	v_fma_f64 v[33:34], -v[29:30], v[31:32], 1.0
	v_fma_f64 v[31:32], v[31:32], v[33:34], v[31:32]
	v_mul_f64 v[33:34], v[55:56], v[31:32]
	v_fma_f64 v[29:30], -v[29:30], v[33:34], v[55:56]
	v_div_fmas_f64 v[29:30], v[29:30], v[31:32], v[33:34]
	v_div_fixup_f64 v[25:26], v[29:30], v[25:26], 1.0
                                        ; implicit-def: $vgpr29_vgpr30
	v_mul_f64 v[31:32], v[27:28], v[25:26]
                                        ; implicit-def: $vgpr27_vgpr28
.LBB53_20:                              ;   in Loop: Header=BB53_10 Depth=1
	s_andn2_saveexec_b64 s[30:31], s[30:31]
	s_cbranch_execz .LBB53_22
; %bb.21:                               ;   in Loop: Header=BB53_10 Depth=1
	v_div_scale_f64 v[25:26], s[38:39], v[27:28], v[27:28], -v[29:30]
	v_rcp_f64_e32 v[31:32], v[25:26]
	v_fma_f64 v[33:34], -v[25:26], v[31:32], 1.0
	v_fma_f64 v[31:32], v[31:32], v[33:34], v[31:32]
	v_div_scale_f64 v[33:34], vcc, -v[29:30], v[27:28], -v[29:30]
	v_fma_f64 v[55:56], -v[25:26], v[31:32], 1.0
	v_fma_f64 v[31:32], v[31:32], v[55:56], v[31:32]
	v_mul_f64 v[55:56], v[33:34], v[31:32]
	v_fma_f64 v[25:26], -v[25:26], v[55:56], v[33:34]
	v_div_fmas_f64 v[25:26], v[25:26], v[31:32], v[55:56]
	v_div_fixup_f64 v[25:26], v[25:26], v[27:28], -v[29:30]
	v_fma_f64 v[27:28], v[25:26], v[25:26], 1.0
	v_cmp_gt_f64_e32 vcc, s[12:13], v[27:28]
	v_cndmask_b32_e32 v29, 0, v50, vcc
	v_ldexp_f64 v[27:28], v[27:28], v29
	v_rsq_f64_e32 v[29:30], v[27:28]
	v_mul_f64 v[31:32], v[27:28], v[29:30]
	v_mul_f64 v[29:30], v[29:30], 0.5
	v_fma_f64 v[33:34], -v[29:30], v[31:32], 0.5
	v_fma_f64 v[31:32], v[31:32], v[33:34], v[31:32]
	v_fma_f64 v[29:30], v[29:30], v[33:34], v[29:30]
	v_fma_f64 v[33:34], -v[31:32], v[31:32], v[27:28]
	v_fma_f64 v[31:32], v[33:34], v[29:30], v[31:32]
	v_fma_f64 v[33:34], -v[31:32], v[31:32], v[27:28]
	v_fma_f64 v[29:30], v[33:34], v[29:30], v[31:32]
	v_cndmask_b32_e32 v31, 0, v51, vcc
	v_cmp_class_f64_e32 vcc, v[27:28], v45
	v_ldexp_f64 v[29:30], v[29:30], v31
	v_cndmask_b32_e32 v28, v30, v28, vcc
	v_cndmask_b32_e32 v27, v29, v27, vcc
	v_div_scale_f64 v[29:30], s[38:39], v[27:28], v[27:28], 1.0
	v_div_scale_f64 v[55:56], vcc, 1.0, v[27:28], 1.0
	v_rcp_f64_e32 v[31:32], v[29:30]
	v_fma_f64 v[33:34], -v[29:30], v[31:32], 1.0
	v_fma_f64 v[31:32], v[31:32], v[33:34], v[31:32]
	v_fma_f64 v[33:34], -v[29:30], v[31:32], 1.0
	v_fma_f64 v[31:32], v[31:32], v[33:34], v[31:32]
	v_mul_f64 v[33:34], v[55:56], v[31:32]
	v_fma_f64 v[29:30], -v[29:30], v[33:34], v[55:56]
	v_div_fmas_f64 v[29:30], v[29:30], v[31:32], v[33:34]
	v_div_fixup_f64 v[31:32], v[29:30], v[27:28], 1.0
	v_mul_f64 v[25:26], v[25:26], v[31:32]
.LBB53_22:                              ;   in Loop: Header=BB53_10 Depth=1
	s_or_b64 exec, exec, s[30:31]
.LBB53_23:                              ;   in Loop: Header=BB53_10 Depth=1
	s_or_b64 exec, exec, s[28:29]
.LBB53_24:                              ;   in Loop: Header=BB53_10 Depth=1
	s_or_b64 exec, exec, s[8:9]
	v_mul_f64 v[27:28], v[1:2], v[31:32]
	v_and_b32_e32 v30, 0x7fffffff, v2
	v_mov_b32_e32 v29, v1
	v_div_scale_f64 v[31:32], s[8:9], v[29:30], v[29:30], v[27:28]
	v_div_scale_f64 v[29:30], vcc, v[27:28], v[29:30], v[27:28]
	v_rcp_f64_e32 v[33:34], v[31:32]
	v_fma_f64 v[55:56], -v[31:32], v[33:34], 1.0
	v_fma_f64 v[33:34], v[33:34], v[55:56], v[33:34]
	v_fma_f64 v[55:56], -v[31:32], v[33:34], 1.0
	v_fma_f64 v[33:34], v[33:34], v[55:56], v[33:34]
	v_mul_f64 v[55:56], v[29:30], v[33:34]
	v_fma_f64 v[29:30], -v[31:32], v[55:56], v[29:30]
	v_div_fmas_f64 v[29:30], v[29:30], v[33:34], v[55:56]
	v_div_fixup_f64 v[27:28], v[29:30], |v[1:2]|, v[27:28]
.LBB53_25:                              ;   in Loop: Header=BB53_10 Depth=1
	s_or_b64 exec, exec, s[26:27]
	ds_write_b64 v41, v[25:26]
	ds_write_b64 v42, v[27:28]
.LBB53_26:                              ;   in Loop: Header=BB53_10 Depth=1
	s_or_b64 exec, exec, s[24:25]
	s_and_b64 s[8:9], s[2:3], s[6:7]
	s_waitcnt vmcnt(0) lgkmcnt(0)
	s_barrier
	s_and_saveexec_b64 s[24:25], s[8:9]
	s_cbranch_execz .LBB53_34
; %bb.27:                               ;   in Loop: Header=BB53_10 Depth=1
	ds_read_b64 v[25:26], v41
	ds_read_b64 v[23:24], v42
	s_andn2_b64 vcc, exec, s[20:21]
	s_cbranch_vccnz .LBB53_31
; %bb.28:                               ;   in Loop: Header=BB53_10 Depth=1
	v_add_u32_e32 v1, s16, v54
	v_add_u32_e32 v2, v1, v43
	v_lshlrev_b64 v[27:28], 3, v[2:3]
	v_mov_b32_e32 v2, s19
	v_add_co_u32_e32 v27, vcc, s18, v27
	v_addc_co_u32_e32 v28, vcc, v2, v28, vcc
	global_load_dwordx2 v[29:30], v[27:28], off
	global_load_dwordx2 v[31:32], v[5:6], off
	s_waitcnt vmcnt(1) lgkmcnt(0)
	v_mul_f64 v[33:34], v[23:24], v[29:30]
	s_waitcnt vmcnt(0)
	v_mul_f64 v[54:55], v[23:24], v[31:32]
	v_fma_f64 v[31:32], v[25:26], v[31:32], v[33:34]
	v_fma_f64 v[29:30], v[25:26], v[29:30], -v[54:55]
	global_store_dwordx2 v[5:6], v[31:32], off
	global_store_dwordx2 v[27:28], v[29:30], off
	s_and_saveexec_b64 s[26:27], s[4:5]
	s_cbranch_execz .LBB53_30
; %bb.29:                               ;   in Loop: Header=BB53_10 Depth=1
	v_add_u32_e32 v2, v1, v44
	v_lshlrev_b64 v[1:2], 3, v[2:3]
	v_mov_b32_e32 v27, s19
	v_add_co_u32_e32 v1, vcc, s18, v1
	v_addc_co_u32_e32 v2, vcc, v27, v2, vcc
	global_load_dwordx2 v[27:28], v[1:2], off
	global_load_dwordx2 v[29:30], v[7:8], off
	s_waitcnt vmcnt(1)
	v_mul_f64 v[31:32], v[23:24], v[27:28]
	s_waitcnt vmcnt(0)
	v_mul_f64 v[33:34], v[23:24], v[29:30]
	v_fma_f64 v[29:30], v[25:26], v[29:30], v[31:32]
	v_fma_f64 v[27:28], v[25:26], v[27:28], -v[33:34]
	global_store_dwordx2 v[7:8], v[29:30], off
	global_store_dwordx2 v[1:2], v[27:28], off
.LBB53_30:                              ;   in Loop: Header=BB53_10 Depth=1
	s_or_b64 exec, exec, s[26:27]
.LBB53_31:                              ;   in Loop: Header=BB53_10 Depth=1
	v_add_u32_e32 v1, v53, v35
	v_ashrrev_i32_e32 v2, 31, v1
	v_lshlrev_b64 v[1:2], 3, v[1:2]
	v_mov_b32_e32 v27, s34
	v_add_co_u32_e32 v1, vcc, s14, v1
	v_addc_co_u32_e32 v2, vcc, v27, v2, vcc
	global_load_dwordx2 v[27:28], v[1:2], off
	global_load_dwordx2 v[29:30], v[11:12], off
	s_waitcnt vmcnt(1) lgkmcnt(0)
	v_mul_f64 v[31:32], v[23:24], v[27:28]
	s_waitcnt vmcnt(0)
	v_mul_f64 v[33:34], v[23:24], v[29:30]
	v_fma_f64 v[29:30], v[25:26], v[29:30], v[31:32]
	v_fma_f64 v[27:28], v[25:26], v[27:28], -v[33:34]
	global_store_dwordx2 v[11:12], v[29:30], off
	global_store_dwordx2 v[1:2], v[27:28], off
	s_and_saveexec_b64 s[26:27], s[4:5]
	s_cbranch_execz .LBB53_33
; %bb.32:                               ;   in Loop: Header=BB53_10 Depth=1
	v_add_u32_e32 v1, v53, v36
	v_ashrrev_i32_e32 v2, 31, v1
	v_lshlrev_b64 v[1:2], 3, v[1:2]
	v_mov_b32_e32 v27, s34
	v_add_co_u32_e32 v1, vcc, s14, v1
	v_addc_co_u32_e32 v2, vcc, v27, v2, vcc
	global_load_dwordx2 v[27:28], v[1:2], off
	global_load_dwordx2 v[29:30], v[13:14], off
	s_waitcnt vmcnt(1)
	v_mul_f64 v[31:32], v[23:24], v[27:28]
	s_waitcnt vmcnt(0)
	v_mul_f64 v[33:34], v[23:24], v[29:30]
	v_fma_f64 v[29:30], v[25:26], v[29:30], v[31:32]
	v_fma_f64 v[27:28], v[25:26], v[27:28], -v[33:34]
	global_store_dwordx2 v[13:14], v[29:30], off
	global_store_dwordx2 v[1:2], v[27:28], off
.LBB53_33:                              ;   in Loop: Header=BB53_10 Depth=1
	s_or_b64 exec, exec, s[26:27]
	v_mov_b32_e32 v28, v24
	v_mov_b32_e32 v27, v23
.LBB53_34:                              ;   in Loop: Header=BB53_10 Depth=1
	s_or_b64 exec, exec, s[24:25]
	s_waitcnt vmcnt(0)
	s_barrier
	s_and_saveexec_b64 s[24:25], s[8:9]
	s_cbranch_execz .LBB53_37
; %bb.35:                               ;   in Loop: Header=BB53_10 Depth=1
	v_add_u32_e32 v1, v52, v38
	v_ashrrev_i32_e32 v2, 31, v1
	v_lshlrev_b64 v[1:2], 3, v[1:2]
	v_mov_b32_e32 v29, s34
	v_add_co_u32_e32 v1, vcc, s14, v1
	v_addc_co_u32_e32 v2, vcc, v29, v2, vcc
	global_load_dwordx2 v[29:30], v[1:2], off
	global_load_dwordx2 v[31:32], v[15:16], off
	s_waitcnt vmcnt(1)
	v_mul_f64 v[33:34], v[27:28], v[29:30]
	s_waitcnt vmcnt(0)
	v_mul_f64 v[53:54], v[23:24], v[31:32]
	v_fma_f64 v[31:32], v[25:26], v[31:32], v[33:34]
	v_fma_f64 v[29:30], v[25:26], v[29:30], -v[53:54]
	global_store_dwordx2 v[15:16], v[31:32], off
	global_store_dwordx2 v[1:2], v[29:30], off
	s_and_b64 exec, exec, s[4:5]
	s_cbranch_execz .LBB53_37
; %bb.36:                               ;   in Loop: Header=BB53_10 Depth=1
	v_add_u32_e32 v1, v52, v39
	v_ashrrev_i32_e32 v2, 31, v1
	v_lshlrev_b64 v[1:2], 3, v[1:2]
	v_mov_b32_e32 v29, s34
	v_add_co_u32_e32 v1, vcc, s14, v1
	v_addc_co_u32_e32 v2, vcc, v29, v2, vcc
	global_load_dwordx2 v[29:30], v[1:2], off
	global_load_dwordx2 v[31:32], v[17:18], off
	s_waitcnt vmcnt(1)
	v_mul_f64 v[33:34], v[27:28], v[29:30]
	s_waitcnt vmcnt(0)
	v_mul_f64 v[53:54], v[23:24], v[31:32]
	v_fma_f64 v[31:32], v[25:26], v[31:32], v[33:34]
	v_fma_f64 v[29:30], v[25:26], v[29:30], -v[53:54]
	global_store_dwordx2 v[17:18], v[31:32], off
	global_store_dwordx2 v[1:2], v[29:30], off
.LBB53_37:                              ;   in Loop: Header=BB53_10 Depth=1
	s_or_b64 exec, exec, s[24:25]
	s_and_b64 s[8:9], s[0:1], s[6:7]
	s_waitcnt vmcnt(0)
	s_barrier
	s_and_saveexec_b64 s[6:7], s[8:9]
	s_cbranch_execz .LBB53_9
; %bb.38:                               ;   in Loop: Header=BB53_10 Depth=1
	v_mad_u64_u32 v[1:2], s[8:9], v52, s15, v[4:5]
	s_mov_b32 s23, s22
	v_mov_b32_e32 v31, s34
	v_ashrrev_i32_e32 v2, 31, v1
	v_lshlrev_b64 v[1:2], 3, v[1:2]
	v_mov_b32_e32 v30, s23
	v_add_co_u32_e32 v1, vcc, s14, v1
	v_addc_co_u32_e32 v2, vcc, v31, v2, vcc
	v_mov_b32_e32 v29, s22
	global_store_dwordx2 v[1:2], v[29:30], off
	v_add_u32_e32 v1, v52, v37
	v_ashrrev_i32_e32 v2, 31, v1
	v_lshlrev_b64 v[1:2], 3, v[1:2]
	v_add_co_u32_e32 v1, vcc, s14, v1
	v_addc_co_u32_e32 v2, vcc, v31, v2, vcc
	global_store_dwordx2 v[1:2], v[29:30], off
	s_branch .LBB53_9
.LBB53_39:
	s_endpgm
	.section	.rodata,"a",@progbits
	.p2align	6, 0x0
	.amdhsa_kernel _ZN9rocsolver6v33100L21syevj_offd_kernel_orgIddPdEEviiT1_iilT0_PT_PiS7_S7_
		.amdhsa_group_segment_fixed_size 0
		.amdhsa_private_segment_fixed_size 0
		.amdhsa_kernarg_size 328
		.amdhsa_user_sgpr_count 6
		.amdhsa_user_sgpr_private_segment_buffer 1
		.amdhsa_user_sgpr_dispatch_ptr 0
		.amdhsa_user_sgpr_queue_ptr 0
		.amdhsa_user_sgpr_kernarg_segment_ptr 1
		.amdhsa_user_sgpr_dispatch_id 0
		.amdhsa_user_sgpr_flat_scratch_init 0
		.amdhsa_user_sgpr_private_segment_size 0
		.amdhsa_uses_dynamic_stack 0
		.amdhsa_system_sgpr_private_segment_wavefront_offset 0
		.amdhsa_system_sgpr_workgroup_id_x 1
		.amdhsa_system_sgpr_workgroup_id_y 0
		.amdhsa_system_sgpr_workgroup_id_z 1
		.amdhsa_system_sgpr_workgroup_info 0
		.amdhsa_system_vgpr_workitem_id 1
		.amdhsa_next_free_vgpr 59
		.amdhsa_next_free_sgpr 40
		.amdhsa_reserve_vcc 1
		.amdhsa_reserve_flat_scratch 0
		.amdhsa_float_round_mode_32 0
		.amdhsa_float_round_mode_16_64 0
		.amdhsa_float_denorm_mode_32 3
		.amdhsa_float_denorm_mode_16_64 3
		.amdhsa_dx10_clamp 1
		.amdhsa_ieee_mode 1
		.amdhsa_fp16_overflow 0
		.amdhsa_exception_fp_ieee_invalid_op 0
		.amdhsa_exception_fp_denorm_src 0
		.amdhsa_exception_fp_ieee_div_zero 0
		.amdhsa_exception_fp_ieee_overflow 0
		.amdhsa_exception_fp_ieee_underflow 0
		.amdhsa_exception_fp_ieee_inexact 0
		.amdhsa_exception_int_div_zero 0
	.end_amdhsa_kernel
	.section	.text._ZN9rocsolver6v33100L21syevj_offd_kernel_orgIddPdEEviiT1_iilT0_PT_PiS7_S7_,"axG",@progbits,_ZN9rocsolver6v33100L21syevj_offd_kernel_orgIddPdEEviiT1_iilT0_PT_PiS7_S7_,comdat
.Lfunc_end53:
	.size	_ZN9rocsolver6v33100L21syevj_offd_kernel_orgIddPdEEviiT1_iilT0_PT_PiS7_S7_, .Lfunc_end53-_ZN9rocsolver6v33100L21syevj_offd_kernel_orgIddPdEEviiT1_iilT0_PT_PiS7_S7_
                                        ; -- End function
	.set _ZN9rocsolver6v33100L21syevj_offd_kernel_orgIddPdEEviiT1_iilT0_PT_PiS7_S7_.num_vgpr, 59
	.set _ZN9rocsolver6v33100L21syevj_offd_kernel_orgIddPdEEviiT1_iilT0_PT_PiS7_S7_.num_agpr, 0
	.set _ZN9rocsolver6v33100L21syevj_offd_kernel_orgIddPdEEviiT1_iilT0_PT_PiS7_S7_.numbered_sgpr, 40
	.set _ZN9rocsolver6v33100L21syevj_offd_kernel_orgIddPdEEviiT1_iilT0_PT_PiS7_S7_.num_named_barrier, 0
	.set _ZN9rocsolver6v33100L21syevj_offd_kernel_orgIddPdEEviiT1_iilT0_PT_PiS7_S7_.private_seg_size, 0
	.set _ZN9rocsolver6v33100L21syevj_offd_kernel_orgIddPdEEviiT1_iilT0_PT_PiS7_S7_.uses_vcc, 1
	.set _ZN9rocsolver6v33100L21syevj_offd_kernel_orgIddPdEEviiT1_iilT0_PT_PiS7_S7_.uses_flat_scratch, 0
	.set _ZN9rocsolver6v33100L21syevj_offd_kernel_orgIddPdEEviiT1_iilT0_PT_PiS7_S7_.has_dyn_sized_stack, 0
	.set _ZN9rocsolver6v33100L21syevj_offd_kernel_orgIddPdEEviiT1_iilT0_PT_PiS7_S7_.has_recursion, 0
	.set _ZN9rocsolver6v33100L21syevj_offd_kernel_orgIddPdEEviiT1_iilT0_PT_PiS7_S7_.has_indirect_call, 0
	.section	.AMDGPU.csdata,"",@progbits
; Kernel info:
; codeLenInByte = 3252
; TotalNumSgprs: 44
; NumVgprs: 59
; ScratchSize: 0
; MemoryBound: 0
; FloatMode: 240
; IeeeMode: 1
; LDSByteSize: 0 bytes/workgroup (compile time only)
; SGPRBlocks: 5
; VGPRBlocks: 14
; NumSGPRsForWavesPerEU: 44
; NumVGPRsForWavesPerEU: 59
; Occupancy: 4
; WaveLimiterHint : 0
; COMPUTE_PGM_RSRC2:SCRATCH_EN: 0
; COMPUTE_PGM_RSRC2:USER_SGPR: 6
; COMPUTE_PGM_RSRC2:TRAP_HANDLER: 0
; COMPUTE_PGM_RSRC2:TGID_X_EN: 1
; COMPUTE_PGM_RSRC2:TGID_Y_EN: 0
; COMPUTE_PGM_RSRC2:TGID_Z_EN: 1
; COMPUTE_PGM_RSRC2:TIDIG_COMP_CNT: 1
	.section	.text._ZN9rocsolver6v33100L17syevj_offd_kernelIddPdEEviiT1_iilT0_PT_PiS7_S7_i,"axG",@progbits,_ZN9rocsolver6v33100L17syevj_offd_kernelIddPdEEviiT1_iilT0_PT_PiS7_S7_i,comdat
	.globl	_ZN9rocsolver6v33100L17syevj_offd_kernelIddPdEEviiT1_iilT0_PT_PiS7_S7_i ; -- Begin function _ZN9rocsolver6v33100L17syevj_offd_kernelIddPdEEviiT1_iilT0_PT_PiS7_S7_i
	.p2align	8
	.type	_ZN9rocsolver6v33100L17syevj_offd_kernelIddPdEEviiT1_iilT0_PT_PiS7_S7_i,@function
_ZN9rocsolver6v33100L17syevj_offd_kernelIddPdEEviiT1_iilT0_PT_PiS7_S7_i: ; @_ZN9rocsolver6v33100L17syevj_offd_kernelIddPdEEviiT1_iilT0_PT_PiS7_S7_i
; %bb.0:
	s_mov_b32 s24, s7
	s_load_dwordx2 s[26:27], s[4:5], 0x0
	s_load_dword s7, s[4:5], 0x48
	s_waitcnt lgkmcnt(0)
	s_abs_i32 s25, s26
	v_cvt_f32_u32_e32 v2, s25
	s_cmp_ge_u32 s24, s7
	v_rcp_iflag_f32_e32 v2, v2
	v_mul_f32_e32 v2, 0x4f7ffffe, v2
	v_cvt_u32_f32_e32 v2, v2
	v_readfirstlane_b32 s34, v2
	s_cbranch_scc1 .LBB54_82
; %bb.1:
	s_load_dwordx8 s[12:19], s[4:5], 0x18
	v_mov_b32_e32 v4, 0
	v_mov_b32_e32 v5, 0x100000
	v_cvt_f32_u32_e32 v10, s26
	s_load_dwordx4 s[8:11], s[4:5], 0x8
	s_load_dwordx4 s[20:23], s[4:5], 0x38
	s_load_dword s33, s[4:5], 0x50
	s_load_dwordx2 s[30:31], s[4:5], 0x58
	s_waitcnt lgkmcnt(0)
	v_div_scale_f64 v[2:3], s[0:1], s[14:15], s[14:15], v[4:5]
	s_mov_b32 s4, 0
	v_rcp_iflag_f32_e32 v14, v10
	v_mov_b32_e32 v10, s14
	s_mov_b32 s5, 0x100000
	v_mov_b32_e32 v11, s15
	v_div_scale_f64 v[10:11], vcc, s[4:5], v[10:11], s[4:5]
	s_sub_i32 s38, 0, s25
	s_mul_i32 s38, s38, s34
	s_add_i32 s35, s27, -1
	s_mul_hi_u32 s38, s34, s38
	s_ashr_i32 s40, s35, 31
	s_abs_i32 s35, s35
	s_add_i32 s34, s34, s38
	v_rcp_f64_e32 v[8:9], v[2:3]
	s_mul_hi_u32 s34, s35, s34
	s_mul_i32 s38, s34, s25
	s_ashr_i32 s37, s26, 31
	s_sub_i32 s35, s35, s38
	s_xor_b32 s41, s40, s37
	s_add_i32 s42, s34, 1
	s_sub_i32 s4, s35, s25
	s_cmp_ge_u32 s35, s25
	s_cselect_b32 s5, s42, s34
	s_cselect_b32 s4, s4, s35
	s_add_i32 s34, s5, 1
	s_cmp_ge_u32 s4, s25
	s_cselect_b32 s25, s34, s5
	s_xor_b32 s25, s25, s41
	s_sub_i32 s65, s25, s41
	v_fma_f64 v[12:13], -v[2:3], v[8:9], 1.0
	s_mov_b32 s36, s26
	s_add_i32 s25, s65, 1
	s_lshl_b64 s[4:5], s[36:37], 4
	s_lshr_b32 s37, s25, 31
	s_add_i32 s37, s25, s37
	s_and_b32 s37, s37, -2
	s_sub_i32 s37, s25, s37
	v_fma_f64 v[8:9], v[8:9], v[12:13], v[8:9]
	s_add_i32 s25, s37, s25
	s_lshl_b32 s63, s26, 3
	s_lshl_b32 s64, s26, 1
	s_lshr_b32 s37, s25, 31
	s_add_i32 s36, s63, 0
	s_mul_hi_i32 s35, s64, s64
	s_mul_i32 s34, s64, s64
	v_fma_f64 v[12:13], -v[2:3], v[8:9], 1.0
	s_add_i32 s25, s25, s37
	s_lshr_b32 s62, s31, 16
	s_and_b32 s31, s31, 0xffff
	s_add_i32 s66, s36, s63
	s_lshl_b64 s[34:35], s[34:35], 3
	s_ashr_i32 s67, s25, 1
	s_mul_i32 s39, s26, s26
	v_fma_f64 v[8:9], v[8:9], v[12:13], v[8:9]
	s_add_u32 s4, s34, s4
	s_addc_u32 s5, s35, s5
	s_ashr_i32 s41, s10, 31
	s_lshl_b32 s68, s39, 2
	s_mul_i32 s36, s65, s26
	s_cmp_lt_u32 s6, s67
	s_cselect_b64 s[34:35], -1, 0
	v_mul_f64 v[12:13], v[10:11], v[8:9]
	s_sub_i32 s69, s27, s36
	v_mul_f32_e32 v14, 0x4f7ffffe, v14
	s_cmp_lg_u64 s[16:17], 0
	s_mov_b32 s40, s10
	v_cvt_u32_f32_e32 v14, v14
	s_cselect_b64 s[36:37], -1, 0
	s_cmp_gt_i32 s26, 0
	v_fma_f64 v[2:3], -v[2:3], v[12:13], v[10:11]
	s_cselect_b64 s[38:39], -1, 0
	s_ashr_i32 s70, s11, 31
	s_lshl_b64 s[40:41], s[40:41], 3
	s_add_u32 s71, s8, s40
	s_addc_u32 s72, s9, s41
	s_sub_i32 s73, 0, s26
	v_mul_lo_u32 v10, v1, s26
	v_div_fmas_f64 v[8:9], v[2:3], v[8:9], v[12:13]
	v_mul_lo_u32 v2, s73, v14
	v_mov_b32_e32 v6, 0x10001
	v_mov_b32_e32 v7, 0
	s_mov_b64 s[28:29], src_shared_base
	v_mul_hi_u32 v2, v14, v2
	v_lshlrev_b32_e32 v18, 1, v10
	v_cmp_lt_u64_e64 s[4:5], s[4:5], v[6:7]
	s_mul_i32 s8, s26, s62
	v_add_u32_e32 v19, v14, v2
	v_add_u32_e32 v2, s26, v1
	v_mul_lo_u32 v2, s26, v2
	s_mov_b32 s28, 0
	v_cmp_gt_u32_e64 s[0:1], s26, v1
	v_cmp_gt_u32_e64 s[2:3], s26, v0
	v_mov_b32_e32 v3, 0
	v_div_fixup_f64 v[4:5], v[8:9], s[14:15], v[4:5]
	s_mov_b32 s14, 0
	s_mov_b32 s74, s29
	;; [unrolled: 1-line block ×3, first 2 shown]
	s_lshl_b32 s76, s8, 1
	v_lshl_add_u32 v20, v0, 3, 0
	s_lshl_b32 s77, s31, 3
	v_add_u32_e32 v21, v0, v18
	v_lshl_add_u32 v22, v2, 1, v0
	s_movk_i32 s78, 0x204
	s_brev_b32 s15, 8
	v_mov_b32_e32 v23, 0x260
	v_mov_b32_e32 v24, 0x3ff00000
	;; [unrolled: 1-line block ×8, first 2 shown]
	s_branch .LBB54_3
.LBB54_2:                               ;   in Loop: Header=BB54_3 Depth=1
	s_add_i32 s24, s24, s30
	s_cmp_ge_u32 s24, s7
	s_cbranch_scc1 .LBB54_82
.LBB54_3:                               ; =>This Loop Header: Depth=1
                                        ;     Child Loop BB54_8 Depth 2
                                        ;       Child Loop BB54_16 Depth 3
                                        ;         Child Loop BB54_18 Depth 4
                                        ;       Child Loop BB54_23 Depth 3
                                        ;         Child Loop BB54_26 Depth 4
                                        ;           Child Loop BB54_33 Depth 5
                                        ;         Child Loop BB54_48 Depth 4
                                        ;           Child Loop BB54_51 Depth 5
	;; [unrolled: 2-line block ×4, first 2 shown]
                                        ;       Child Loop BB54_79 Depth 3
                                        ;         Child Loop BB54_81 Depth 4
	s_mov_b32 s25, s28
	s_lshl_b64 s[8:9], s[24:25], 2
	s_add_u32 s8, s22, s8
	s_addc_u32 s9, s23, s9
	global_load_dword v2, v3, s[8:9] offset:4
	s_waitcnt vmcnt(0)
	v_cmp_ne_u32_e32 vcc, 0, v2
	s_cbranch_vccnz .LBB54_2
; %bb.4:                                ;   in Loop: Header=BB54_3 Depth=1
	s_andn2_b64 vcc, exec, s[34:35]
	s_cbranch_vccnz .LBB54_2
; %bb.5:                                ;   in Loop: Header=BB54_3 Depth=1
	s_mul_i32 s8, s13, s24
	s_mul_hi_u32 s9, s12, s24
	s_add_i32 s9, s9, s8
	s_mul_i32 s8, s12, s24
	s_lshl_b64 s[8:9], s[8:9], 3
	s_add_u32 s25, s71, s8
	s_addc_u32 s79, s72, s9
	s_mul_i32 s80, s24, s67
	s_mov_b32 s40, s6
	s_branch .LBB54_8
.LBB54_6:                               ;   in Loop: Header=BB54_8 Depth=2
	s_or_b64 exec, exec, s[10:11]
	s_waitcnt vmcnt(0)
	s_barrier
.LBB54_7:                               ;   in Loop: Header=BB54_8 Depth=2
	s_add_i32 s40, s40, s33
	s_cmp_lt_u32 s40, s67
	s_cbranch_scc0 .LBB54_2
.LBB54_8:                               ;   Parent Loop BB54_3 Depth=1
                                        ; =>  This Loop Header: Depth=2
                                        ;       Child Loop BB54_16 Depth 3
                                        ;         Child Loop BB54_18 Depth 4
                                        ;       Child Loop BB54_23 Depth 3
                                        ;         Child Loop BB54_26 Depth 4
                                        ;           Child Loop BB54_33 Depth 5
                                        ;         Child Loop BB54_48 Depth 4
                                        ;           Child Loop BB54_51 Depth 5
	;; [unrolled: 2-line block ×4, first 2 shown]
                                        ;       Child Loop BB54_79 Depth 3
                                        ;         Child Loop BB54_81 Depth 4
	s_mov_b32 s41, s28
	s_lshl_b64 s[8:9], s[40:41], 2
	s_add_u32 s10, s18, s8
	s_addc_u32 s11, s19, s9
	s_add_u32 s8, s20, s8
	s_addc_u32 s9, s21, s9
	global_load_dword v2, v3, s[10:11]
	global_load_dword v6, v3, s[8:9]
	s_waitcnt vmcnt(1)
	v_readfirstlane_b32 s8, v2
	s_waitcnt vmcnt(0)
	v_readfirstlane_b32 s9, v6
	s_max_i32 s82, s8, s9
	s_cmp_gt_i32 s82, s65
	s_cbranch_scc1 .LBB54_7
; %bb.9:                                ;   in Loop: Header=BB54_8 Depth=2
	s_andn2_b64 vcc, exec, s[36:37]
	s_cbranch_vccnz .LBB54_11
; %bb.10:                               ;   in Loop: Header=BB54_8 Depth=2
	s_add_i32 s8, s40, s80
	s_mul_i32 s8, s68, s8
	s_mov_b32 s9, s28
	s_lshl_b64 s[8:9], s[8:9], 3
	s_add_u32 s42, s16, s8
	s_addc_u32 s43, s17, s9
	s_branch .LBB54_12
.LBB54_11:                              ;   in Loop: Header=BB54_8 Depth=2
	s_mov_b64 s[42:43], 0
.LBB54_12:                              ;   in Loop: Header=BB54_8 Depth=2
	v_min_i32_e32 v6, v6, v2
	v_mov_b32_e32 v2, s26
	v_mov_b32_e32 v7, s69
	v_cmp_eq_u32_e32 vcc, s65, v6
	s_cmp_eq_u32 s82, s65
	v_cndmask_b32_e32 v2, v2, v7, vcc
	s_cselect_b32 s8, s69, s26
	v_add_u32_e32 v31, s8, v2
	s_and_b64 s[8:9], s[4:5], exec
	s_cselect_b32 s41, s74, s43
	s_cselect_b32 s81, s66, s42
	s_cmp_lg_u64 s[42:43], 0
	s_cselect_b64 s[44:45], -1, 0
	s_cmp_eq_u64 s[42:43], 0
	v_cmp_lt_u32_e32 vcc, v1, v31
	s_cbranch_scc1 .LBB54_20
; %bb.13:                               ;   in Loop: Header=BB54_8 Depth=2
	s_barrier
	s_and_saveexec_b64 s[10:11], vcc
	s_cbranch_execz .LBB54_19
; %bb.14:                               ;   in Loop: Header=BB54_8 Depth=2
	v_cmp_lt_u32_e32 vcc, v0, v31
	s_mov_b64 s[46:47], 0
	v_mov_b32_e32 v7, v18
	v_mov_b32_e32 v8, v1
	s_branch .LBB54_16
.LBB54_15:                              ;   in Loop: Header=BB54_16 Depth=3
	s_or_b64 exec, exec, s[48:49]
	v_add_u32_e32 v8, s62, v8
	v_cmp_ge_u32_e64 s[8:9], v8, v31
	s_or_b64 s[46:47], s[8:9], s[46:47]
	v_add_u32_e32 v7, s76, v7
	s_andn2_b64 exec, exec, s[46:47]
	s_cbranch_execz .LBB54_19
.LBB54_16:                              ;   Parent Loop BB54_3 Depth=1
                                        ;     Parent Loop BB54_8 Depth=2
                                        ; =>    This Loop Header: Depth=3
                                        ;         Child Loop BB54_18 Depth 4
	s_and_saveexec_b64 s[48:49], vcc
	s_cbranch_execz .LBB54_15
; %bb.17:                               ;   in Loop: Header=BB54_16 Depth=3
	s_mov_b64 s[50:51], 0
	v_mov_b32_e32 v9, v0
.LBB54_18:                              ;   Parent Loop BB54_3 Depth=1
                                        ;     Parent Loop BB54_8 Depth=2
                                        ;       Parent Loop BB54_16 Depth=3
                                        ; =>      This Inner Loop Header: Depth=4
	v_add_u32_e32 v2, v7, v9
	v_cmp_eq_u32_e64 s[8:9], v8, v9
	v_add_u32_e32 v9, s31, v9
	v_lshlrev_b64 v[12:13], 3, v[2:3]
	v_cndmask_b32_e64 v11, 0, v24, s[8:9]
	v_cmp_ge_u32_e64 s[8:9], v9, v31
	v_mov_b32_e32 v14, s41
	s_or_b64 s[50:51], s[8:9], s[50:51]
	v_add_co_u32_e64 v12, s[8:9], s81, v12
	v_mov_b32_e32 v10, v3
	v_addc_co_u32_e64 v13, s[8:9], v14, v13, s[8:9]
	flat_store_dwordx2 v[12:13], v[10:11]
	s_andn2_b64 exec, exec, s[50:51]
	s_cbranch_execnz .LBB54_18
	s_branch .LBB54_15
.LBB54_19:                              ;   in Loop: Header=BB54_8 Depth=2
	s_or_b64 exec, exec, s[10:11]
	s_waitcnt vmcnt(0) lgkmcnt(0)
	s_barrier
.LBB54_20:                              ;   in Loop: Header=BB54_8 Depth=2
	s_andn2_b64 vcc, exec, s[38:39]
	s_cbranch_vccnz .LBB54_75
; %bb.21:                               ;   in Loop: Header=BB54_8 Depth=2
	v_mul_lo_u32 v32, v6, s26
	s_mul_i32 s82, s82, s26
	s_mov_b32 s83, 0
	v_mov_b32_e32 v34, v0
	v_add_u32_e32 v33, v0, v32
	s_branch .LBB54_23
.LBB54_22:                              ;   in Loop: Header=BB54_23 Depth=3
	s_or_b64 exec, exec, s[10:11]
	s_add_i32 s83, s83, 1
	s_cmp_eq_u32 s83, s26
	v_add_u32_e32 v34, 1, v34
	s_cbranch_scc1 .LBB54_75
.LBB54_23:                              ;   Parent Loop BB54_3 Depth=1
                                        ;     Parent Loop BB54_8 Depth=2
                                        ; =>    This Loop Header: Depth=3
                                        ;         Child Loop BB54_26 Depth 4
                                        ;           Child Loop BB54_33 Depth 5
                                        ;         Child Loop BB54_48 Depth 4
                                        ;           Child Loop BB54_51 Depth 5
	;; [unrolled: 2-line block ×4, first 2 shown]
	s_and_saveexec_b64 s[46:47], s[0:1]
	s_cbranch_execz .LBB54_45
; %bb.24:                               ;   in Loop: Header=BB54_23 Depth=3
	s_mov_b64 s[48:49], 0
	v_mov_b32_e32 v35, v1
	s_branch .LBB54_26
.LBB54_25:                              ;   in Loop: Header=BB54_26 Depth=4
	s_or_b64 exec, exec, s[50:51]
	v_add_u32_e32 v35, s62, v35
	v_cmp_le_u32_e32 vcc, s26, v35
	s_or_b64 s[48:49], vcc, s[48:49]
	s_andn2_b64 exec, exec, s[48:49]
	s_cbranch_execz .LBB54_45
.LBB54_26:                              ;   Parent Loop BB54_3 Depth=1
                                        ;     Parent Loop BB54_8 Depth=2
                                        ;       Parent Loop BB54_23 Depth=3
                                        ; =>      This Loop Header: Depth=4
                                        ;           Child Loop BB54_33 Depth 5
	s_and_saveexec_b64 s[50:51], s[2:3]
	s_cbranch_execz .LBB54_25
; %bb.27:                               ;   in Loop: Header=BB54_26 Depth=4
	s_mov_b32 s29, 0
	v_cmp_eq_u32_e64 s[8:9], 0, v35
	s_mov_b64 s[52:53], 0
	v_mov_b32_e32 v36, v20
	v_mov_b32_e32 v37, v34
	s_branch .LBB54_33
.LBB54_28:                              ;   in Loop: Header=BB54_33 Depth=5
	s_or_b64 exec, exec, s[60:61]
.LBB54_29:                              ;   in Loop: Header=BB54_33 Depth=5
	s_or_b64 exec, exec, s[58:59]
.LBB54_30:                              ;   in Loop: Header=BB54_33 Depth=5
	s_or_b64 exec, exec, s[10:11]
	v_mul_f64 v[8:9], v[6:7], v[14:15]
	v_and_b32_e32 v13, 0x7fffffff, v7
	v_mov_b32_e32 v12, v6
	v_div_scale_f64 v[14:15], s[10:11], v[12:13], v[12:13], v[8:9]
	v_div_scale_f64 v[12:13], vcc, v[8:9], v[12:13], v[8:9]
	v_rcp_f64_e32 v[16:17], v[14:15]
	v_fma_f64 v[38:39], -v[14:15], v[16:17], 1.0
	v_fma_f64 v[16:17], v[16:17], v[38:39], v[16:17]
	v_fma_f64 v[38:39], -v[14:15], v[16:17], 1.0
	v_fma_f64 v[16:17], v[16:17], v[38:39], v[16:17]
	v_mul_f64 v[38:39], v[12:13], v[16:17]
	v_fma_f64 v[12:13], -v[14:15], v[38:39], v[12:13]
	v_div_fmas_f64 v[12:13], v[12:13], v[16:17], v[38:39]
	v_div_fixup_f64 v[14:15], v[12:13], |v[6:7]|, v[8:9]
.LBB54_31:                              ;   in Loop: Header=BB54_33 Depth=5
	s_or_b64 exec, exec, s[56:57]
	v_add_u32_e32 v2, s63, v36
	ds_write_b64 v36, v[10:11]
	ds_write_b64 v2, v[14:15]
.LBB54_32:                              ;   in Loop: Header=BB54_33 Depth=5
	s_or_b64 exec, exec, s[54:55]
	s_add_i32 s29, s29, s31
	v_add_u32_e32 v2, s29, v0
	v_cmp_le_u32_e32 vcc, s26, v2
	v_add_u32_e32 v37, s31, v37
	s_or_b64 s[52:53], vcc, s[52:53]
	v_add_u32_e32 v36, s77, v36
	s_andn2_b64 exec, exec, s[52:53]
	s_cbranch_execz .LBB54_25
.LBB54_33:                              ;   Parent Loop BB54_3 Depth=1
                                        ;     Parent Loop BB54_8 Depth=2
                                        ;       Parent Loop BB54_23 Depth=3
                                        ;         Parent Loop BB54_26 Depth=4
                                        ; =>        This Inner Loop Header: Depth=5
	v_mul_hi_u32 v6, v19, v37
	v_add_u32_e32 v8, s29, v0
	v_add_u32_e32 v2, s29, v33
	v_mul_lo_u32 v7, s26, v6
	v_not_b32_e32 v6, v6
	v_mul_lo_u32 v6, s26, v6
	v_sub_u32_e32 v7, s83, v7
	v_add_u32_e32 v7, v8, v7
	v_add3_u32 v6, s83, v6, v8
	v_cmp_le_u32_e32 vcc, s26, v7
	v_cndmask_b32_e32 v6, v7, v6, vcc
	v_subrev_u32_e32 v7, s26, v6
	v_cmp_le_u32_e32 vcc, s26, v6
	v_cndmask_b32_e32 v6, v6, v7, vcc
	v_add_u32_e32 v8, s82, v6
	v_cmp_gt_u32_e32 vcc, s27, v2
	s_and_b64 s[10:11], s[8:9], vcc
	v_cmp_gt_u32_e32 vcc, s27, v8
	s_and_b64 s[10:11], s[10:11], vcc
	s_and_saveexec_b64 s[54:55], s[10:11]
	s_cbranch_execz .LBB54_32
; %bb.34:                               ;   in Loop: Header=BB54_33 Depth=5
	v_mad_u64_u32 v[6:7], s[10:11], v8, s75, 0
	v_lshlrev_b64 v[12:13], 3, v[2:3]
	v_mov_b32_e32 v14, 0
	v_mad_u64_u32 v[9:10], s[10:11], v8, s70, v[7:8]
	v_mov_b32_e32 v10, s79
	v_mov_b32_e32 v15, 0
	;; [unrolled: 1-line block ×3, first 2 shown]
	v_lshlrev_b64 v[6:7], 3, v[6:7]
	v_add_co_u32_e32 v16, vcc, s25, v6
	v_addc_co_u32_e32 v17, vcc, v10, v7, vcc
	v_add_co_u32_e32 v6, vcc, v16, v12
	v_addc_co_u32_e32 v7, vcc, v17, v13, vcc
	global_load_dwordx2 v[6:7], v[6:7], off
	s_waitcnt vmcnt(0)
	v_mul_f64 v[9:10], v[6:7], v[6:7]
	v_cmp_nlt_f64_e32 vcc, v[9:10], v[4:5]
	v_mov_b32_e32 v10, 0
	v_mov_b32_e32 v11, 0x3ff00000
	s_and_saveexec_b64 s[56:57], vcc
	s_cbranch_execz .LBB54_31
; %bb.35:                               ;   in Loop: Header=BB54_33 Depth=5
	v_mad_u64_u32 v[10:11], s[10:11], v2, s75, 0
	v_mov_b32_e32 v9, v3
	v_lshlrev_b64 v[8:9], 3, v[8:9]
	v_mad_u64_u32 v[14:15], s[10:11], v2, s70, v[11:12]
	v_add_co_u32_e32 v8, vcc, v16, v8
	v_mov_b32_e32 v11, v14
	v_lshlrev_b64 v[10:11], 3, v[10:11]
	v_addc_co_u32_e32 v9, vcc, v17, v9, vcc
	v_mov_b32_e32 v2, s79
	v_add_co_u32_e32 v10, vcc, s25, v10
	v_addc_co_u32_e32 v2, vcc, v2, v11, vcc
	v_add_co_u32_e32 v10, vcc, v10, v12
	v_addc_co_u32_e32 v11, vcc, v2, v13, vcc
	global_load_dwordx2 v[12:13], v[8:9], off
	s_nop 0
	global_load_dwordx2 v[10:11], v[10:11], off
	v_add_f64 v[8:9], |v[6:7]|, |v[6:7]|
	v_cmp_class_f64_e64 s[58:59], v[8:9], s78
	s_waitcnt vmcnt(0)
	v_add_f64 v[12:13], v[12:13], -v[10:11]
	v_max_f64 v[10:11], |v[12:13]|, |v[8:9]|
	v_cmp_ngt_f64_e32 vcc, 0, v[12:13]
	v_cmp_class_f64_e64 s[60:61], v[12:13], s78
	v_frexp_exp_i32_f64_e32 v2, v[10:11]
	v_sub_u32_e32 v14, 0, v2
	v_ldexp_f64 v[10:11], |v[8:9]|, v14
	v_ldexp_f64 v[14:15], |v[12:13]|, v14
	v_mul_f64 v[10:11], v[10:11], v[10:11]
	v_fma_f64 v[10:11], v[14:15], v[14:15], v[10:11]
	v_rsq_f64_e32 v[14:15], v[10:11]
	v_cmp_eq_f64_e64 s[10:11], 0, v[10:11]
	v_mul_f64 v[16:17], v[10:11], v[14:15]
	v_mul_f64 v[14:15], v[14:15], 0.5
	v_fma_f64 v[38:39], -v[14:15], v[16:17], 0.5
	v_fma_f64 v[16:17], v[16:17], v[38:39], v[16:17]
	v_fma_f64 v[14:15], v[14:15], v[38:39], v[14:15]
	v_fma_f64 v[38:39], -v[16:17], v[16:17], v[10:11]
	v_fma_f64 v[14:15], v[38:39], v[14:15], v[16:17]
                                        ; implicit-def: $vgpr16_vgpr17
	v_cndmask_b32_e64 v11, v15, v11, s[10:11]
	v_cndmask_b32_e64 v10, v14, v10, s[10:11]
	s_and_saveexec_b64 s[10:11], vcc
	s_xor_b64 s[10:11], exec, s[10:11]
	s_cbranch_execz .LBB54_37
; %bb.36:                               ;   in Loop: Header=BB54_33 Depth=5
	v_ldexp_f64 v[10:11], v[10:11], v2
	v_cmp_o_f64_e32 vcc, v[12:13], v[8:9]
	v_cndmask_b32_e32 v2, 0, v10, vcc
	v_cndmask_b32_e32 v10, v25, v11, vcc
	s_or_b64 vcc, s[58:59], s[60:61]
	v_cndmask_b32_e32 v17, v10, v26, vcc
	v_cndmask_b32_e64 v16, v2, 0, vcc
                                        ; implicit-def: $vgpr10_vgpr11
                                        ; implicit-def: $vgpr2
.LBB54_37:                              ;   in Loop: Header=BB54_33 Depth=5
	s_andn2_saveexec_b64 s[10:11], s[10:11]
	s_cbranch_execz .LBB54_39
; %bb.38:                               ;   in Loop: Header=BB54_33 Depth=5
	v_ldexp_f64 v[10:11], -v[10:11], v2
	v_cmp_o_f64_e32 vcc, v[8:9], v[8:9]
	v_cndmask_b32_e32 v2, 0, v10, vcc
	v_cndmask_b32_e32 v10, v27, v11, vcc
	s_or_b64 vcc, s[58:59], s[60:61]
	v_cndmask_b32_e32 v17, v10, v28, vcc
	v_cndmask_b32_e64 v16, v2, 0, vcc
.LBB54_39:                              ;   in Loop: Header=BB54_33 Depth=5
	s_or_b64 exec, exec, s[10:11]
	v_cmp_neq_f64_e32 vcc, 0, v[8:9]
	v_mov_b32_e32 v14, 0
	v_mov_b32_e32 v10, 0
	;; [unrolled: 1-line block ×4, first 2 shown]
	s_and_saveexec_b64 s[10:11], vcc
	s_cbranch_execz .LBB54_30
; %bb.40:                               ;   in Loop: Header=BB54_33 Depth=5
	v_add_f64 v[12:13], v[12:13], v[16:17]
	v_mov_b32_e32 v10, 0
	v_mov_b32_e32 v14, 0
	;; [unrolled: 1-line block ×4, first 2 shown]
	v_cmp_neq_f64_e32 vcc, 0, v[12:13]
	s_and_saveexec_b64 s[58:59], vcc
	s_cbranch_execz .LBB54_29
; %bb.41:                               ;   in Loop: Header=BB54_33 Depth=5
	v_cmp_ngt_f64_e64 s[60:61], |v[8:9]|, |v[12:13]|
                                        ; implicit-def: $vgpr10_vgpr11
                                        ; implicit-def: $vgpr14_vgpr15
	s_and_saveexec_b64 s[84:85], s[60:61]
	s_xor_b64 s[60:61], exec, s[84:85]
	s_cbranch_execz .LBB54_43
; %bb.42:                               ;   in Loop: Header=BB54_33 Depth=5
	v_div_scale_f64 v[10:11], s[84:85], v[12:13], v[12:13], -v[8:9]
	v_rcp_f64_e32 v[14:15], v[10:11]
	v_fma_f64 v[16:17], -v[10:11], v[14:15], 1.0
	v_fma_f64 v[14:15], v[14:15], v[16:17], v[14:15]
	v_div_scale_f64 v[16:17], vcc, -v[8:9], v[12:13], -v[8:9]
	v_fma_f64 v[38:39], -v[10:11], v[14:15], 1.0
	v_fma_f64 v[14:15], v[14:15], v[38:39], v[14:15]
	v_mul_f64 v[38:39], v[16:17], v[14:15]
	v_fma_f64 v[10:11], -v[10:11], v[38:39], v[16:17]
	v_div_fmas_f64 v[10:11], v[10:11], v[14:15], v[38:39]
	v_div_fixup_f64 v[8:9], v[10:11], v[12:13], -v[8:9]
	v_fma_f64 v[10:11], v[8:9], v[8:9], 1.0
	v_cmp_gt_f64_e32 vcc, s[14:15], v[10:11]
	v_cndmask_b32_e32 v2, 0, v29, vcc
	v_ldexp_f64 v[10:11], v[10:11], v2
	v_cndmask_b32_e32 v2, 0, v30, vcc
	v_rsq_f64_e32 v[12:13], v[10:11]
	v_cmp_class_f64_e32 vcc, v[10:11], v23
	v_mul_f64 v[14:15], v[10:11], v[12:13]
	v_mul_f64 v[12:13], v[12:13], 0.5
	v_fma_f64 v[16:17], -v[12:13], v[14:15], 0.5
	v_fma_f64 v[14:15], v[14:15], v[16:17], v[14:15]
	v_fma_f64 v[12:13], v[12:13], v[16:17], v[12:13]
	v_fma_f64 v[16:17], -v[14:15], v[14:15], v[10:11]
	v_fma_f64 v[14:15], v[16:17], v[12:13], v[14:15]
	v_fma_f64 v[16:17], -v[14:15], v[14:15], v[10:11]
	v_fma_f64 v[12:13], v[16:17], v[12:13], v[14:15]
	v_ldexp_f64 v[12:13], v[12:13], v2
	v_cndmask_b32_e32 v11, v13, v11, vcc
	v_cndmask_b32_e32 v10, v12, v10, vcc
	v_div_scale_f64 v[12:13], s[84:85], v[10:11], v[10:11], 1.0
	v_div_scale_f64 v[38:39], vcc, 1.0, v[10:11], 1.0
	v_rcp_f64_e32 v[14:15], v[12:13]
	v_fma_f64 v[16:17], -v[12:13], v[14:15], 1.0
	v_fma_f64 v[14:15], v[14:15], v[16:17], v[14:15]
	v_fma_f64 v[16:17], -v[12:13], v[14:15], 1.0
	v_fma_f64 v[14:15], v[14:15], v[16:17], v[14:15]
	v_mul_f64 v[16:17], v[38:39], v[14:15]
	v_fma_f64 v[12:13], -v[12:13], v[16:17], v[38:39]
	v_div_fmas_f64 v[12:13], v[12:13], v[14:15], v[16:17]
	v_div_fixup_f64 v[10:11], v[12:13], v[10:11], 1.0
                                        ; implicit-def: $vgpr12_vgpr13
	v_mul_f64 v[14:15], v[8:9], v[10:11]
                                        ; implicit-def: $vgpr8_vgpr9
.LBB54_43:                              ;   in Loop: Header=BB54_33 Depth=5
	s_andn2_saveexec_b64 s[60:61], s[60:61]
	s_cbranch_execz .LBB54_28
; %bb.44:                               ;   in Loop: Header=BB54_33 Depth=5
	v_div_scale_f64 v[10:11], s[84:85], v[8:9], v[8:9], -v[12:13]
	v_rcp_f64_e32 v[14:15], v[10:11]
	v_fma_f64 v[16:17], -v[10:11], v[14:15], 1.0
	v_fma_f64 v[14:15], v[14:15], v[16:17], v[14:15]
	v_div_scale_f64 v[16:17], vcc, -v[12:13], v[8:9], -v[12:13]
	v_fma_f64 v[38:39], -v[10:11], v[14:15], 1.0
	v_fma_f64 v[14:15], v[14:15], v[38:39], v[14:15]
	v_mul_f64 v[38:39], v[16:17], v[14:15]
	v_fma_f64 v[10:11], -v[10:11], v[38:39], v[16:17]
	v_div_fmas_f64 v[10:11], v[10:11], v[14:15], v[38:39]
	v_div_fixup_f64 v[8:9], v[10:11], v[8:9], -v[12:13]
	v_fma_f64 v[10:11], v[8:9], v[8:9], 1.0
	v_cmp_gt_f64_e32 vcc, s[14:15], v[10:11]
	v_cndmask_b32_e32 v2, 0, v29, vcc
	v_ldexp_f64 v[10:11], v[10:11], v2
	v_cndmask_b32_e32 v2, 0, v30, vcc
	v_rsq_f64_e32 v[12:13], v[10:11]
	v_cmp_class_f64_e32 vcc, v[10:11], v23
	v_mul_f64 v[14:15], v[10:11], v[12:13]
	v_mul_f64 v[12:13], v[12:13], 0.5
	v_fma_f64 v[16:17], -v[12:13], v[14:15], 0.5
	v_fma_f64 v[14:15], v[14:15], v[16:17], v[14:15]
	v_fma_f64 v[12:13], v[12:13], v[16:17], v[12:13]
	v_fma_f64 v[16:17], -v[14:15], v[14:15], v[10:11]
	v_fma_f64 v[14:15], v[16:17], v[12:13], v[14:15]
	v_fma_f64 v[16:17], -v[14:15], v[14:15], v[10:11]
	v_fma_f64 v[12:13], v[16:17], v[12:13], v[14:15]
	v_ldexp_f64 v[12:13], v[12:13], v2
	v_cndmask_b32_e32 v11, v13, v11, vcc
	v_cndmask_b32_e32 v10, v12, v10, vcc
	v_div_scale_f64 v[12:13], s[84:85], v[10:11], v[10:11], 1.0
	v_div_scale_f64 v[38:39], vcc, 1.0, v[10:11], 1.0
	v_rcp_f64_e32 v[14:15], v[12:13]
	v_fma_f64 v[16:17], -v[12:13], v[14:15], 1.0
	v_fma_f64 v[14:15], v[14:15], v[16:17], v[14:15]
	v_fma_f64 v[16:17], -v[12:13], v[14:15], 1.0
	v_fma_f64 v[14:15], v[14:15], v[16:17], v[14:15]
	v_mul_f64 v[16:17], v[38:39], v[14:15]
	v_fma_f64 v[12:13], -v[12:13], v[16:17], v[38:39]
	v_div_fmas_f64 v[12:13], v[12:13], v[14:15], v[16:17]
	v_div_fixup_f64 v[14:15], v[12:13], v[10:11], 1.0
	v_mul_f64 v[10:11], v[8:9], v[14:15]
	s_branch .LBB54_28
.LBB54_45:                              ;   in Loop: Header=BB54_23 Depth=3
	s_or_b64 exec, exec, s[46:47]
	s_waitcnt vmcnt(0) lgkmcnt(0)
	s_barrier
	s_and_saveexec_b64 s[10:11], s[0:1]
	s_cbranch_execz .LBB54_58
; %bb.46:                               ;   in Loop: Header=BB54_23 Depth=3
	s_mov_b64 s[46:47], 0
	v_mov_b32_e32 v14, v22
	v_mov_b32_e32 v15, v21
	;; [unrolled: 1-line block ×3, first 2 shown]
	s_branch .LBB54_48
.LBB54_47:                              ;   in Loop: Header=BB54_48 Depth=4
	s_or_b64 exec, exec, s[48:49]
	v_add_u32_e32 v16, s62, v16
	v_cmp_le_u32_e32 vcc, s26, v16
	v_add_u32_e32 v15, s76, v15
	s_or_b64 s[46:47], vcc, s[46:47]
	v_add_u32_e32 v14, s76, v14
	s_andn2_b64 exec, exec, s[46:47]
	s_cbranch_execz .LBB54_58
.LBB54_48:                              ;   Parent Loop BB54_3 Depth=1
                                        ;     Parent Loop BB54_8 Depth=2
                                        ;       Parent Loop BB54_23 Depth=3
                                        ; =>      This Loop Header: Depth=4
                                        ;           Child Loop BB54_51 Depth 5
	s_and_saveexec_b64 s[48:49], s[2:3]
	s_cbranch_execz .LBB54_47
; %bb.49:                               ;   in Loop: Header=BB54_48 Depth=4
	v_add_u32_e32 v6, s26, v16
	v_mul_lo_u32 v17, v16, s64
	v_mul_lo_u32 v35, v6, s64
	v_add_u32_e32 v2, v16, v32
	v_add_u32_e32 v8, s82, v16
	v_mov_b32_e32 v9, v3
	v_cmp_gt_u32_e64 s[8:9], s27, v8
	v_lshlrev_b64 v[6:7], 3, v[2:3]
	v_lshlrev_b64 v[8:9], 3, v[8:9]
	s_mov_b32 s29, 0
	s_mov_b64 s[50:51], 0
	v_mov_b32_e32 v36, v20
	v_mov_b32_e32 v37, v34
	s_branch .LBB54_51
.LBB54_50:                              ;   in Loop: Header=BB54_51 Depth=5
	s_or_b64 exec, exec, s[52:53]
	s_add_i32 s29, s29, s31
	v_add_u32_e32 v2, s29, v0
	v_cmp_le_u32_e32 vcc, s26, v2
	v_add_u32_e32 v37, s31, v37
	s_or_b64 s[50:51], vcc, s[50:51]
	v_add_u32_e32 v36, s77, v36
	s_andn2_b64 exec, exec, s[50:51]
	s_cbranch_execz .LBB54_47
.LBB54_51:                              ;   Parent Loop BB54_3 Depth=1
                                        ;     Parent Loop BB54_8 Depth=2
                                        ;       Parent Loop BB54_23 Depth=3
                                        ;         Parent Loop BB54_48 Depth=4
                                        ; =>        This Inner Loop Header: Depth=5
	v_mul_hi_u32 v2, v19, v37
	v_add_u32_e32 v11, s29, v0
	v_add_u32_e32 v39, s29, v33
	v_mul_lo_u32 v10, s26, v2
	v_not_b32_e32 v2, v2
	v_mul_lo_u32 v2, s26, v2
	v_sub_u32_e32 v10, s83, v10
	v_add_u32_e32 v10, v11, v10
	v_add3_u32 v2, s83, v2, v11
	v_cmp_le_u32_e32 vcc, s26, v10
	v_cndmask_b32_e32 v2, v10, v2, vcc
	v_subrev_u32_e32 v10, s26, v2
	v_cmp_le_u32_e32 vcc, s26, v2
	v_cndmask_b32_e32 v2, v2, v10, vcc
	v_add_u32_e32 v38, s82, v2
	v_max_u32_e32 v10, v39, v38
	v_cmp_gt_u32_e32 vcc, s27, v10
	s_and_saveexec_b64 s[52:53], vcc
	s_cbranch_execz .LBB54_50
; %bb.52:                               ;   in Loop: Header=BB54_51 Depth=5
	v_add_u32_e32 v12, s63, v36
	ds_read_b64 v[10:11], v36
	ds_read_b64 v[12:13], v12
	s_andn2_b64 vcc, exec, s[44:45]
	s_cbranch_vccnz .LBB54_56
; %bb.53:                               ;   in Loop: Header=BB54_51 Depth=5
	v_add_u32_e32 v40, s26, v2
	v_add_u32_e32 v2, s29, v15
	v_lshlrev_b64 v[41:42], 3, v[2:3]
	v_mov_b32_e32 v2, s41
	v_add_co_u32_e32 v41, vcc, s81, v41
	v_addc_co_u32_e32 v42, vcc, v2, v42, vcc
	v_add_u32_e32 v2, v40, v17
	v_lshlrev_b64 v[43:44], 3, v[2:3]
	v_mov_b32_e32 v2, s41
	v_add_co_u32_e32 v43, vcc, s81, v43
	v_addc_co_u32_e32 v44, vcc, v2, v44, vcc
	flat_load_dwordx2 v[45:46], v[43:44]
	flat_load_dwordx2 v[47:48], v[41:42]
	s_waitcnt vmcnt(0) lgkmcnt(0)
	v_mul_f64 v[49:50], v[12:13], v[45:46]
	v_mul_f64 v[51:52], v[12:13], v[47:48]
	v_fma_f64 v[47:48], v[10:11], v[47:48], v[49:50]
	v_fma_f64 v[45:46], v[10:11], v[45:46], -v[51:52]
	flat_store_dwordx2 v[41:42], v[47:48]
	flat_store_dwordx2 v[43:44], v[45:46]
	s_and_saveexec_b64 s[54:55], s[8:9]
	s_cbranch_execz .LBB54_55
; %bb.54:                               ;   in Loop: Header=BB54_51 Depth=5
	v_add_u32_e32 v2, s29, v14
	v_lshlrev_b64 v[41:42], 3, v[2:3]
	v_mov_b32_e32 v2, s41
	v_add_co_u32_e32 v41, vcc, s81, v41
	v_addc_co_u32_e32 v42, vcc, v2, v42, vcc
	v_add_u32_e32 v2, v40, v35
	v_lshlrev_b64 v[43:44], 3, v[2:3]
	v_mov_b32_e32 v2, s41
	v_add_co_u32_e32 v43, vcc, s81, v43
	v_addc_co_u32_e32 v44, vcc, v2, v44, vcc
	flat_load_dwordx2 v[45:46], v[43:44]
	flat_load_dwordx2 v[47:48], v[41:42]
	s_waitcnt vmcnt(0) lgkmcnt(0)
	v_mul_f64 v[49:50], v[12:13], v[45:46]
	v_mul_f64 v[51:52], v[12:13], v[47:48]
	v_fma_f64 v[47:48], v[10:11], v[47:48], v[49:50]
	v_fma_f64 v[45:46], v[10:11], v[45:46], -v[51:52]
	flat_store_dwordx2 v[41:42], v[47:48]
	flat_store_dwordx2 v[43:44], v[45:46]
.LBB54_55:                              ;   in Loop: Header=BB54_51 Depth=5
	s_or_b64 exec, exec, s[54:55]
.LBB54_56:                              ;   in Loop: Header=BB54_51 Depth=5
	v_mad_u64_u32 v[40:41], s[54:55], v39, s75, 0
	v_mov_b32_e32 v44, s79
	v_mov_b32_e32 v2, v41
	v_mad_u64_u32 v[41:42], s[54:55], v39, s70, v[2:3]
	v_mad_u64_u32 v[42:43], s[54:55], v38, s75, 0
	v_lshlrev_b64 v[39:40], 3, v[40:41]
	v_add_co_u32_e32 v2, vcc, s25, v39
	v_addc_co_u32_e32 v39, vcc, v44, v40, vcc
	v_mov_b32_e32 v40, v43
	v_mad_u64_u32 v[40:41], s[54:55], v38, s70, v[40:41]
	v_add_co_u32_e32 v44, vcc, v2, v6
	v_mov_b32_e32 v43, v40
	v_lshlrev_b64 v[40:41], 3, v[42:43]
	v_addc_co_u32_e32 v45, vcc, v39, v7, vcc
	v_mov_b32_e32 v42, s79
	v_add_co_u32_e32 v38, vcc, s25, v40
	v_addc_co_u32_e32 v40, vcc, v42, v41, vcc
	v_add_co_u32_e32 v41, vcc, v38, v6
	v_addc_co_u32_e32 v42, vcc, v40, v7, vcc
	global_load_dwordx2 v[46:47], v[41:42], off
	global_load_dwordx2 v[48:49], v[44:45], off
	s_waitcnt vmcnt(0) lgkmcnt(0)
	v_mul_f64 v[50:51], v[12:13], v[46:47]
	v_mul_f64 v[52:53], v[12:13], v[48:49]
	v_fma_f64 v[48:49], v[10:11], v[48:49], v[50:51]
	v_fma_f64 v[46:47], v[10:11], v[46:47], -v[52:53]
	global_store_dwordx2 v[44:45], v[48:49], off
	global_store_dwordx2 v[41:42], v[46:47], off
	s_and_b64 exec, exec, s[8:9]
	s_cbranch_execz .LBB54_50
; %bb.57:                               ;   in Loop: Header=BB54_51 Depth=5
	v_add_co_u32_e32 v41, vcc, v2, v8
	v_addc_co_u32_e32 v42, vcc, v39, v9, vcc
	v_add_co_u32_e32 v38, vcc, v38, v8
	v_addc_co_u32_e32 v39, vcc, v40, v9, vcc
	global_load_dwordx2 v[43:44], v[38:39], off
	global_load_dwordx2 v[45:46], v[41:42], off
	s_waitcnt vmcnt(1)
	v_mul_f64 v[47:48], v[12:13], v[43:44]
	s_waitcnt vmcnt(0)
	v_mul_f64 v[12:13], v[12:13], v[45:46]
	v_fma_f64 v[45:46], v[10:11], v[45:46], v[47:48]
	v_fma_f64 v[10:11], v[10:11], v[43:44], -v[12:13]
	global_store_dwordx2 v[41:42], v[45:46], off
	global_store_dwordx2 v[38:39], v[10:11], off
	s_branch .LBB54_50
.LBB54_58:                              ;   in Loop: Header=BB54_23 Depth=3
	s_or_b64 exec, exec, s[10:11]
	s_waitcnt vmcnt(0)
	s_barrier
	s_and_saveexec_b64 s[10:11], s[0:1]
	s_cbranch_execz .LBB54_67
; %bb.59:                               ;   in Loop: Header=BB54_23 Depth=3
	s_mov_b64 s[46:47], 0
	v_mov_b32_e32 v14, v1
	s_branch .LBB54_61
.LBB54_60:                              ;   in Loop: Header=BB54_61 Depth=4
	s_or_b64 exec, exec, s[48:49]
	v_add_u32_e32 v14, s62, v14
	v_cmp_le_u32_e32 vcc, s26, v14
	s_or_b64 s[46:47], vcc, s[46:47]
	s_andn2_b64 exec, exec, s[46:47]
	s_cbranch_execz .LBB54_67
.LBB54_61:                              ;   Parent Loop BB54_3 Depth=1
                                        ;     Parent Loop BB54_8 Depth=2
                                        ;       Parent Loop BB54_23 Depth=3
                                        ; =>      This Loop Header: Depth=4
                                        ;           Child Loop BB54_64 Depth 5
	s_and_saveexec_b64 s[48:49], s[2:3]
	s_cbranch_execz .LBB54_60
; %bb.62:                               ;   in Loop: Header=BB54_61 Depth=4
	v_add_u32_e32 v8, v14, v32
	v_mad_u64_u32 v[6:7], s[8:9], v8, s75, 0
	v_add_u32_e32 v11, s82, v14
	v_mov_b32_e32 v12, s79
	v_mov_b32_e32 v2, v7
	v_mad_u64_u32 v[7:8], s[8:9], v8, s70, v[2:3]
	v_mad_u64_u32 v[8:9], s[8:9], v11, s75, 0
	v_lshlrev_b64 v[6:7], 3, v[6:7]
	s_mov_b32 s29, 0
	v_mov_b32_e32 v2, v9
	v_mad_u64_u32 v[9:10], s[8:9], v11, s70, v[2:3]
	v_add_co_u32_e32 v15, vcc, s25, v6
	v_addc_co_u32_e32 v16, vcc, v12, v7, vcc
	v_lshlrev_b64 v[6:7], 3, v[8:9]
	v_mov_b32_e32 v2, s79
	v_add_co_u32_e64 v17, s[8:9], s25, v6
	v_cmp_gt_u32_e32 vcc, s27, v11
	v_addc_co_u32_e64 v35, s[8:9], v2, v7, s[8:9]
	s_mov_b64 s[50:51], 0
	v_mov_b32_e32 v36, v20
	v_mov_b32_e32 v37, v34
	s_branch .LBB54_64
.LBB54_63:                              ;   in Loop: Header=BB54_64 Depth=5
	s_or_b64 exec, exec, s[52:53]
	s_add_i32 s29, s29, s31
	v_add_u32_e32 v2, s29, v0
	v_cmp_le_u32_e64 s[8:9], s26, v2
	v_add_u32_e32 v37, s31, v37
	s_or_b64 s[50:51], s[8:9], s[50:51]
	v_add_u32_e32 v36, s77, v36
	s_andn2_b64 exec, exec, s[50:51]
	s_cbranch_execz .LBB54_60
.LBB54_64:                              ;   Parent Loop BB54_3 Depth=1
                                        ;     Parent Loop BB54_8 Depth=2
                                        ;       Parent Loop BB54_23 Depth=3
                                        ;         Parent Loop BB54_61 Depth=4
                                        ; =>        This Inner Loop Header: Depth=5
	v_mul_hi_u32 v6, v19, v37
	v_add_u32_e32 v8, s29, v0
	v_add_u32_e32 v2, s29, v33
	v_mul_lo_u32 v7, s26, v6
	v_not_b32_e32 v6, v6
	v_mul_lo_u32 v6, s26, v6
	v_sub_u32_e32 v7, s83, v7
	v_add_u32_e32 v7, v8, v7
	v_add3_u32 v6, s83, v6, v8
	v_cmp_le_u32_e64 s[8:9], s26, v7
	v_cndmask_b32_e64 v6, v7, v6, s[8:9]
	v_subrev_u32_e32 v7, s26, v6
	v_cmp_le_u32_e64 s[8:9], s26, v6
	v_cndmask_b32_e64 v6, v6, v7, s[8:9]
	v_add_u32_e32 v8, s82, v6
	v_max_u32_e32 v6, v2, v8
	v_cmp_gt_u32_e64 s[8:9], s27, v6
	s_and_saveexec_b64 s[52:53], s[8:9]
	s_cbranch_execz .LBB54_63
; %bb.65:                               ;   in Loop: Header=BB54_64 Depth=5
	v_lshlrev_b64 v[6:7], 3, v[2:3]
	v_mov_b32_e32 v9, v3
	v_add_co_u32_e64 v38, s[8:9], v15, v6
	v_lshlrev_b64 v[10:11], 3, v[8:9]
	v_addc_co_u32_e64 v39, s[8:9], v16, v7, s[8:9]
	v_add_co_u32_e64 v40, s[8:9], v15, v10
	v_addc_co_u32_e64 v41, s[8:9], v16, v11, s[8:9]
	global_load_dwordx2 v[42:43], v[40:41], off
	global_load_dwordx2 v[44:45], v[38:39], off
	v_add_u32_e32 v2, s63, v36
	ds_read_b64 v[8:9], v2
	ds_read_b64 v[12:13], v36
	s_waitcnt vmcnt(1) lgkmcnt(1)
	v_mul_f64 v[46:47], v[8:9], v[42:43]
	s_waitcnt vmcnt(0)
	v_mul_f64 v[48:49], v[8:9], v[44:45]
	s_waitcnt lgkmcnt(0)
	v_fma_f64 v[44:45], v[12:13], v[44:45], v[46:47]
	v_fma_f64 v[42:43], v[12:13], v[42:43], -v[48:49]
	global_store_dwordx2 v[38:39], v[44:45], off
	global_store_dwordx2 v[40:41], v[42:43], off
	s_and_b64 exec, exec, vcc
	s_cbranch_execz .LBB54_63
; %bb.66:                               ;   in Loop: Header=BB54_64 Depth=5
	v_add_co_u32_e64 v6, s[8:9], v17, v6
	v_addc_co_u32_e64 v7, s[8:9], v35, v7, s[8:9]
	v_add_co_u32_e64 v10, s[8:9], v17, v10
	v_addc_co_u32_e64 v11, s[8:9], v35, v11, s[8:9]
	global_load_dwordx2 v[38:39], v[10:11], off
	global_load_dwordx2 v[40:41], v[6:7], off
	s_waitcnt vmcnt(1)
	v_mul_f64 v[42:43], v[8:9], v[38:39]
	s_waitcnt vmcnt(0)
	v_mul_f64 v[8:9], v[8:9], v[40:41]
	v_fma_f64 v[40:41], v[12:13], v[40:41], v[42:43]
	v_fma_f64 v[8:9], v[12:13], v[38:39], -v[8:9]
	global_store_dwordx2 v[6:7], v[40:41], off
	global_store_dwordx2 v[10:11], v[8:9], off
	s_branch .LBB54_63
.LBB54_67:                              ;   in Loop: Header=BB54_23 Depth=3
	s_or_b64 exec, exec, s[10:11]
	s_waitcnt vmcnt(0)
	s_barrier
	s_and_saveexec_b64 s[10:11], s[0:1]
	s_cbranch_execz .LBB54_22
; %bb.68:                               ;   in Loop: Header=BB54_23 Depth=3
	s_mov_b64 s[46:47], 0
	v_mov_b32_e32 v8, v1
	s_branch .LBB54_70
.LBB54_69:                              ;   in Loop: Header=BB54_70 Depth=4
	s_or_b64 exec, exec, s[48:49]
	v_add_u32_e32 v8, s62, v8
	v_cmp_le_u32_e32 vcc, s26, v8
	s_or_b64 s[46:47], vcc, s[46:47]
	s_andn2_b64 exec, exec, s[46:47]
	s_cbranch_execz .LBB54_22
.LBB54_70:                              ;   Parent Loop BB54_3 Depth=1
                                        ;     Parent Loop BB54_8 Depth=2
                                        ;       Parent Loop BB54_23 Depth=3
                                        ; =>      This Loop Header: Depth=4
                                        ;           Child Loop BB54_73 Depth 5
	s_and_saveexec_b64 s[48:49], s[2:3]
	s_cbranch_execz .LBB54_69
; %bb.71:                               ;   in Loop: Header=BB54_70 Depth=4
	v_cmp_eq_u32_e32 vcc, 0, v8
	s_mov_b64 s[50:51], 0
	v_mov_b32_e32 v9, v34
	v_mov_b32_e32 v10, v0
	s_branch .LBB54_73
.LBB54_72:                              ;   in Loop: Header=BB54_73 Depth=5
	s_or_b64 exec, exec, s[52:53]
	v_add_u32_e32 v10, s31, v10
	v_cmp_le_u32_e64 s[8:9], s26, v10
	s_or_b64 s[50:51], s[8:9], s[50:51]
	v_add_u32_e32 v9, s31, v9
	s_andn2_b64 exec, exec, s[50:51]
	s_cbranch_execz .LBB54_69
.LBB54_73:                              ;   Parent Loop BB54_3 Depth=1
                                        ;     Parent Loop BB54_8 Depth=2
                                        ;       Parent Loop BB54_23 Depth=3
                                        ;         Parent Loop BB54_70 Depth=4
                                        ; =>        This Inner Loop Header: Depth=5
	v_mul_hi_u32 v6, v19, v9
	v_add_u32_e32 v2, s83, v10
	v_not_b32_e32 v11, v6
	v_mad_u64_u32 v[6:7], s[8:9], s73, v6, v[2:3]
	v_mad_u64_u32 v[11:12], s[8:9], s26, v11, v[2:3]
	v_cmp_le_u32_e64 s[8:9], s26, v6
	v_cndmask_b32_e64 v2, v6, v11, s[8:9]
	v_subrev_u32_e32 v6, s26, v2
	v_cmp_le_u32_e64 s[8:9], s26, v2
	v_cndmask_b32_e64 v2, v2, v6, s[8:9]
	v_add_u32_e32 v6, s82, v2
	v_cmp_gt_u32_e64 s[8:9], s27, v6
	s_and_b64 s[8:9], vcc, s[8:9]
	s_and_saveexec_b64 s[52:53], s[8:9]
	s_cbranch_execz .LBB54_72
; %bb.74:                               ;   in Loop: Header=BB54_73 Depth=5
	v_mad_u64_u32 v[11:12], s[8:9], v6, s75, 0
	s_mov_b32 s29, s28
	v_mov_b32_e32 v7, v3
	v_mov_b32_e32 v2, v12
	v_mad_u64_u32 v[12:13], s[8:9], v6, s70, v[2:3]
	v_add_u32_e32 v2, v32, v10
	v_mov_b32_e32 v13, s79
	v_lshlrev_b64 v[11:12], 3, v[11:12]
	v_lshlrev_b64 v[6:7], 3, v[6:7]
	v_add_co_u32_e64 v15, s[8:9], s25, v11
	v_addc_co_u32_e64 v16, s[8:9], v13, v12, s[8:9]
	v_mad_u64_u32 v[13:14], s[8:9], v2, s75, 0
	v_lshlrev_b64 v[11:12], 3, v[2:3]
	v_add_co_u32_e64 v11, s[8:9], v15, v11
	v_addc_co_u32_e64 v12, s[8:9], v16, v12, s[8:9]
	v_mad_u64_u32 v[14:15], s[8:9], v2, s70, v[14:15]
	v_mov_b32_e32 v15, s28
	v_mov_b32_e32 v16, s29
	global_store_dwordx2 v[11:12], v[15:16], off
	v_lshlrev_b64 v[11:12], 3, v[13:14]
	v_mov_b32_e32 v2, s79
	v_add_co_u32_e64 v11, s[8:9], s25, v11
	v_addc_co_u32_e64 v2, s[8:9], v2, v12, s[8:9]
	v_add_co_u32_e64 v6, s[8:9], v11, v6
	v_addc_co_u32_e64 v7, s[8:9], v2, v7, s[8:9]
	global_store_dwordx2 v[6:7], v[15:16], off
	s_branch .LBB54_72
.LBB54_75:                              ;   in Loop: Header=BB54_8 Depth=2
	s_and_b64 s[8:9], s[44:45], s[4:5]
	s_and_b64 vcc, exec, s[8:9]
	s_cbranch_vccz .LBB54_7
; %bb.76:                               ;   in Loop: Header=BB54_8 Depth=2
	v_cmp_lt_u32_e32 vcc, v1, v31
	s_waitcnt vmcnt(0)
	s_barrier
	s_and_saveexec_b64 s[10:11], vcc
	s_cbranch_execz .LBB54_6
; %bb.77:                               ;   in Loop: Header=BB54_8 Depth=2
	v_cmp_lt_u32_e32 vcc, v0, v31
	s_mov_b64 s[44:45], 0
	v_mov_b32_e32 v6, v18
	v_mov_b32_e32 v7, v1
	s_branch .LBB54_79
.LBB54_78:                              ;   in Loop: Header=BB54_79 Depth=3
	s_or_b64 exec, exec, s[46:47]
	v_add_u32_e32 v7, s62, v7
	v_cmp_ge_u32_e64 s[8:9], v7, v31
	s_or_b64 s[44:45], s[8:9], s[44:45]
	v_add_u32_e32 v6, s76, v6
	s_andn2_b64 exec, exec, s[44:45]
	s_cbranch_execz .LBB54_6
.LBB54_79:                              ;   Parent Loop BB54_3 Depth=1
                                        ;     Parent Loop BB54_8 Depth=2
                                        ; =>    This Loop Header: Depth=3
                                        ;         Child Loop BB54_81 Depth 4
	s_and_saveexec_b64 s[46:47], vcc
	s_cbranch_execz .LBB54_78
; %bb.80:                               ;   in Loop: Header=BB54_79 Depth=3
	s_mov_b64 s[48:49], 0
	v_mov_b32_e32 v8, v0
.LBB54_81:                              ;   Parent Loop BB54_3 Depth=1
                                        ;     Parent Loop BB54_8 Depth=2
                                        ;       Parent Loop BB54_79 Depth=3
                                        ; =>      This Inner Loop Header: Depth=4
	v_add_u32_e32 v2, v6, v8
	v_lshlrev_b64 v[9:10], 3, v[2:3]
	v_mov_b32_e32 v12, s41
	v_add_co_u32_e64 v11, s[8:9], s81, v9
	v_addc_co_u32_e64 v12, s[8:9], v12, v10, s[8:9]
	flat_load_dwordx2 v[11:12], v[11:12]
	v_add_u32_e32 v8, s31, v8
	v_cmp_ge_u32_e64 s[8:9], v8, v31
	v_mov_b32_e32 v2, s43
	s_or_b64 s[48:49], s[8:9], s[48:49]
	v_add_co_u32_e64 v9, s[8:9], s42, v9
	v_addc_co_u32_e64 v10, s[8:9], v2, v10, s[8:9]
	s_waitcnt vmcnt(0) lgkmcnt(0)
	global_store_dwordx2 v[9:10], v[11:12], off
	s_andn2_b64 exec, exec, s[48:49]
	s_cbranch_execnz .LBB54_81
	s_branch .LBB54_78
.LBB54_82:
	s_endpgm
	.section	.rodata,"a",@progbits
	.p2align	6, 0x0
	.amdhsa_kernel _ZN9rocsolver6v33100L17syevj_offd_kernelIddPdEEviiT1_iilT0_PT_PiS7_S7_i
		.amdhsa_group_segment_fixed_size 0
		.amdhsa_private_segment_fixed_size 0
		.amdhsa_kernarg_size 336
		.amdhsa_user_sgpr_count 6
		.amdhsa_user_sgpr_private_segment_buffer 1
		.amdhsa_user_sgpr_dispatch_ptr 0
		.amdhsa_user_sgpr_queue_ptr 0
		.amdhsa_user_sgpr_kernarg_segment_ptr 1
		.amdhsa_user_sgpr_dispatch_id 0
		.amdhsa_user_sgpr_flat_scratch_init 0
		.amdhsa_user_sgpr_private_segment_size 0
		.amdhsa_uses_dynamic_stack 0
		.amdhsa_system_sgpr_private_segment_wavefront_offset 0
		.amdhsa_system_sgpr_workgroup_id_x 1
		.amdhsa_system_sgpr_workgroup_id_y 0
		.amdhsa_system_sgpr_workgroup_id_z 1
		.amdhsa_system_sgpr_workgroup_info 0
		.amdhsa_system_vgpr_workitem_id 1
		.amdhsa_next_free_vgpr 54
		.amdhsa_next_free_sgpr 86
		.amdhsa_reserve_vcc 1
		.amdhsa_reserve_flat_scratch 0
		.amdhsa_float_round_mode_32 0
		.amdhsa_float_round_mode_16_64 0
		.amdhsa_float_denorm_mode_32 3
		.amdhsa_float_denorm_mode_16_64 3
		.amdhsa_dx10_clamp 1
		.amdhsa_ieee_mode 1
		.amdhsa_fp16_overflow 0
		.amdhsa_exception_fp_ieee_invalid_op 0
		.amdhsa_exception_fp_denorm_src 0
		.amdhsa_exception_fp_ieee_div_zero 0
		.amdhsa_exception_fp_ieee_overflow 0
		.amdhsa_exception_fp_ieee_underflow 0
		.amdhsa_exception_fp_ieee_inexact 0
		.amdhsa_exception_int_div_zero 0
	.end_amdhsa_kernel
	.section	.text._ZN9rocsolver6v33100L17syevj_offd_kernelIddPdEEviiT1_iilT0_PT_PiS7_S7_i,"axG",@progbits,_ZN9rocsolver6v33100L17syevj_offd_kernelIddPdEEviiT1_iilT0_PT_PiS7_S7_i,comdat
.Lfunc_end54:
	.size	_ZN9rocsolver6v33100L17syevj_offd_kernelIddPdEEviiT1_iilT0_PT_PiS7_S7_i, .Lfunc_end54-_ZN9rocsolver6v33100L17syevj_offd_kernelIddPdEEviiT1_iilT0_PT_PiS7_S7_i
                                        ; -- End function
	.set _ZN9rocsolver6v33100L17syevj_offd_kernelIddPdEEviiT1_iilT0_PT_PiS7_S7_i.num_vgpr, 54
	.set _ZN9rocsolver6v33100L17syevj_offd_kernelIddPdEEviiT1_iilT0_PT_PiS7_S7_i.num_agpr, 0
	.set _ZN9rocsolver6v33100L17syevj_offd_kernelIddPdEEviiT1_iilT0_PT_PiS7_S7_i.numbered_sgpr, 86
	.set _ZN9rocsolver6v33100L17syevj_offd_kernelIddPdEEviiT1_iilT0_PT_PiS7_S7_i.num_named_barrier, 0
	.set _ZN9rocsolver6v33100L17syevj_offd_kernelIddPdEEviiT1_iilT0_PT_PiS7_S7_i.private_seg_size, 0
	.set _ZN9rocsolver6v33100L17syevj_offd_kernelIddPdEEviiT1_iilT0_PT_PiS7_S7_i.uses_vcc, 1
	.set _ZN9rocsolver6v33100L17syevj_offd_kernelIddPdEEviiT1_iilT0_PT_PiS7_S7_i.uses_flat_scratch, 0
	.set _ZN9rocsolver6v33100L17syevj_offd_kernelIddPdEEviiT1_iilT0_PT_PiS7_S7_i.has_dyn_sized_stack, 0
	.set _ZN9rocsolver6v33100L17syevj_offd_kernelIddPdEEviiT1_iilT0_PT_PiS7_S7_i.has_recursion, 0
	.set _ZN9rocsolver6v33100L17syevj_offd_kernelIddPdEEviiT1_iilT0_PT_PiS7_S7_i.has_indirect_call, 0
	.section	.AMDGPU.csdata,"",@progbits
; Kernel info:
; codeLenInByte = 4772
; TotalNumSgprs: 90
; NumVgprs: 54
; ScratchSize: 0
; MemoryBound: 0
; FloatMode: 240
; IeeeMode: 1
; LDSByteSize: 0 bytes/workgroup (compile time only)
; SGPRBlocks: 11
; VGPRBlocks: 13
; NumSGPRsForWavesPerEU: 90
; NumVGPRsForWavesPerEU: 54
; Occupancy: 4
; WaveLimiterHint : 1
; COMPUTE_PGM_RSRC2:SCRATCH_EN: 0
; COMPUTE_PGM_RSRC2:USER_SGPR: 6
; COMPUTE_PGM_RSRC2:TRAP_HANDLER: 0
; COMPUTE_PGM_RSRC2:TGID_X_EN: 1
; COMPUTE_PGM_RSRC2:TGID_Y_EN: 0
; COMPUTE_PGM_RSRC2:TGID_Z_EN: 1
; COMPUTE_PGM_RSRC2:TIDIG_COMP_CNT: 1
	.section	.text._ZN9rocsolver6v33100L21syevj_offd_rotate_orgILb0EddPdEEvbiiT2_iilPT0_PiS6_S6_,"axG",@progbits,_ZN9rocsolver6v33100L21syevj_offd_rotate_orgILb0EddPdEEvbiiT2_iilPT0_PiS6_S6_,comdat
	.globl	_ZN9rocsolver6v33100L21syevj_offd_rotate_orgILb0EddPdEEvbiiT2_iilPT0_PiS6_S6_ ; -- Begin function _ZN9rocsolver6v33100L21syevj_offd_rotate_orgILb0EddPdEEvbiiT2_iilPT0_PiS6_S6_
	.p2align	8
	.type	_ZN9rocsolver6v33100L21syevj_offd_rotate_orgILb0EddPdEEvbiiT2_iilPT0_PiS6_S6_,@function
_ZN9rocsolver6v33100L21syevj_offd_rotate_orgILb0EddPdEEvbiiT2_iilPT0_PiS6_S6_: ; @_ZN9rocsolver6v33100L21syevj_offd_rotate_orgILb0EddPdEEvbiiT2_iilPT0_PiS6_S6_
; %bb.0:
	s_load_dwordx2 s[0:1], s[4:5], 0x40
	s_ashr_i32 s9, s8, 31
	s_lshl_b64 s[2:3], s[8:9], 2
	s_waitcnt lgkmcnt(0)
	s_add_u32 s0, s0, s2
	s_addc_u32 s1, s1, s3
	s_load_dword s0, s[0:1], 0x4
	s_waitcnt lgkmcnt(0)
	s_cmp_lg_u32 s0, 0
	s_cbranch_scc0 .LBB55_2
.LBB55_1:
	s_endpgm
.LBB55_2:
	s_load_dwordx8 s[12:19], s[4:5], 0x20
	s_mov_b32 s10, s7
	s_ashr_i32 s7, s6, 31
	s_lshl_b64 s[0:1], s[6:7], 2
	s_waitcnt lgkmcnt(0)
	s_add_u32 s2, s16, s0
	s_addc_u32 s3, s17, s1
	s_add_u32 s0, s18, s0
	s_load_dword s11, s[2:3], 0x0
	s_addc_u32 s1, s19, s1
	s_load_dword s20, s[0:1], 0x0
	s_load_dwordx4 s[16:19], s[4:5], 0x0
	s_waitcnt lgkmcnt(0)
	s_max_i32 s7, s11, s20
	s_cmp_ge_i32 s7, s17
	s_cbranch_scc1 .LBB55_1
; %bb.3:
	s_add_u32 s0, s4, 0x48
	s_addc_u32 s1, s5, 0
	s_bitcmp1_b32 s16, 0
	s_cselect_b64 s[2:3], -1, 0
	s_xor_b64 s[2:3], s[2:3], -1
	s_min_i32 s17, s11, s20
	s_and_b64 vcc, exec, s[2:3]
	s_mov_b32 s16, s10
	s_cbranch_vccnz .LBB55_5
; %bb.4:
	s_lshr_b32 s2, s16, 31
	s_add_i32 s2, s16, s2
	s_ashr_i32 s10, s2, 1
	s_cmp_lg_u32 s10, s17
	s_cselect_b64 s[2:3], -1, 0
	s_cmp_lg_u32 s10, s7
	s_cselect_b64 s[10:11], -1, 0
	s_and_b64 s[2:3], s[2:3], s[10:11]
.LBB55_5:
	s_andn2_b64 vcc, exec, s[2:3]
	s_cbranch_vccnz .LBB55_1
; %bb.6:
	s_load_dword s19, s[0:1], 0xc
	s_waitcnt lgkmcnt(0)
	s_bfe_u32 s10, s19, 0xf0001
	s_mul_i32 s11, s7, s10
	s_mul_i32 s1, s17, s10
	s_sub_i32 s2, s11, s10
	s_lshr_b32 s0, s19, 16
	v_mov_b32_e32 v2, s1
	v_mov_b32_e32 v3, s2
	v_cmp_gt_u32_e32 vcc, s10, v0
	v_cndmask_b32_e32 v2, v3, v2, vcc
	s_mul_i32 s16, s16, s0
	v_add_u32_e32 v9, v2, v0
	v_add_u32_e32 v2, s16, v1
	v_max_i32_e32 v3, v9, v2
	v_cmp_gt_i32_e32 vcc, s18, v3
	s_and_saveexec_b64 s[0:1], vcc
	s_cbranch_execz .LBB55_1
; %bb.7:
	s_load_dword s20, s[4:5], 0x48
	s_load_dwordx4 s[0:3], s[4:5], 0x10
	s_lshl_b32 s4, s10, 1
	v_mov_b32_e32 v3, 0
	v_mov_b32_e32 v4, 0
	s_waitcnt lgkmcnt(0)
	s_mul_i32 s5, s20, s8
	s_ashr_i32 s21, s2, 31
	s_mov_b32 s20, s2
	s_add_i32 s2, s5, s6
	s_mul_i32 s5, s12, s9
	s_mul_hi_u32 s6, s12, s8
	s_add_i32 s5, s6, s5
	s_mul_i32 s6, s13, s8
	s_add_i32 s9, s5, s6
	s_mul_i32 s8, s12, s8
	s_lshl_b64 s[8:9], s[8:9], 3
	s_add_u32 s5, s0, s8
	s_addc_u32 s6, s1, s9
	s_lshl_b64 s[0:1], s[20:21], 3
	s_mul_i32 s2, s2, s10
	s_add_u32 s0, s5, s0
	s_mul_i32 s2, s2, s10
	s_addc_u32 s1, s6, s1
	s_lshl_b32 s8, s2, 2
	s_ashr_i32 s9, s8, 31
	s_lshl_b64 s[8:9], s[8:9], 3
	s_add_u32 s2, s14, s8
	s_addc_u32 s5, s15, s9
	s_and_b32 s6, 0xffff, s19
	s_cmp_lt_u32 s6, 2
	s_cbranch_scc1 .LBB55_10
; %bb.8:
	s_mul_i32 s6, s3, s17
	s_mul_i32 s6, s6, s10
	s_add_i32 s6, s16, s6
	v_mov_b32_e32 v3, 0
	v_add_u32_e32 v5, s6, v1
	v_mov_b32_e32 v4, 0
	v_mov_b32_e32 v8, 0
	;; [unrolled: 1-line block ×5, first 2 shown]
	s_mov_b32 s6, s10
.LBB55_9:                               ; =>This Inner Loop Header: Depth=1
	v_lshlrev_b64 v[12:13], 3, v[7:8]
	v_ashrrev_i32_e32 v6, 31, v5
	v_lshlrev_b64 v[14:15], 3, v[5:6]
	v_add_co_u32_e32 v12, vcc, s2, v12
	v_addc_co_u32_e32 v13, vcc, v10, v13, vcc
	v_add_co_u32_e32 v14, vcc, s0, v14
	v_addc_co_u32_e32 v15, vcc, v11, v15, vcc
	global_load_dwordx2 v[12:13], v[12:13], off
	s_add_i32 s6, s6, -1
	global_load_dwordx2 v[14:15], v[14:15], off
	v_add_u32_e32 v7, s4, v7
	s_cmp_eq_u32 s6, 0
	v_add_u32_e32 v5, s3, v5
	s_waitcnt vmcnt(0)
	v_fma_f64 v[3:4], v[12:13], v[14:15], v[3:4]
	s_cbranch_scc0 .LBB55_9
.LBB55_10:
	s_sub_i32 s6, s18, s11
	s_min_i32 s6, s6, s10
	s_cmp_lt_i32 s6, 1
	s_cbranch_scc1 .LBB55_13
; %bb.11:
	s_mul_i32 s7, s3, s7
	s_mul_i32 s7, s7, s10
	s_add_i32 s16, s16, s7
	s_mul_i32 s10, s10, s10
	v_add_u32_e32 v5, s16, v1
	v_lshl_add_u32 v0, s10, 1, v0
	v_mov_b32_e32 v1, 0
	v_mov_b32_e32 v7, s5
	;; [unrolled: 1-line block ×3, first 2 shown]
.LBB55_12:                              ; =>This Inner Loop Header: Depth=1
	v_lshlrev_b64 v[10:11], 3, v[0:1]
	v_ashrrev_i32_e32 v6, 31, v5
	v_lshlrev_b64 v[12:13], 3, v[5:6]
	v_add_co_u32_e32 v10, vcc, s2, v10
	v_addc_co_u32_e32 v11, vcc, v7, v11, vcc
	v_add_co_u32_e32 v12, vcc, s0, v12
	v_addc_co_u32_e32 v13, vcc, v8, v13, vcc
	global_load_dwordx2 v[10:11], v[10:11], off
	s_add_i32 s6, s6, -1
	global_load_dwordx2 v[12:13], v[12:13], off
	v_add_u32_e32 v0, s4, v0
	s_cmp_lg_u32 s6, 0
	v_add_u32_e32 v5, s3, v5
	s_waitcnt vmcnt(0)
	v_fma_f64 v[3:4], v[10:11], v[12:13], v[3:4]
	s_cbranch_scc1 .LBB55_12
.LBB55_13:
	v_mad_u64_u32 v[0:1], s[2:3], v9, s3, v[2:3]
	v_mov_b32_e32 v2, s1
	v_ashrrev_i32_e32 v1, 31, v0
	v_lshlrev_b64 v[0:1], 3, v[0:1]
	s_barrier
	v_add_co_u32_e32 v0, vcc, s0, v0
	v_addc_co_u32_e32 v1, vcc, v2, v1, vcc
	global_store_dwordx2 v[0:1], v[3:4], off
	s_endpgm
	.section	.rodata,"a",@progbits
	.p2align	6, 0x0
	.amdhsa_kernel _ZN9rocsolver6v33100L21syevj_offd_rotate_orgILb0EddPdEEvbiiT2_iilPT0_PiS6_S6_
		.amdhsa_group_segment_fixed_size 0
		.amdhsa_private_segment_fixed_size 0
		.amdhsa_kernarg_size 328
		.amdhsa_user_sgpr_count 6
		.amdhsa_user_sgpr_private_segment_buffer 1
		.amdhsa_user_sgpr_dispatch_ptr 0
		.amdhsa_user_sgpr_queue_ptr 0
		.amdhsa_user_sgpr_kernarg_segment_ptr 1
		.amdhsa_user_sgpr_dispatch_id 0
		.amdhsa_user_sgpr_flat_scratch_init 0
		.amdhsa_user_sgpr_private_segment_size 0
		.amdhsa_uses_dynamic_stack 0
		.amdhsa_system_sgpr_private_segment_wavefront_offset 0
		.amdhsa_system_sgpr_workgroup_id_x 1
		.amdhsa_system_sgpr_workgroup_id_y 1
		.amdhsa_system_sgpr_workgroup_id_z 1
		.amdhsa_system_sgpr_workgroup_info 0
		.amdhsa_system_vgpr_workitem_id 1
		.amdhsa_next_free_vgpr 16
		.amdhsa_next_free_sgpr 22
		.amdhsa_reserve_vcc 1
		.amdhsa_reserve_flat_scratch 0
		.amdhsa_float_round_mode_32 0
		.amdhsa_float_round_mode_16_64 0
		.amdhsa_float_denorm_mode_32 3
		.amdhsa_float_denorm_mode_16_64 3
		.amdhsa_dx10_clamp 1
		.amdhsa_ieee_mode 1
		.amdhsa_fp16_overflow 0
		.amdhsa_exception_fp_ieee_invalid_op 0
		.amdhsa_exception_fp_denorm_src 0
		.amdhsa_exception_fp_ieee_div_zero 0
		.amdhsa_exception_fp_ieee_overflow 0
		.amdhsa_exception_fp_ieee_underflow 0
		.amdhsa_exception_fp_ieee_inexact 0
		.amdhsa_exception_int_div_zero 0
	.end_amdhsa_kernel
	.section	.text._ZN9rocsolver6v33100L21syevj_offd_rotate_orgILb0EddPdEEvbiiT2_iilPT0_PiS6_S6_,"axG",@progbits,_ZN9rocsolver6v33100L21syevj_offd_rotate_orgILb0EddPdEEvbiiT2_iilPT0_PiS6_S6_,comdat
.Lfunc_end55:
	.size	_ZN9rocsolver6v33100L21syevj_offd_rotate_orgILb0EddPdEEvbiiT2_iilPT0_PiS6_S6_, .Lfunc_end55-_ZN9rocsolver6v33100L21syevj_offd_rotate_orgILb0EddPdEEvbiiT2_iilPT0_PiS6_S6_
                                        ; -- End function
	.set _ZN9rocsolver6v33100L21syevj_offd_rotate_orgILb0EddPdEEvbiiT2_iilPT0_PiS6_S6_.num_vgpr, 16
	.set _ZN9rocsolver6v33100L21syevj_offd_rotate_orgILb0EddPdEEvbiiT2_iilPT0_PiS6_S6_.num_agpr, 0
	.set _ZN9rocsolver6v33100L21syevj_offd_rotate_orgILb0EddPdEEvbiiT2_iilPT0_PiS6_S6_.numbered_sgpr, 22
	.set _ZN9rocsolver6v33100L21syevj_offd_rotate_orgILb0EddPdEEvbiiT2_iilPT0_PiS6_S6_.num_named_barrier, 0
	.set _ZN9rocsolver6v33100L21syevj_offd_rotate_orgILb0EddPdEEvbiiT2_iilPT0_PiS6_S6_.private_seg_size, 0
	.set _ZN9rocsolver6v33100L21syevj_offd_rotate_orgILb0EddPdEEvbiiT2_iilPT0_PiS6_S6_.uses_vcc, 1
	.set _ZN9rocsolver6v33100L21syevj_offd_rotate_orgILb0EddPdEEvbiiT2_iilPT0_PiS6_S6_.uses_flat_scratch, 0
	.set _ZN9rocsolver6v33100L21syevj_offd_rotate_orgILb0EddPdEEvbiiT2_iilPT0_PiS6_S6_.has_dyn_sized_stack, 0
	.set _ZN9rocsolver6v33100L21syevj_offd_rotate_orgILb0EddPdEEvbiiT2_iilPT0_PiS6_S6_.has_recursion, 0
	.set _ZN9rocsolver6v33100L21syevj_offd_rotate_orgILb0EddPdEEvbiiT2_iilPT0_PiS6_S6_.has_indirect_call, 0
	.section	.AMDGPU.csdata,"",@progbits
; Kernel info:
; codeLenInByte = 748
; TotalNumSgprs: 26
; NumVgprs: 16
; ScratchSize: 0
; MemoryBound: 0
; FloatMode: 240
; IeeeMode: 1
; LDSByteSize: 0 bytes/workgroup (compile time only)
; SGPRBlocks: 3
; VGPRBlocks: 3
; NumSGPRsForWavesPerEU: 26
; NumVGPRsForWavesPerEU: 16
; Occupancy: 10
; WaveLimiterHint : 0
; COMPUTE_PGM_RSRC2:SCRATCH_EN: 0
; COMPUTE_PGM_RSRC2:USER_SGPR: 6
; COMPUTE_PGM_RSRC2:TRAP_HANDLER: 0
; COMPUTE_PGM_RSRC2:TGID_X_EN: 1
; COMPUTE_PGM_RSRC2:TGID_Y_EN: 1
; COMPUTE_PGM_RSRC2:TGID_Z_EN: 1
; COMPUTE_PGM_RSRC2:TIDIG_COMP_CNT: 1
	.section	.text._ZN9rocsolver6v33100L17syevj_offd_rotateILb0EddPdEEvbiiT2_iilPT0_PiS6_S6_i,"axG",@progbits,_ZN9rocsolver6v33100L17syevj_offd_rotateILb0EddPdEEvbiiT2_iilPT0_PiS6_S6_i,comdat
	.globl	_ZN9rocsolver6v33100L17syevj_offd_rotateILb0EddPdEEvbiiT2_iilPT0_PiS6_S6_i ; -- Begin function _ZN9rocsolver6v33100L17syevj_offd_rotateILb0EddPdEEvbiiT2_iilPT0_PiS6_S6_i
	.p2align	8
	.type	_ZN9rocsolver6v33100L17syevj_offd_rotateILb0EddPdEEvbiiT2_iilPT0_PiS6_S6_i,@function
_ZN9rocsolver6v33100L17syevj_offd_rotateILb0EddPdEEvbiiT2_iilPT0_PiS6_S6_i: ; @_ZN9rocsolver6v33100L17syevj_offd_rotateILb0EddPdEEvbiiT2_iilPT0_PiS6_S6_i
; %bb.0:
	s_load_dwordx4 s[20:23], s[4:5], 0x0
	s_load_dword s33, s[4:5], 0x48
	s_waitcnt lgkmcnt(0)
	s_abs_i32 s2, s21
	v_cvt_f32_u32_e32 v2, s2
	s_cmp_ge_u32 s8, s33
	v_rcp_iflag_f32_e32 v2, v2
	v_mul_f32_e32 v2, 0x4f7ffffe, v2
	v_cvt_u32_f32_e32 v2, v2
	v_readfirstlane_b32 s3, v2
	s_cbranch_scc1 .LBB56_35
; %bb.1:
	s_sub_i32 s10, 0, s2
	s_mov_b64 s[0:1], src_shared_base
	s_mul_i32 s10, s10, s3
	s_add_i32 s0, s22, -1
	s_mul_hi_u32 s10, s3, s10
	s_ashr_i32 s9, s0, 31
	s_ashr_i32 s24, s21, 31
	s_abs_i32 s0, s0
	s_add_i32 s3, s3, s10
	s_bitcmp1_b32 s20, 0
	s_mul_hi_u32 s3, s0, s3
	s_cselect_b64 s[10:11], -1, 0
	v_cndmask_b32_e64 v7, 0, 1, s[10:11]
	s_xor_b64 s[34:35], s[10:11], -1
	s_mul_i32 s10, s3, s2
	s_sub_i32 s0, s0, s10
	s_xor_b32 s9, s9, s24
	s_add_i32 s10, s3, 1
	s_sub_i32 s11, s0, s2
	s_cmp_ge_u32 s0, s2
	s_cselect_b32 s3, s10, s3
	s_cselect_b32 s0, s11, s0
	s_add_i32 s10, s3, 1
	s_cmp_ge_u32 s0, s2
	s_cselect_b32 s0, s10, s3
	s_xor_b32 s0, s0, s9
	s_sub_i32 s20, s0, s9
	s_add_i32 s48, s20, 1
	s_lshr_b32 s0, s48, 31
	s_add_i32 s0, s48, s0
	s_and_b32 s0, s0, -2
	s_sub_i32 s0, s48, s0
	s_load_dwordx4 s[28:31], s[4:5], 0x10
	s_load_dwordx8 s[12:19], s[4:5], 0x20
	s_load_dwordx2 s[36:37], s[4:5], 0x40
	s_load_dwordx4 s[24:27], s[4:5], 0x50
	s_add_i32 s0, s0, s48
	s_lshr_b32 s2, s0, 31
	s_add_i32 s0, s0, s2
	s_lshl_b32 s51, s21, 1
	s_ashr_i32 s49, s0, 1
	s_mul_i32 s0, s51, s21
	s_lshl_b32 s2, s0, 3
	s_waitcnt lgkmcnt(0)
	s_lshr_b32 s50, s27, 16
	s_and_b32 s27, s27, 0xffff
	s_add_i32 s52, s2, 0
	s_mul_i32 s0, s0, 3
	s_cmpk_lt_u32 s0, 0x2001
	s_mul_i32 s9, s21, s21
	s_cselect_b64 s[38:39], -1, 0
	s_ashr_i32 s3, s30, 31
	s_lshl_b32 s54, s9, 2
	s_cmp_lt_u32 s6, s49
	s_mul_i32 s0, s20, s21
	s_cselect_b64 s[4:5], -1, 0
	s_sub_i32 s55, s22, s0
	s_mov_b32 s2, s30
	s_cmp_lt_u32 s7, s48
	s_cselect_b64 s[40:41], -1, 0
	s_ashr_i32 s57, s31, 31
	s_lshl_b64 s[2:3], s[2:3], 3
	s_add_u32 s59, s28, s2
	s_addc_u32 s60, s29, s3
	s_lshl_b32 s2, s9, 4
	v_mad_u32_u24 v8, v1, s27, v0
	s_mul_i32 s56, s50, s27
	s_add_i32 s2, s2, 0
	v_cndmask_b32_e64 v3, 0, 1, s[4:5]
	s_mov_b32 s23, 0
	s_mov_b32 s53, s1
	v_cmp_gt_u32_e64 s[0:1], s54, v8
	s_mov_b32 s58, s31
	v_lshl_add_u32 v9, v8, 3, s2
	s_lshl_b32 s61, s56, 3
	v_lshl_add_u32 v2, v0, 3, 0
	v_lshlrev_b32_e32 v10, 3, v1
	s_lshl_b32 s62, s50, 3
	s_lshl_b32 s63, s27, 3
	s_mul_i32 s64, s7, s21
	s_mul_i32 s65, s25, s21
	v_mov_b32_e32 v4, 0
	v_cmp_ne_u32_e64 s[2:3], 1, v3
	s_branch .LBB56_3
.LBB56_2:                               ;   in Loop: Header=BB56_3 Depth=1
	s_add_i32 s8, s8, s26
	s_cmp_ge_u32 s8, s33
	s_cbranch_scc1 .LBB56_35
.LBB56_3:                               ; =>This Loop Header: Depth=1
                                        ;     Child Loop BB56_7 Depth 2
                                        ;       Child Loop BB56_11 Depth 3
                                        ;       Child Loop BB56_17 Depth 3
                                        ;         Child Loop BB56_23 Depth 4
                                        ;           Child Loop BB56_25 Depth 5
                                        ;         Child Loop BB56_29 Depth 4
                                        ;           Child Loop BB56_32 Depth 5
                                        ;             Child Loop BB56_34 Depth 6
	s_mov_b32 s9, s23
	s_lshl_b64 s[4:5], s[8:9], 2
	s_add_u32 s4, s36, s4
	s_addc_u32 s5, s37, s5
	s_load_dword s4, s[4:5], 0x4
	s_waitcnt lgkmcnt(0)
	s_cmp_lg_u32 s4, 0
	s_cbranch_scc1 .LBB56_2
; %bb.4:                                ;   in Loop: Header=BB56_3 Depth=1
	s_and_b64 vcc, exec, s[2:3]
	s_cbranch_vccnz .LBB56_2
; %bb.5:                                ;   in Loop: Header=BB56_3 Depth=1
	s_mul_i32 s4, s13, s8
	s_mul_hi_u32 s5, s12, s8
	s_add_i32 s5, s5, s4
	s_mul_i32 s4, s12, s8
	s_lshl_b64 s[4:5], s[4:5], 3
	s_add_u32 s9, s59, s4
	s_addc_u32 s66, s60, s5
	s_mul_i32 s67, s8, s49
	s_mov_b32 s22, s6
	s_branch .LBB56_7
.LBB56_6:                               ;   in Loop: Header=BB56_7 Depth=2
	s_add_i32 s22, s22, s24
	s_cmp_lt_u32 s22, s49
	s_cbranch_scc0 .LBB56_2
.LBB56_7:                               ;   Parent Loop BB56_3 Depth=1
                                        ; =>  This Loop Header: Depth=2
                                        ;       Child Loop BB56_11 Depth 3
                                        ;       Child Loop BB56_17 Depth 3
                                        ;         Child Loop BB56_23 Depth 4
                                        ;           Child Loop BB56_25 Depth 5
                                        ;         Child Loop BB56_29 Depth 4
                                        ;           Child Loop BB56_32 Depth 5
                                        ;             Child Loop BB56_34 Depth 6
	s_lshl_b64 s[4:5], s[22:23], 2
	s_add_u32 s10, s16, s4
	s_addc_u32 s11, s17, s5
	s_add_u32 s4, s18, s4
	s_addc_u32 s5, s19, s5
	s_load_dword s28, s[4:5], 0x0
	s_load_dword s29, s[10:11], 0x0
	s_waitcnt lgkmcnt(0)
	s_max_i32 s68, s29, s28
	s_cmp_gt_i32 s68, s20
	s_cbranch_scc1 .LBB56_6
; %bb.8:                                ;   in Loop: Header=BB56_7 Depth=2
	s_add_i32 s4, s22, s67
	s_mul_i32 s4, s54, s4
	s_mov_b32 s5, s23
	s_lshl_b64 s[4:5], s[4:5], 3
	s_add_u32 s30, s14, s4
	s_addc_u32 s31, s15, s5
	s_andn2_b64 vcc, exec, s[38:39]
	s_cbranch_vccnz .LBB56_13
; %bb.9:                                ;   in Loop: Header=BB56_7 Depth=2
	s_barrier
	s_and_saveexec_b64 s[4:5], s[0:1]
	s_cbranch_execz .LBB56_12
; %bb.10:                               ;   in Loop: Header=BB56_7 Depth=2
	s_mov_b64 s[10:11], 0
	v_mov_b32_e32 v5, s31
	v_mov_b32_e32 v6, v9
	;; [unrolled: 1-line block ×3, first 2 shown]
.LBB56_11:                              ;   Parent Loop BB56_3 Depth=1
                                        ;     Parent Loop BB56_7 Depth=2
                                        ; =>    This Inner Loop Header: Depth=3
	v_lshlrev_b64 v[11:12], 3, v[3:4]
	v_add_u32_e32 v3, s56, v3
	v_add_co_u32_e32 v11, vcc, s30, v11
	v_addc_co_u32_e32 v12, vcc, v5, v12, vcc
	global_load_dwordx2 v[11:12], v[11:12], off
	v_cmp_le_u32_e32 vcc, s54, v3
	s_or_b64 s[10:11], vcc, s[10:11]
	s_waitcnt vmcnt(0)
	ds_write_b64 v6, v[11:12]
	v_add_u32_e32 v6, s61, v6
	s_andn2_b64 exec, exec, s[10:11]
	s_cbranch_execnz .LBB56_11
.LBB56_12:                              ;   in Loop: Header=BB56_7 Depth=2
	s_or_b64 exec, exec, s[4:5]
	s_waitcnt lgkmcnt(0)
	s_barrier
.LBB56_13:                              ;   in Loop: Header=BB56_7 Depth=2
	s_andn2_b64 vcc, exec, s[40:41]
	s_cbranch_vccnz .LBB56_6
; %bb.14:                               ;   in Loop: Header=BB56_7 Depth=2
	s_min_i32 s69, s28, s29
	s_cmp_eq_u32 s69, s20
	s_cselect_b32 s71, s55, s21
	s_cmp_eq_u32 s68, s20
	s_cselect_b32 s4, s55, s21
	s_add_i32 s72, s71, s4
	s_mul_i32 s10, s68, s21
	s_and_b64 s[4:5], s[38:39], exec
	s_cselect_b32 s73, s53, s31
	s_cselect_b32 s74, s52, s30
	s_sub_i32 s75, s10, s71
	s_cmp_gt_i32 s72, 0
	s_mul_i32 s70, s69, s21
	v_cmp_gt_u32_e64 s[4:5], s72, v1
	s_cselect_b64 s[28:29], -1, 0
	s_mov_b32 s76, s64
	s_mov_b32 s77, s7
	s_branch .LBB56_17
.LBB56_15:                              ;   in Loop: Header=BB56_17 Depth=3
	s_or_b64 exec, exec, s[30:31]
	s_waitcnt vmcnt(0)
	s_barrier
.LBB56_16:                              ;   in Loop: Header=BB56_17 Depth=3
	s_add_i32 s77, s77, s25
	s_add_i32 s76, s76, s65
	s_cmp_lt_u32 s77, s48
	s_cbranch_scc0 .LBB56_6
.LBB56_17:                              ;   Parent Loop BB56_3 Depth=1
                                        ;     Parent Loop BB56_7 Depth=2
                                        ; =>    This Loop Header: Depth=3
                                        ;         Child Loop BB56_23 Depth 4
                                        ;           Child Loop BB56_25 Depth 5
                                        ;         Child Loop BB56_29 Depth 4
                                        ;           Child Loop BB56_32 Depth 5
                                        ;             Child Loop BB56_34 Depth 6
	v_cmp_ne_u32_e32 vcc, 1, v7
	s_mov_b64 s[10:11], s[34:35]
	s_cbranch_vccz .LBB56_19
; %bb.18:                               ;   in Loop: Header=BB56_17 Depth=3
	s_andn2_b64 vcc, exec, s[10:11]
	s_cbranch_vccnz .LBB56_16
	s_branch .LBB56_20
.LBB56_19:                              ;   in Loop: Header=BB56_17 Depth=3
	s_cmp_lg_u32 s77, s69
	s_cselect_b64 s[10:11], -1, 0
	s_cmp_lg_u32 s77, s68
	s_cselect_b64 s[30:31], -1, 0
	s_and_b64 s[10:11], s[10:11], s[30:31]
	s_andn2_b64 vcc, exec, s[10:11]
	s_cbranch_vccnz .LBB56_16
.LBB56_20:                              ;   in Loop: Header=BB56_17 Depth=3
	s_cmp_eq_u32 s77, s20
	s_cselect_b32 s78, s55, s21
	s_barrier
	s_and_saveexec_b64 s[30:31], s[4:5]
	s_cbranch_execz .LBB56_26
; %bb.21:                               ;   in Loop: Header=BB56_17 Depth=3
	v_mad_u64_u32 v[5:6], s[10:11], v10, s78, v[2:3]
	v_cmp_gt_u32_e32 vcc, s78, v0
	s_mul_i32 s79, s62, s78
	s_mov_b64 s[42:43], 0
	v_mov_b32_e32 v6, v1
	s_branch .LBB56_23
.LBB56_22:                              ;   in Loop: Header=BB56_23 Depth=4
	s_or_b64 exec, exec, s[44:45]
	v_add_u32_e32 v6, s50, v6
	v_cmp_le_u32_e64 s[10:11], s72, v6
	s_or_b64 s[42:43], s[10:11], s[42:43]
	v_add_u32_e32 v5, s79, v5
	s_andn2_b64 exec, exec, s[42:43]
	s_cbranch_execz .LBB56_26
.LBB56_23:                              ;   Parent Loop BB56_3 Depth=1
                                        ;     Parent Loop BB56_7 Depth=2
                                        ;       Parent Loop BB56_17 Depth=3
                                        ; =>      This Loop Header: Depth=4
                                        ;           Child Loop BB56_25 Depth 5
	s_and_saveexec_b64 s[44:45], vcc
	s_cbranch_execz .LBB56_22
; %bb.24:                               ;   in Loop: Header=BB56_23 Depth=4
	v_mov_b32_e32 v3, s75
	v_mov_b32_e32 v11, s70
	v_cmp_gt_u32_e64 s[10:11], s71, v6
	v_cndmask_b32_e64 v3, v3, v11, s[10:11]
	v_add_u32_e32 v13, v6, v3
	v_mad_u64_u32 v[11:12], s[10:11], v13, s58, 0
	s_mov_b64 s[46:47], 0
	v_mov_b32_e32 v14, v0
	v_mov_b32_e32 v3, v12
	v_mad_u64_u32 v[12:13], s[10:11], v13, s57, v[3:4]
	v_mov_b32_e32 v3, s66
	v_mov_b32_e32 v13, v5
	v_lshlrev_b64 v[11:12], 3, v[11:12]
	v_add_co_u32_e64 v11, s[10:11], s9, v11
	v_addc_co_u32_e64 v12, s[10:11], v3, v12, s[10:11]
.LBB56_25:                              ;   Parent Loop BB56_3 Depth=1
                                        ;     Parent Loop BB56_7 Depth=2
                                        ;       Parent Loop BB56_17 Depth=3
                                        ;         Parent Loop BB56_23 Depth=4
                                        ; =>        This Inner Loop Header: Depth=5
	v_add_u32_e32 v3, s76, v14
	v_lshlrev_b64 v[15:16], 3, v[3:4]
	v_add_u32_e32 v14, s27, v14
	v_add_co_u32_e64 v15, s[10:11], v11, v15
	v_addc_co_u32_e64 v16, s[10:11], v12, v16, s[10:11]
	global_load_dwordx2 v[15:16], v[15:16], off
	v_cmp_le_u32_e64 s[10:11], s78, v14
	s_or_b64 s[46:47], s[10:11], s[46:47]
	s_waitcnt vmcnt(0)
	ds_write_b64 v13, v[15:16]
	v_add_u32_e32 v13, s63, v13
	s_andn2_b64 exec, exec, s[46:47]
	s_cbranch_execnz .LBB56_25
	s_branch .LBB56_22
.LBB56_26:                              ;   in Loop: Header=BB56_17 Depth=3
	s_or_b64 exec, exec, s[30:31]
	s_waitcnt lgkmcnt(0)
	s_barrier
	s_and_saveexec_b64 s[30:31], s[4:5]
	s_cbranch_execz .LBB56_15
; %bb.27:                               ;   in Loop: Header=BB56_17 Depth=3
	s_mul_i32 s79, s77, s21
	v_cmp_gt_u32_e64 s[10:11], s78, v0
	s_lshl_b32 s80, s78, 3
	s_mov_b64 s[42:43], 0
	v_mov_b32_e32 v11, v1
	s_branch .LBB56_29
.LBB56_28:                              ;   in Loop: Header=BB56_29 Depth=4
	s_or_b64 exec, exec, s[44:45]
	v_add_u32_e32 v11, s50, v11
	v_cmp_le_u32_e32 vcc, s72, v11
	s_or_b64 s[42:43], vcc, s[42:43]
	s_andn2_b64 exec, exec, s[42:43]
	s_cbranch_execz .LBB56_15
.LBB56_29:                              ;   Parent Loop BB56_3 Depth=1
                                        ;     Parent Loop BB56_7 Depth=2
                                        ;       Parent Loop BB56_17 Depth=3
                                        ; =>      This Loop Header: Depth=4
                                        ;           Child Loop BB56_32 Depth 5
                                        ;             Child Loop BB56_34 Depth 6
	s_and_saveexec_b64 s[44:45], s[10:11]
	s_cbranch_execz .LBB56_28
; %bb.30:                               ;   in Loop: Header=BB56_29 Depth=4
	v_mov_b32_e32 v3, s75
	v_mov_b32_e32 v5, s70
	v_cmp_gt_u32_e32 vcc, s71, v11
	v_cndmask_b32_e32 v3, v3, v5, vcc
	v_add_u32_e32 v12, v11, v3
	v_mad_u64_u32 v[5:6], s[46:47], v12, s58, 0
	v_mov_b32_e32 v14, v2
	v_mov_b32_e32 v15, v0
	;; [unrolled: 1-line block ×3, first 2 shown]
	v_mad_u64_u32 v[12:13], s[46:47], v12, s57, v[3:4]
	v_mov_b32_e32 v3, s66
	s_mov_b64 s[46:47], 0
	v_mov_b32_e32 v6, v12
	v_lshlrev_b64 v[5:6], 3, v[5:6]
	v_add_co_u32_e32 v12, vcc, s9, v5
	v_addc_co_u32_e32 v13, vcc, v3, v6, vcc
	s_branch .LBB56_32
.LBB56_31:                              ;   in Loop: Header=BB56_32 Depth=5
	v_add_u32_e32 v3, s79, v15
	v_lshlrev_b64 v[16:17], 3, v[3:4]
	v_add_u32_e32 v15, s27, v15
	v_add_co_u32_e32 v16, vcc, v12, v16
	v_addc_co_u32_e32 v17, vcc, v13, v17, vcc
	v_cmp_le_u32_e32 vcc, s78, v15
	s_or_b64 s[46:47], vcc, s[46:47]
	v_add_u32_e32 v14, s63, v14
	global_store_dwordx2 v[16:17], v[5:6], off
	s_andn2_b64 exec, exec, s[46:47]
	s_cbranch_execz .LBB56_28
.LBB56_32:                              ;   Parent Loop BB56_3 Depth=1
                                        ;     Parent Loop BB56_7 Depth=2
                                        ;       Parent Loop BB56_17 Depth=3
                                        ;         Parent Loop BB56_29 Depth=4
                                        ; =>        This Loop Header: Depth=5
                                        ;             Child Loop BB56_34 Depth 6
	v_mov_b32_e32 v5, 0
	v_mov_b32_e32 v6, 0
	s_andn2_b64 vcc, exec, s[28:29]
	s_cbranch_vccnz .LBB56_31
; %bb.33:                               ;   in Loop: Header=BB56_32 Depth=5
	v_mov_b32_e32 v3, v11
	v_mov_b32_e32 v16, v14
	s_mov_b32 s81, s72
.LBB56_34:                              ;   Parent Loop BB56_3 Depth=1
                                        ;     Parent Loop BB56_7 Depth=2
                                        ;       Parent Loop BB56_17 Depth=3
                                        ;         Parent Loop BB56_29 Depth=4
                                        ;           Parent Loop BB56_32 Depth=5
                                        ; =>          This Inner Loop Header: Depth=6
	v_lshlrev_b64 v[17:18], 3, v[3:4]
	v_mov_b32_e32 v19, s73
	v_add_co_u32_e32 v17, vcc, s74, v17
	v_addc_co_u32_e32 v18, vcc, v19, v18, vcc
	flat_load_dwordx2 v[17:18], v[17:18]
	ds_read_b64 v[19:20], v16
	s_add_i32 s81, s81, -1
	v_add_u32_e32 v16, s80, v16
	s_cmp_eq_u32 s81, 0
	v_add_u32_e32 v3, s51, v3
	s_waitcnt vmcnt(0) lgkmcnt(0)
	v_fma_f64 v[5:6], v[19:20], v[17:18], v[5:6]
	s_cbranch_scc0 .LBB56_34
	s_branch .LBB56_31
.LBB56_35:
	s_endpgm
	.section	.rodata,"a",@progbits
	.p2align	6, 0x0
	.amdhsa_kernel _ZN9rocsolver6v33100L17syevj_offd_rotateILb0EddPdEEvbiiT2_iilPT0_PiS6_S6_i
		.amdhsa_group_segment_fixed_size 0
		.amdhsa_private_segment_fixed_size 0
		.amdhsa_kernarg_size 336
		.amdhsa_user_sgpr_count 6
		.amdhsa_user_sgpr_private_segment_buffer 1
		.amdhsa_user_sgpr_dispatch_ptr 0
		.amdhsa_user_sgpr_queue_ptr 0
		.amdhsa_user_sgpr_kernarg_segment_ptr 1
		.amdhsa_user_sgpr_dispatch_id 0
		.amdhsa_user_sgpr_flat_scratch_init 0
		.amdhsa_user_sgpr_private_segment_size 0
		.amdhsa_uses_dynamic_stack 0
		.amdhsa_system_sgpr_private_segment_wavefront_offset 0
		.amdhsa_system_sgpr_workgroup_id_x 1
		.amdhsa_system_sgpr_workgroup_id_y 1
		.amdhsa_system_sgpr_workgroup_id_z 1
		.amdhsa_system_sgpr_workgroup_info 0
		.amdhsa_system_vgpr_workitem_id 1
		.amdhsa_next_free_vgpr 21
		.amdhsa_next_free_sgpr 82
		.amdhsa_reserve_vcc 1
		.amdhsa_reserve_flat_scratch 0
		.amdhsa_float_round_mode_32 0
		.amdhsa_float_round_mode_16_64 0
		.amdhsa_float_denorm_mode_32 3
		.amdhsa_float_denorm_mode_16_64 3
		.amdhsa_dx10_clamp 1
		.amdhsa_ieee_mode 1
		.amdhsa_fp16_overflow 0
		.amdhsa_exception_fp_ieee_invalid_op 0
		.amdhsa_exception_fp_denorm_src 0
		.amdhsa_exception_fp_ieee_div_zero 0
		.amdhsa_exception_fp_ieee_overflow 0
		.amdhsa_exception_fp_ieee_underflow 0
		.amdhsa_exception_fp_ieee_inexact 0
		.amdhsa_exception_int_div_zero 0
	.end_amdhsa_kernel
	.section	.text._ZN9rocsolver6v33100L17syevj_offd_rotateILb0EddPdEEvbiiT2_iilPT0_PiS6_S6_i,"axG",@progbits,_ZN9rocsolver6v33100L17syevj_offd_rotateILb0EddPdEEvbiiT2_iilPT0_PiS6_S6_i,comdat
.Lfunc_end56:
	.size	_ZN9rocsolver6v33100L17syevj_offd_rotateILb0EddPdEEvbiiT2_iilPT0_PiS6_S6_i, .Lfunc_end56-_ZN9rocsolver6v33100L17syevj_offd_rotateILb0EddPdEEvbiiT2_iilPT0_PiS6_S6_i
                                        ; -- End function
	.set _ZN9rocsolver6v33100L17syevj_offd_rotateILb0EddPdEEvbiiT2_iilPT0_PiS6_S6_i.num_vgpr, 21
	.set _ZN9rocsolver6v33100L17syevj_offd_rotateILb0EddPdEEvbiiT2_iilPT0_PiS6_S6_i.num_agpr, 0
	.set _ZN9rocsolver6v33100L17syevj_offd_rotateILb0EddPdEEvbiiT2_iilPT0_PiS6_S6_i.numbered_sgpr, 82
	.set _ZN9rocsolver6v33100L17syevj_offd_rotateILb0EddPdEEvbiiT2_iilPT0_PiS6_S6_i.num_named_barrier, 0
	.set _ZN9rocsolver6v33100L17syevj_offd_rotateILb0EddPdEEvbiiT2_iilPT0_PiS6_S6_i.private_seg_size, 0
	.set _ZN9rocsolver6v33100L17syevj_offd_rotateILb0EddPdEEvbiiT2_iilPT0_PiS6_S6_i.uses_vcc, 1
	.set _ZN9rocsolver6v33100L17syevj_offd_rotateILb0EddPdEEvbiiT2_iilPT0_PiS6_S6_i.uses_flat_scratch, 0
	.set _ZN9rocsolver6v33100L17syevj_offd_rotateILb0EddPdEEvbiiT2_iilPT0_PiS6_S6_i.has_dyn_sized_stack, 0
	.set _ZN9rocsolver6v33100L17syevj_offd_rotateILb0EddPdEEvbiiT2_iilPT0_PiS6_S6_i.has_recursion, 0
	.set _ZN9rocsolver6v33100L17syevj_offd_rotateILb0EddPdEEvbiiT2_iilPT0_PiS6_S6_i.has_indirect_call, 0
	.section	.AMDGPU.csdata,"",@progbits
; Kernel info:
; codeLenInByte = 1468
; TotalNumSgprs: 86
; NumVgprs: 21
; ScratchSize: 0
; MemoryBound: 0
; FloatMode: 240
; IeeeMode: 1
; LDSByteSize: 0 bytes/workgroup (compile time only)
; SGPRBlocks: 10
; VGPRBlocks: 5
; NumSGPRsForWavesPerEU: 86
; NumVGPRsForWavesPerEU: 21
; Occupancy: 9
; WaveLimiterHint : 1
; COMPUTE_PGM_RSRC2:SCRATCH_EN: 0
; COMPUTE_PGM_RSRC2:USER_SGPR: 6
; COMPUTE_PGM_RSRC2:TRAP_HANDLER: 0
; COMPUTE_PGM_RSRC2:TGID_X_EN: 1
; COMPUTE_PGM_RSRC2:TGID_Y_EN: 1
; COMPUTE_PGM_RSRC2:TGID_Z_EN: 1
; COMPUTE_PGM_RSRC2:TIDIG_COMP_CNT: 1
	.section	.text._ZN9rocsolver6v33100L21syevj_offd_rotate_orgILb1EddPdEEvbiiT2_iilPT0_PiS6_S6_,"axG",@progbits,_ZN9rocsolver6v33100L21syevj_offd_rotate_orgILb1EddPdEEvbiiT2_iilPT0_PiS6_S6_,comdat
	.globl	_ZN9rocsolver6v33100L21syevj_offd_rotate_orgILb1EddPdEEvbiiT2_iilPT0_PiS6_S6_ ; -- Begin function _ZN9rocsolver6v33100L21syevj_offd_rotate_orgILb1EddPdEEvbiiT2_iilPT0_PiS6_S6_
	.p2align	8
	.type	_ZN9rocsolver6v33100L21syevj_offd_rotate_orgILb1EddPdEEvbiiT2_iilPT0_PiS6_S6_,@function
_ZN9rocsolver6v33100L21syevj_offd_rotate_orgILb1EddPdEEvbiiT2_iilPT0_PiS6_S6_: ; @_ZN9rocsolver6v33100L21syevj_offd_rotate_orgILb1EddPdEEvbiiT2_iilPT0_PiS6_S6_
; %bb.0:
	s_load_dwordx2 s[0:1], s[4:5], 0x40
	s_ashr_i32 s9, s8, 31
	s_lshl_b64 s[2:3], s[8:9], 2
	s_waitcnt lgkmcnt(0)
	s_add_u32 s0, s0, s2
	s_addc_u32 s1, s1, s3
	s_load_dword s0, s[0:1], 0x4
	s_waitcnt lgkmcnt(0)
	s_cmp_lg_u32 s0, 0
	s_cbranch_scc0 .LBB57_2
.LBB57_1:
	s_endpgm
.LBB57_2:
	s_load_dwordx8 s[12:19], s[4:5], 0x20
	s_mov_b32 s20, s7
	s_ashr_i32 s7, s6, 31
	s_lshl_b64 s[0:1], s[6:7], 2
	s_waitcnt lgkmcnt(0)
	s_add_u32 s2, s16, s0
	s_addc_u32 s3, s17, s1
	s_add_u32 s10, s18, s0
	s_load_dword s7, s[2:3], 0x0
	s_addc_u32 s11, s19, s1
	s_load_dword s16, s[10:11], 0x0
	s_load_dwordx4 s[0:3], s[4:5], 0x0
	s_waitcnt lgkmcnt(0)
	s_max_i32 s3, s7, s16
	s_cmp_ge_i32 s3, s1
	s_cbranch_scc1 .LBB57_1
; %bb.3:
	s_add_u32 s10, s4, 0x48
	s_addc_u32 s11, s5, 0
	s_bitcmp1_b32 s0, 0
	s_cselect_b64 s[0:1], -1, 0
	s_xor_b64 s[0:1], s[0:1], -1
	s_min_i32 s17, s7, s16
	s_and_b64 vcc, exec, s[0:1]
	s_mov_b32 s16, s20
	s_cbranch_vccnz .LBB57_5
; %bb.4:
	s_lshr_b32 s0, s16, 31
	s_add_i32 s0, s16, s0
	s_ashr_i32 s7, s0, 1
	s_cmp_lg_u32 s7, s17
	s_cselect_b64 s[0:1], -1, 0
	s_cmp_lg_u32 s7, s3
	s_cselect_b64 s[18:19], -1, 0
	s_and_b64 s[0:1], s[0:1], s[18:19]
.LBB57_5:
	s_andn2_b64 vcc, exec, s[0:1]
	s_cbranch_vccnz .LBB57_1
; %bb.6:
	s_load_dword s1, s[10:11], 0xc
	s_waitcnt lgkmcnt(0)
	s_bfe_u32 s7, s1, 0xf0001
	s_mul_i32 s10, s3, s7
	s_mul_i32 s0, s17, s7
	s_sub_i32 s3, s10, s7
	s_lshr_b32 s11, s1, 16
	v_mov_b32_e32 v2, s0
	v_mov_b32_e32 v3, s3
	v_cmp_gt_u32_e32 vcc, s7, v0
	v_cndmask_b32_e32 v2, v3, v2, vcc
	s_mul_i32 s3, s16, s11
	v_add_u32_e32 v7, v2, v0
	v_add_u32_e32 v1, s3, v1
	v_max_i32_e32 v2, v7, v1
	v_cmp_gt_i32_e32 vcc, s2, v2
	s_and_saveexec_b64 s[16:17], vcc
	s_cbranch_execz .LBB57_1
; %bb.7:
	s_load_dword s11, s[4:5], 0x48
	s_load_dwordx4 s[16:19], s[4:5], 0x10
	s_mul_i32 s9, s12, s9
	s_lshl_b32 s3, s7, 1
	s_waitcnt lgkmcnt(0)
	s_mul_i32 s11, s11, s8
	s_add_i32 s6, s11, s6
	s_mul_hi_u32 s11, s12, s8
	s_add_i32 s9, s11, s9
	s_mul_i32 s11, s13, s8
	s_add_i32 s9, s9, s11
	s_mul_i32 s8, s12, s8
	s_ashr_i32 s5, s18, 31
	s_lshl_b64 s[8:9], s[8:9], 3
	s_mov_b32 s4, s18
	s_add_u32 s8, s16, s8
	s_addc_u32 s9, s17, s9
	s_lshl_b64 s[4:5], s[4:5], 3
	s_mul_i32 s6, s6, s7
	s_add_u32 s4, s8, s4
	s_mul_i32 s6, s6, s7
	s_addc_u32 s5, s9, s5
	s_lshl_b32 s8, s6, 2
	s_ashr_i32 s9, s8, 31
	s_lshl_b64 s[8:9], s[8:9], 3
	v_mul_lo_u32 v9, v1, s19
	s_add_u32 s6, s14, s8
	s_addc_u32 s8, s15, s9
	s_and_b32 s1, 0xffff, s1
	s_cmp_gt_u32 s1, 1
	s_cbranch_scc0 .LBB57_11
; %bb.8:
	v_mul_lo_u32 v8, v1, s19
	v_mov_b32_e32 v1, 0
	v_mov_b32_e32 v2, 0
	;; [unrolled: 1-line block ×4, first 2 shown]
	v_add_u32_e32 v5, s0, v8
	v_mov_b32_e32 v11, s5
	v_mov_b32_e32 v3, v0
	s_mov_b32 s0, s7
.LBB57_9:                               ; =>This Inner Loop Header: Depth=1
	v_lshlrev_b64 v[12:13], 3, v[3:4]
	v_ashrrev_i32_e32 v6, 31, v5
	v_lshlrev_b64 v[14:15], 3, v[5:6]
	v_add_co_u32_e32 v12, vcc, s6, v12
	v_addc_co_u32_e32 v13, vcc, v10, v13, vcc
	v_add_co_u32_e32 v14, vcc, s4, v14
	v_addc_co_u32_e32 v15, vcc, v11, v15, vcc
	global_load_dwordx2 v[12:13], v[12:13], off
	s_add_i32 s0, s0, -1
	global_load_dwordx2 v[14:15], v[14:15], off
	v_add_u32_e32 v3, s3, v3
	s_cmp_eq_u32 s0, 0
	v_add_u32_e32 v5, 1, v5
	s_waitcnt vmcnt(0)
	v_fma_f64 v[1:2], v[12:13], v[14:15], v[1:2]
	s_cbranch_scc0 .LBB57_9
; %bb.10:
	s_mov_b64 s[0:1], 0
	s_branch .LBB57_12
.LBB57_11:
	s_mov_b64 s[0:1], -1
                                        ; implicit-def: $vgpr1_vgpr2
                                        ; implicit-def: $vgpr8
.LBB57_12:
	s_and_b64 vcc, exec, s[0:1]
	s_cbranch_vccz .LBB57_14
; %bb.13:
	v_mov_b32_e32 v1, 0
	v_mov_b32_e32 v2, 0
	v_mov_b32_e32 v8, v9
.LBB57_14:
	s_sub_i32 s0, s2, s10
	s_min_i32 s0, s0, s7
	s_cmp_lt_i32 s0, 1
	s_cbranch_scc1 .LBB57_17
; %bb.15:
	s_mul_i32 s7, s7, s7
	v_lshl_add_u32 v3, s7, 1, v0
	v_add_u32_e32 v5, s10, v8
	v_mov_b32_e32 v4, 0
	v_mov_b32_e32 v0, s8
	;; [unrolled: 1-line block ×3, first 2 shown]
.LBB57_16:                              ; =>This Inner Loop Header: Depth=1
	v_lshlrev_b64 v[10:11], 3, v[3:4]
	v_ashrrev_i32_e32 v6, 31, v5
	v_lshlrev_b64 v[12:13], 3, v[5:6]
	v_add_co_u32_e32 v10, vcc, s6, v10
	v_addc_co_u32_e32 v11, vcc, v0, v11, vcc
	v_add_co_u32_e32 v12, vcc, s4, v12
	v_addc_co_u32_e32 v13, vcc, v9, v13, vcc
	global_load_dwordx2 v[10:11], v[10:11], off
	s_add_i32 s0, s0, -1
	global_load_dwordx2 v[12:13], v[12:13], off
	v_add_u32_e32 v3, s3, v3
	s_cmp_lg_u32 s0, 0
	v_add_u32_e32 v5, 1, v5
	s_waitcnt vmcnt(0)
	v_fma_f64 v[1:2], v[10:11], v[12:13], v[1:2]
	s_cbranch_scc1 .LBB57_16
.LBB57_17:
	v_add_u32_e32 v3, v7, v8
	v_ashrrev_i32_e32 v4, 31, v3
	v_lshlrev_b64 v[3:4], 3, v[3:4]
	v_mov_b32_e32 v0, s5
	v_add_co_u32_e32 v3, vcc, s4, v3
	v_addc_co_u32_e32 v4, vcc, v0, v4, vcc
	s_barrier
	global_store_dwordx2 v[3:4], v[1:2], off
	s_endpgm
	.section	.rodata,"a",@progbits
	.p2align	6, 0x0
	.amdhsa_kernel _ZN9rocsolver6v33100L21syevj_offd_rotate_orgILb1EddPdEEvbiiT2_iilPT0_PiS6_S6_
		.amdhsa_group_segment_fixed_size 0
		.amdhsa_private_segment_fixed_size 0
		.amdhsa_kernarg_size 328
		.amdhsa_user_sgpr_count 6
		.amdhsa_user_sgpr_private_segment_buffer 1
		.amdhsa_user_sgpr_dispatch_ptr 0
		.amdhsa_user_sgpr_queue_ptr 0
		.amdhsa_user_sgpr_kernarg_segment_ptr 1
		.amdhsa_user_sgpr_dispatch_id 0
		.amdhsa_user_sgpr_flat_scratch_init 0
		.amdhsa_user_sgpr_private_segment_size 0
		.amdhsa_uses_dynamic_stack 0
		.amdhsa_system_sgpr_private_segment_wavefront_offset 0
		.amdhsa_system_sgpr_workgroup_id_x 1
		.amdhsa_system_sgpr_workgroup_id_y 1
		.amdhsa_system_sgpr_workgroup_id_z 1
		.amdhsa_system_sgpr_workgroup_info 0
		.amdhsa_system_vgpr_workitem_id 1
		.amdhsa_next_free_vgpr 16
		.amdhsa_next_free_sgpr 21
		.amdhsa_reserve_vcc 1
		.amdhsa_reserve_flat_scratch 0
		.amdhsa_float_round_mode_32 0
		.amdhsa_float_round_mode_16_64 0
		.amdhsa_float_denorm_mode_32 3
		.amdhsa_float_denorm_mode_16_64 3
		.amdhsa_dx10_clamp 1
		.amdhsa_ieee_mode 1
		.amdhsa_fp16_overflow 0
		.amdhsa_exception_fp_ieee_invalid_op 0
		.amdhsa_exception_fp_denorm_src 0
		.amdhsa_exception_fp_ieee_div_zero 0
		.amdhsa_exception_fp_ieee_overflow 0
		.amdhsa_exception_fp_ieee_underflow 0
		.amdhsa_exception_fp_ieee_inexact 0
		.amdhsa_exception_int_div_zero 0
	.end_amdhsa_kernel
	.section	.text._ZN9rocsolver6v33100L21syevj_offd_rotate_orgILb1EddPdEEvbiiT2_iilPT0_PiS6_S6_,"axG",@progbits,_ZN9rocsolver6v33100L21syevj_offd_rotate_orgILb1EddPdEEvbiiT2_iilPT0_PiS6_S6_,comdat
.Lfunc_end57:
	.size	_ZN9rocsolver6v33100L21syevj_offd_rotate_orgILb1EddPdEEvbiiT2_iilPT0_PiS6_S6_, .Lfunc_end57-_ZN9rocsolver6v33100L21syevj_offd_rotate_orgILb1EddPdEEvbiiT2_iilPT0_PiS6_S6_
                                        ; -- End function
	.set _ZN9rocsolver6v33100L21syevj_offd_rotate_orgILb1EddPdEEvbiiT2_iilPT0_PiS6_S6_.num_vgpr, 16
	.set _ZN9rocsolver6v33100L21syevj_offd_rotate_orgILb1EddPdEEvbiiT2_iilPT0_PiS6_S6_.num_agpr, 0
	.set _ZN9rocsolver6v33100L21syevj_offd_rotate_orgILb1EddPdEEvbiiT2_iilPT0_PiS6_S6_.numbered_sgpr, 21
	.set _ZN9rocsolver6v33100L21syevj_offd_rotate_orgILb1EddPdEEvbiiT2_iilPT0_PiS6_S6_.num_named_barrier, 0
	.set _ZN9rocsolver6v33100L21syevj_offd_rotate_orgILb1EddPdEEvbiiT2_iilPT0_PiS6_S6_.private_seg_size, 0
	.set _ZN9rocsolver6v33100L21syevj_offd_rotate_orgILb1EddPdEEvbiiT2_iilPT0_PiS6_S6_.uses_vcc, 1
	.set _ZN9rocsolver6v33100L21syevj_offd_rotate_orgILb1EddPdEEvbiiT2_iilPT0_PiS6_S6_.uses_flat_scratch, 0
	.set _ZN9rocsolver6v33100L21syevj_offd_rotate_orgILb1EddPdEEvbiiT2_iilPT0_PiS6_S6_.has_dyn_sized_stack, 0
	.set _ZN9rocsolver6v33100L21syevj_offd_rotate_orgILb1EddPdEEvbiiT2_iilPT0_PiS6_S6_.has_recursion, 0
	.set _ZN9rocsolver6v33100L21syevj_offd_rotate_orgILb1EddPdEEvbiiT2_iilPT0_PiS6_S6_.has_indirect_call, 0
	.section	.AMDGPU.csdata,"",@progbits
; Kernel info:
; codeLenInByte = 760
; TotalNumSgprs: 25
; NumVgprs: 16
; ScratchSize: 0
; MemoryBound: 0
; FloatMode: 240
; IeeeMode: 1
; LDSByteSize: 0 bytes/workgroup (compile time only)
; SGPRBlocks: 3
; VGPRBlocks: 3
; NumSGPRsForWavesPerEU: 25
; NumVGPRsForWavesPerEU: 16
; Occupancy: 10
; WaveLimiterHint : 0
; COMPUTE_PGM_RSRC2:SCRATCH_EN: 0
; COMPUTE_PGM_RSRC2:USER_SGPR: 6
; COMPUTE_PGM_RSRC2:TRAP_HANDLER: 0
; COMPUTE_PGM_RSRC2:TGID_X_EN: 1
; COMPUTE_PGM_RSRC2:TGID_Y_EN: 1
; COMPUTE_PGM_RSRC2:TGID_Z_EN: 1
; COMPUTE_PGM_RSRC2:TIDIG_COMP_CNT: 1
	.section	.text._ZN9rocsolver6v33100L17syevj_offd_rotateILb1EddPdEEvbiiT2_iilPT0_PiS6_S6_i,"axG",@progbits,_ZN9rocsolver6v33100L17syevj_offd_rotateILb1EddPdEEvbiiT2_iilPT0_PiS6_S6_i,comdat
	.globl	_ZN9rocsolver6v33100L17syevj_offd_rotateILb1EddPdEEvbiiT2_iilPT0_PiS6_S6_i ; -- Begin function _ZN9rocsolver6v33100L17syevj_offd_rotateILb1EddPdEEvbiiT2_iilPT0_PiS6_S6_i
	.p2align	8
	.type	_ZN9rocsolver6v33100L17syevj_offd_rotateILb1EddPdEEvbiiT2_iilPT0_PiS6_S6_i,@function
_ZN9rocsolver6v33100L17syevj_offd_rotateILb1EddPdEEvbiiT2_iilPT0_PiS6_S6_i: ; @_ZN9rocsolver6v33100L17syevj_offd_rotateILb1EddPdEEvbiiT2_iilPT0_PiS6_S6_i
; %bb.0:
	s_load_dwordx4 s[20:23], s[4:5], 0x0
	s_load_dword s33, s[4:5], 0x48
	s_waitcnt lgkmcnt(0)
	s_abs_i32 s2, s21
	v_cvt_f32_u32_e32 v2, s2
	s_cmp_ge_u32 s8, s33
	v_rcp_iflag_f32_e32 v2, v2
	v_mul_f32_e32 v2, 0x4f7ffffe, v2
	v_cvt_u32_f32_e32 v2, v2
	v_readfirstlane_b32 s3, v2
	s_cbranch_scc1 .LBB58_35
; %bb.1:
	s_sub_i32 s10, 0, s2
	s_mov_b64 s[0:1], src_shared_base
	s_mul_i32 s10, s10, s3
	s_add_i32 s0, s22, -1
	s_mul_hi_u32 s10, s3, s10
	s_ashr_i32 s9, s0, 31
	s_ashr_i32 s24, s21, 31
	s_abs_i32 s0, s0
	s_add_i32 s3, s3, s10
	s_bitcmp1_b32 s20, 0
	s_mul_hi_u32 s3, s0, s3
	s_cselect_b64 s[10:11], -1, 0
	v_cndmask_b32_e64 v6, 0, 1, s[10:11]
	s_xor_b64 s[34:35], s[10:11], -1
	s_mul_i32 s10, s3, s2
	s_sub_i32 s0, s0, s10
	s_xor_b32 s9, s9, s24
	s_add_i32 s10, s3, 1
	s_sub_i32 s11, s0, s2
	s_cmp_ge_u32 s0, s2
	s_cselect_b32 s3, s10, s3
	s_cselect_b32 s0, s11, s0
	s_add_i32 s10, s3, 1
	s_cmp_ge_u32 s0, s2
	s_cselect_b32 s0, s10, s3
	s_xor_b32 s0, s0, s9
	s_sub_i32 s20, s0, s9
	s_add_i32 s48, s20, 1
	s_lshr_b32 s0, s48, 31
	s_add_i32 s0, s48, s0
	s_and_b32 s0, s0, -2
	s_sub_i32 s0, s48, s0
	s_load_dwordx4 s[28:31], s[4:5], 0x10
	s_load_dwordx8 s[12:19], s[4:5], 0x20
	s_load_dwordx2 s[36:37], s[4:5], 0x40
	s_load_dwordx4 s[24:27], s[4:5], 0x50
	s_add_i32 s0, s0, s48
	s_lshr_b32 s2, s0, 31
	s_add_i32 s0, s0, s2
	s_lshl_b32 s51, s21, 1
	s_ashr_i32 s49, s0, 1
	s_mul_i32 s0, s51, s21
	s_lshl_b32 s2, s0, 3
	s_waitcnt lgkmcnt(0)
	s_lshr_b32 s50, s27, 16
	s_and_b32 s27, s27, 0xffff
	s_add_i32 s52, s2, 0
	s_mul_i32 s0, s0, 3
	s_cmpk_lt_u32 s0, 0x2001
	s_mul_i32 s9, s21, s21
	s_cselect_b64 s[38:39], -1, 0
	s_ashr_i32 s3, s30, 31
	s_lshl_b32 s54, s9, 2
	s_cmp_lt_u32 s6, s49
	s_mul_i32 s0, s20, s21
	s_cselect_b64 s[4:5], -1, 0
	s_sub_i32 s55, s22, s0
	s_mov_b32 s2, s30
	s_cmp_lt_u32 s7, s48
	s_cselect_b64 s[40:41], -1, 0
	s_ashr_i32 s57, s31, 31
	s_lshl_b64 s[2:3], s[2:3], 3
	s_add_u32 s59, s28, s2
	s_addc_u32 s60, s29, s3
	s_lshl_b32 s2, s9, 4
	v_mad_u32_u24 v7, v1, s27, v0
	s_mul_i32 s56, s50, s27
	s_add_i32 s2, s2, 0
	v_cndmask_b32_e64 v2, 0, 1, s[4:5]
	s_mov_b32 s23, 0
	s_mov_b32 s53, s1
	v_cmp_gt_u32_e64 s[0:1], s54, v7
	s_mov_b32 s58, s31
	v_lshl_add_u32 v8, v7, 3, s2
	s_lshl_b32 s61, s56, 3
	v_lshl_add_u32 v9, v0, 3, 0
	v_lshlrev_b32_e32 v10, 3, v1
	s_lshl_b32 s62, s50, 3
	s_lshl_b32 s63, s27, 3
	v_mov_b32_e32 v3, 0
	v_cmp_ne_u32_e64 s[2:3], 1, v2
	s_branch .LBB58_3
.LBB58_2:                               ;   in Loop: Header=BB58_3 Depth=1
	s_add_i32 s8, s8, s26
	s_cmp_ge_u32 s8, s33
	s_cbranch_scc1 .LBB58_35
.LBB58_3:                               ; =>This Loop Header: Depth=1
                                        ;     Child Loop BB58_7 Depth 2
                                        ;       Child Loop BB58_11 Depth 3
                                        ;       Child Loop BB58_17 Depth 3
                                        ;         Child Loop BB58_23 Depth 4
                                        ;           Child Loop BB58_25 Depth 5
                                        ;         Child Loop BB58_29 Depth 4
                                        ;           Child Loop BB58_32 Depth 5
                                        ;             Child Loop BB58_34 Depth 6
	s_mov_b32 s9, s23
	s_lshl_b64 s[4:5], s[8:9], 2
	s_add_u32 s4, s36, s4
	s_addc_u32 s5, s37, s5
	s_load_dword s4, s[4:5], 0x4
	s_waitcnt lgkmcnt(0)
	s_cmp_lg_u32 s4, 0
	s_cbranch_scc1 .LBB58_2
; %bb.4:                                ;   in Loop: Header=BB58_3 Depth=1
	s_and_b64 vcc, exec, s[2:3]
	s_cbranch_vccnz .LBB58_2
; %bb.5:                                ;   in Loop: Header=BB58_3 Depth=1
	s_mul_i32 s4, s13, s8
	s_mul_hi_u32 s5, s12, s8
	s_add_i32 s5, s5, s4
	s_mul_i32 s4, s12, s8
	s_lshl_b64 s[4:5], s[4:5], 3
	s_add_u32 s9, s59, s4
	s_addc_u32 s64, s60, s5
	s_mul_i32 s65, s8, s49
	s_mov_b32 s22, s6
	s_branch .LBB58_7
.LBB58_6:                               ;   in Loop: Header=BB58_7 Depth=2
	s_add_i32 s22, s22, s24
	s_cmp_lt_u32 s22, s49
	s_cbranch_scc0 .LBB58_2
.LBB58_7:                               ;   Parent Loop BB58_3 Depth=1
                                        ; =>  This Loop Header: Depth=2
                                        ;       Child Loop BB58_11 Depth 3
                                        ;       Child Loop BB58_17 Depth 3
                                        ;         Child Loop BB58_23 Depth 4
                                        ;           Child Loop BB58_25 Depth 5
                                        ;         Child Loop BB58_29 Depth 4
                                        ;           Child Loop BB58_32 Depth 5
                                        ;             Child Loop BB58_34 Depth 6
	s_lshl_b64 s[4:5], s[22:23], 2
	s_add_u32 s10, s16, s4
	s_addc_u32 s11, s17, s5
	s_add_u32 s4, s18, s4
	s_addc_u32 s5, s19, s5
	s_load_dword s28, s[4:5], 0x0
	s_load_dword s29, s[10:11], 0x0
	s_waitcnt lgkmcnt(0)
	s_max_i32 s66, s29, s28
	s_cmp_gt_i32 s66, s20
	s_cbranch_scc1 .LBB58_6
; %bb.8:                                ;   in Loop: Header=BB58_7 Depth=2
	s_add_i32 s4, s22, s65
	s_mul_i32 s4, s54, s4
	s_mov_b32 s5, s23
	s_lshl_b64 s[4:5], s[4:5], 3
	s_add_u32 s30, s14, s4
	s_addc_u32 s31, s15, s5
	s_andn2_b64 vcc, exec, s[38:39]
	s_cbranch_vccnz .LBB58_13
; %bb.9:                                ;   in Loop: Header=BB58_7 Depth=2
	s_barrier
	s_and_saveexec_b64 s[4:5], s[0:1]
	s_cbranch_execz .LBB58_12
; %bb.10:                               ;   in Loop: Header=BB58_7 Depth=2
	s_mov_b64 s[10:11], 0
	v_mov_b32_e32 v4, s31
	v_mov_b32_e32 v5, v8
	;; [unrolled: 1-line block ×3, first 2 shown]
.LBB58_11:                              ;   Parent Loop BB58_3 Depth=1
                                        ;     Parent Loop BB58_7 Depth=2
                                        ; =>    This Inner Loop Header: Depth=3
	v_lshlrev_b64 v[11:12], 3, v[2:3]
	v_add_u32_e32 v2, s56, v2
	v_add_co_u32_e32 v11, vcc, s30, v11
	v_addc_co_u32_e32 v12, vcc, v4, v12, vcc
	global_load_dwordx2 v[11:12], v[11:12], off
	v_cmp_le_u32_e32 vcc, s54, v2
	s_or_b64 s[10:11], vcc, s[10:11]
	s_waitcnt vmcnt(0)
	ds_write_b64 v5, v[11:12]
	v_add_u32_e32 v5, s61, v5
	s_andn2_b64 exec, exec, s[10:11]
	s_cbranch_execnz .LBB58_11
.LBB58_12:                              ;   in Loop: Header=BB58_7 Depth=2
	s_or_b64 exec, exec, s[4:5]
	s_waitcnt lgkmcnt(0)
	s_barrier
.LBB58_13:                              ;   in Loop: Header=BB58_7 Depth=2
	s_andn2_b64 vcc, exec, s[40:41]
	s_cbranch_vccnz .LBB58_6
; %bb.14:                               ;   in Loop: Header=BB58_7 Depth=2
	s_min_i32 s67, s28, s29
	s_cmp_eq_u32 s67, s20
	s_cselect_b32 s69, s55, s21
	s_cmp_eq_u32 s66, s20
	s_cselect_b32 s4, s55, s21
	s_add_i32 s70, s69, s4
	v_mul_lo_u32 v2, v10, s70
	s_mul_i32 s10, s66, s21
	s_and_b64 s[4:5], s[38:39], exec
	s_cselect_b32 s71, s53, s31
	s_cselect_b32 s72, s52, s30
	s_sub_i32 s73, s10, s69
	s_cmp_gt_i32 s70, 0
	s_mul_i32 s68, s67, s21
	v_cmp_gt_u32_e64 s[4:5], s70, v0
	s_cselect_b64 s[28:29], -1, 0
	v_add_u32_e32 v11, v9, v2
	s_mul_i32 s74, s62, s70
	v_add_u32_e32 v12, 0, v2
	s_mov_b32 s75, s7
	s_branch .LBB58_17
.LBB58_15:                              ;   in Loop: Header=BB58_17 Depth=3
	s_or_b64 exec, exec, s[10:11]
	s_waitcnt vmcnt(0)
	s_barrier
.LBB58_16:                              ;   in Loop: Header=BB58_17 Depth=3
	s_add_i32 s75, s75, s25
	s_cmp_lt_u32 s75, s48
	s_cbranch_scc0 .LBB58_6
.LBB58_17:                              ;   Parent Loop BB58_3 Depth=1
                                        ;     Parent Loop BB58_7 Depth=2
                                        ; =>    This Loop Header: Depth=3
                                        ;         Child Loop BB58_23 Depth 4
                                        ;           Child Loop BB58_25 Depth 5
                                        ;         Child Loop BB58_29 Depth 4
                                        ;           Child Loop BB58_32 Depth 5
                                        ;             Child Loop BB58_34 Depth 6
	v_cmp_ne_u32_e32 vcc, 1, v6
	s_mov_b64 s[10:11], s[34:35]
	s_cbranch_vccz .LBB58_19
; %bb.18:                               ;   in Loop: Header=BB58_17 Depth=3
	s_andn2_b64 vcc, exec, s[10:11]
	s_cbranch_vccnz .LBB58_16
	s_branch .LBB58_20
.LBB58_19:                              ;   in Loop: Header=BB58_17 Depth=3
	s_cmp_lg_u32 s75, s67
	s_cselect_b64 s[10:11], -1, 0
	s_cmp_lg_u32 s75, s66
	s_cselect_b64 s[30:31], -1, 0
	s_and_b64 s[10:11], s[10:11], s[30:31]
	s_andn2_b64 vcc, exec, s[10:11]
	s_cbranch_vccnz .LBB58_16
.LBB58_20:                              ;   in Loop: Header=BB58_17 Depth=3
	s_cmp_eq_u32 s75, s20
	s_cselect_b32 s77, s55, s21
	s_mul_i32 s76, s75, s21
	v_cmp_gt_u32_e32 vcc, s77, v1
	s_barrier
	s_and_saveexec_b64 s[30:31], vcc
	s_cbranch_execz .LBB58_26
; %bb.21:                               ;   in Loop: Header=BB58_17 Depth=3
	s_mov_b64 s[42:43], 0
	v_mov_b32_e32 v4, v11
	v_mov_b32_e32 v5, v1
	s_branch .LBB58_23
.LBB58_22:                              ;   in Loop: Header=BB58_23 Depth=4
	s_or_b64 exec, exec, s[44:45]
	v_add_u32_e32 v5, s50, v5
	v_cmp_le_u32_e64 s[10:11], s77, v5
	s_or_b64 s[42:43], s[10:11], s[42:43]
	v_add_u32_e32 v4, s74, v4
	s_andn2_b64 exec, exec, s[42:43]
	s_cbranch_execz .LBB58_26
.LBB58_23:                              ;   Parent Loop BB58_3 Depth=1
                                        ;     Parent Loop BB58_7 Depth=2
                                        ;       Parent Loop BB58_17 Depth=3
                                        ; =>      This Loop Header: Depth=4
                                        ;           Child Loop BB58_25 Depth 5
	s_and_saveexec_b64 s[44:45], s[4:5]
	s_cbranch_execz .LBB58_22
; %bb.24:                               ;   in Loop: Header=BB58_23 Depth=4
	v_add_u32_e32 v15, s76, v5
	v_mad_u64_u32 v[13:14], s[10:11], v15, s58, 0
	s_mov_b64 s[46:47], 0
	v_mov_b32_e32 v16, v0
	v_mov_b32_e32 v2, v14
	v_mad_u64_u32 v[14:15], s[10:11], v15, s57, v[2:3]
	v_mov_b32_e32 v2, s64
	v_mov_b32_e32 v15, v4
	v_lshlrev_b64 v[13:14], 3, v[13:14]
	v_add_co_u32_e64 v13, s[10:11], s9, v13
	v_addc_co_u32_e64 v14, s[10:11], v2, v14, s[10:11]
.LBB58_25:                              ;   Parent Loop BB58_3 Depth=1
                                        ;     Parent Loop BB58_7 Depth=2
                                        ;       Parent Loop BB58_17 Depth=3
                                        ;         Parent Loop BB58_23 Depth=4
                                        ; =>        This Inner Loop Header: Depth=5
	v_mov_b32_e32 v2, s73
	v_mov_b32_e32 v17, s68
	v_cmp_gt_u32_e64 s[10:11], s69, v16
	v_cndmask_b32_e64 v2, v2, v17, s[10:11]
	v_add_u32_e32 v2, v2, v16
	v_lshlrev_b64 v[17:18], 3, v[2:3]
	v_add_u32_e32 v16, s27, v16
	v_add_co_u32_e64 v17, s[10:11], v13, v17
	v_addc_co_u32_e64 v18, s[10:11], v14, v18, s[10:11]
	global_load_dwordx2 v[17:18], v[17:18], off
	v_cmp_le_u32_e64 s[10:11], s70, v16
	s_or_b64 s[46:47], s[10:11], s[46:47]
	s_waitcnt vmcnt(0)
	ds_write_b64 v15, v[17:18]
	v_add_u32_e32 v15, s63, v15
	s_andn2_b64 exec, exec, s[46:47]
	s_cbranch_execnz .LBB58_25
	s_branch .LBB58_22
.LBB58_26:                              ;   in Loop: Header=BB58_17 Depth=3
	s_or_b64 exec, exec, s[30:31]
	s_waitcnt lgkmcnt(0)
	s_barrier
	s_and_saveexec_b64 s[10:11], vcc
	s_cbranch_execz .LBB58_15
; %bb.27:                               ;   in Loop: Header=BB58_17 Depth=3
	s_mov_b64 s[30:31], 0
	v_mov_b32_e32 v13, v12
	v_mov_b32_e32 v14, v1
	s_branch .LBB58_29
.LBB58_28:                              ;   in Loop: Header=BB58_29 Depth=4
	s_or_b64 exec, exec, s[42:43]
	v_add_u32_e32 v14, s50, v14
	v_cmp_le_u32_e32 vcc, s77, v14
	s_or_b64 s[30:31], vcc, s[30:31]
	v_add_u32_e32 v13, s74, v13
	s_andn2_b64 exec, exec, s[30:31]
	s_cbranch_execz .LBB58_15
.LBB58_29:                              ;   Parent Loop BB58_3 Depth=1
                                        ;     Parent Loop BB58_7 Depth=2
                                        ;       Parent Loop BB58_17 Depth=3
                                        ; =>      This Loop Header: Depth=4
                                        ;           Child Loop BB58_32 Depth 5
                                        ;             Child Loop BB58_34 Depth 6
	s_and_saveexec_b64 s[42:43], s[4:5]
	s_cbranch_execz .LBB58_28
; %bb.30:                               ;   in Loop: Header=BB58_29 Depth=4
	v_add_u32_e32 v15, s76, v14
	v_mad_u64_u32 v[4:5], s[44:45], v15, s58, 0
	v_mov_b32_e32 v17, v0
	v_mov_b32_e32 v2, v5
	v_mad_u64_u32 v[15:16], s[44:45], v15, s57, v[2:3]
	v_mov_b32_e32 v2, s64
	s_mov_b64 s[44:45], 0
	v_mov_b32_e32 v5, v15
	v_lshlrev_b64 v[4:5], 3, v[4:5]
	v_add_co_u32_e32 v15, vcc, s9, v4
	v_addc_co_u32_e32 v16, vcc, v2, v5, vcc
	s_branch .LBB58_32
.LBB58_31:                              ;   in Loop: Header=BB58_32 Depth=5
	v_mov_b32_e32 v2, s73
	v_mov_b32_e32 v18, s68
	v_cmp_gt_u32_e32 vcc, s69, v17
	v_cndmask_b32_e32 v2, v2, v18, vcc
	v_add_u32_e32 v2, v17, v2
	v_lshlrev_b64 v[18:19], 3, v[2:3]
	v_add_u32_e32 v17, s27, v17
	v_add_co_u32_e32 v18, vcc, v15, v18
	v_addc_co_u32_e32 v19, vcc, v16, v19, vcc
	v_cmp_le_u32_e32 vcc, s70, v17
	s_or_b64 s[44:45], vcc, s[44:45]
	global_store_dwordx2 v[18:19], v[4:5], off
	s_andn2_b64 exec, exec, s[44:45]
	s_cbranch_execz .LBB58_28
.LBB58_32:                              ;   Parent Loop BB58_3 Depth=1
                                        ;     Parent Loop BB58_7 Depth=2
                                        ;       Parent Loop BB58_17 Depth=3
                                        ;         Parent Loop BB58_29 Depth=4
                                        ; =>        This Loop Header: Depth=5
                                        ;             Child Loop BB58_34 Depth 6
	v_mov_b32_e32 v4, 0
	v_mov_b32_e32 v5, 0
	s_andn2_b64 vcc, exec, s[28:29]
	s_cbranch_vccnz .LBB58_31
; %bb.33:                               ;   in Loop: Header=BB58_32 Depth=5
	v_mov_b32_e32 v2, v17
	s_mov_b32 s46, s70
	v_mov_b32_e32 v18, v13
.LBB58_34:                              ;   Parent Loop BB58_3 Depth=1
                                        ;     Parent Loop BB58_7 Depth=2
                                        ;       Parent Loop BB58_17 Depth=3
                                        ;         Parent Loop BB58_29 Depth=4
                                        ;           Parent Loop BB58_32 Depth=5
                                        ; =>          This Inner Loop Header: Depth=6
	v_lshlrev_b64 v[19:20], 3, v[2:3]
	v_mov_b32_e32 v21, s71
	v_add_co_u32_e32 v19, vcc, s72, v19
	v_addc_co_u32_e32 v20, vcc, v21, v20, vcc
	flat_load_dwordx2 v[19:20], v[19:20]
	ds_read_b64 v[21:22], v18
	s_add_i32 s46, s46, -1
	v_add_u32_e32 v18, 8, v18
	s_cmp_eq_u32 s46, 0
	v_add_u32_e32 v2, s51, v2
	s_waitcnt vmcnt(0) lgkmcnt(0)
	v_fma_f64 v[4:5], v[19:20], v[21:22], v[4:5]
	s_cbranch_scc0 .LBB58_34
	s_branch .LBB58_31
.LBB58_35:
	s_endpgm
	.section	.rodata,"a",@progbits
	.p2align	6, 0x0
	.amdhsa_kernel _ZN9rocsolver6v33100L17syevj_offd_rotateILb1EddPdEEvbiiT2_iilPT0_PiS6_S6_i
		.amdhsa_group_segment_fixed_size 0
		.amdhsa_private_segment_fixed_size 0
		.amdhsa_kernarg_size 336
		.amdhsa_user_sgpr_count 6
		.amdhsa_user_sgpr_private_segment_buffer 1
		.amdhsa_user_sgpr_dispatch_ptr 0
		.amdhsa_user_sgpr_queue_ptr 0
		.amdhsa_user_sgpr_kernarg_segment_ptr 1
		.amdhsa_user_sgpr_dispatch_id 0
		.amdhsa_user_sgpr_flat_scratch_init 0
		.amdhsa_user_sgpr_private_segment_size 0
		.amdhsa_uses_dynamic_stack 0
		.amdhsa_system_sgpr_private_segment_wavefront_offset 0
		.amdhsa_system_sgpr_workgroup_id_x 1
		.amdhsa_system_sgpr_workgroup_id_y 1
		.amdhsa_system_sgpr_workgroup_id_z 1
		.amdhsa_system_sgpr_workgroup_info 0
		.amdhsa_system_vgpr_workitem_id 1
		.amdhsa_next_free_vgpr 23
		.amdhsa_next_free_sgpr 78
		.amdhsa_reserve_vcc 1
		.amdhsa_reserve_flat_scratch 0
		.amdhsa_float_round_mode_32 0
		.amdhsa_float_round_mode_16_64 0
		.amdhsa_float_denorm_mode_32 3
		.amdhsa_float_denorm_mode_16_64 3
		.amdhsa_dx10_clamp 1
		.amdhsa_ieee_mode 1
		.amdhsa_fp16_overflow 0
		.amdhsa_exception_fp_ieee_invalid_op 0
		.amdhsa_exception_fp_denorm_src 0
		.amdhsa_exception_fp_ieee_div_zero 0
		.amdhsa_exception_fp_ieee_overflow 0
		.amdhsa_exception_fp_ieee_underflow 0
		.amdhsa_exception_fp_ieee_inexact 0
		.amdhsa_exception_int_div_zero 0
	.end_amdhsa_kernel
	.section	.text._ZN9rocsolver6v33100L17syevj_offd_rotateILb1EddPdEEvbiiT2_iilPT0_PiS6_S6_i,"axG",@progbits,_ZN9rocsolver6v33100L17syevj_offd_rotateILb1EddPdEEvbiiT2_iilPT0_PiS6_S6_i,comdat
.Lfunc_end58:
	.size	_ZN9rocsolver6v33100L17syevj_offd_rotateILb1EddPdEEvbiiT2_iilPT0_PiS6_S6_i, .Lfunc_end58-_ZN9rocsolver6v33100L17syevj_offd_rotateILb1EddPdEEvbiiT2_iilPT0_PiS6_S6_i
                                        ; -- End function
	.set _ZN9rocsolver6v33100L17syevj_offd_rotateILb1EddPdEEvbiiT2_iilPT0_PiS6_S6_i.num_vgpr, 23
	.set _ZN9rocsolver6v33100L17syevj_offd_rotateILb1EddPdEEvbiiT2_iilPT0_PiS6_S6_i.num_agpr, 0
	.set _ZN9rocsolver6v33100L17syevj_offd_rotateILb1EddPdEEvbiiT2_iilPT0_PiS6_S6_i.numbered_sgpr, 78
	.set _ZN9rocsolver6v33100L17syevj_offd_rotateILb1EddPdEEvbiiT2_iilPT0_PiS6_S6_i.num_named_barrier, 0
	.set _ZN9rocsolver6v33100L17syevj_offd_rotateILb1EddPdEEvbiiT2_iilPT0_PiS6_S6_i.private_seg_size, 0
	.set _ZN9rocsolver6v33100L17syevj_offd_rotateILb1EddPdEEvbiiT2_iilPT0_PiS6_S6_i.uses_vcc, 1
	.set _ZN9rocsolver6v33100L17syevj_offd_rotateILb1EddPdEEvbiiT2_iilPT0_PiS6_S6_i.uses_flat_scratch, 0
	.set _ZN9rocsolver6v33100L17syevj_offd_rotateILb1EddPdEEvbiiT2_iilPT0_PiS6_S6_i.has_dyn_sized_stack, 0
	.set _ZN9rocsolver6v33100L17syevj_offd_rotateILb1EddPdEEvbiiT2_iilPT0_PiS6_S6_i.has_recursion, 0
	.set _ZN9rocsolver6v33100L17syevj_offd_rotateILb1EddPdEEvbiiT2_iilPT0_PiS6_S6_i.has_indirect_call, 0
	.section	.AMDGPU.csdata,"",@progbits
; Kernel info:
; codeLenInByte = 1452
; TotalNumSgprs: 82
; NumVgprs: 23
; ScratchSize: 0
; MemoryBound: 0
; FloatMode: 240
; IeeeMode: 1
; LDSByteSize: 0 bytes/workgroup (compile time only)
; SGPRBlocks: 10
; VGPRBlocks: 5
; NumSGPRsForWavesPerEU: 82
; NumVGPRsForWavesPerEU: 23
; Occupancy: 9
; WaveLimiterHint : 1
; COMPUTE_PGM_RSRC2:SCRATCH_EN: 0
; COMPUTE_PGM_RSRC2:USER_SGPR: 6
; COMPUTE_PGM_RSRC2:TRAP_HANDLER: 0
; COMPUTE_PGM_RSRC2:TGID_X_EN: 1
; COMPUTE_PGM_RSRC2:TGID_Y_EN: 1
; COMPUTE_PGM_RSRC2:TGID_Z_EN: 1
; COMPUTE_PGM_RSRC2:TIDIG_COMP_CNT: 1
	.section	.text._ZN9rocsolver6v33100L17syevj_cycle_pairsIdEEviPiS2_,"axG",@progbits,_ZN9rocsolver6v33100L17syevj_cycle_pairsIdEEviPiS2_,comdat
	.globl	_ZN9rocsolver6v33100L17syevj_cycle_pairsIdEEviPiS2_ ; -- Begin function _ZN9rocsolver6v33100L17syevj_cycle_pairsIdEEviPiS2_
	.p2align	8
	.type	_ZN9rocsolver6v33100L17syevj_cycle_pairsIdEEviPiS2_,@function
_ZN9rocsolver6v33100L17syevj_cycle_pairsIdEEviPiS2_: ; @_ZN9rocsolver6v33100L17syevj_cycle_pairsIdEEviPiS2_
; %bb.0:
	s_load_dword s8, s[4:5], 0x0
	s_load_dwordx4 s[0:3], s[4:5], 0x8
	s_load_dword s11, s[4:5], 0x24
	v_cmp_eq_u32_e32 vcc, 0, v0
	s_waitcnt lgkmcnt(0)
	s_add_i32 s9, s8, -1
	s_and_saveexec_b64 s[4:5], vcc
	s_cbranch_execz .LBB59_6
; %bb.1:
	s_lshl_b32 s6, s9, 1
	s_or_b32 s7, s6, 1
	s_bfe_i32 s10, s9, 0x1001e
	s_add_i32 s12, s7, s10
	s_xor_b32 s10, s12, s10
	v_cvt_f32_u32_e32 v1, s10
	s_load_dword s12, s[2:3], 0x0
	s_sub_i32 s14, 0, s10
	v_rcp_iflag_f32_e32 v1, v1
	s_waitcnt lgkmcnt(0)
	s_add_i32 s12, s12, -1
	s_ashr_i32 s13, s12, 31
	v_mul_f32_e32 v1, 0x4f7ffffe, v1
	v_cvt_u32_f32_e32 v1, v1
	s_abs_i32 s12, s12
	v_readfirstlane_b32 s15, v1
	s_mul_i32 s14, s14, s15
	s_mul_hi_u32 s14, s15, s14
	s_add_i32 s15, s15, s14
	s_mul_hi_u32 s14, s12, s15
	s_mul_i32 s14, s14, s10
	s_sub_i32 s12, s12, s14
	s_sub_i32 s14, s12, s10
	s_cmp_ge_u32 s12, s10
	s_cselect_b32 s12, s14, s12
	s_sub_i32 s14, s12, s10
	s_cmp_ge_u32 s12, s10
	s_cselect_b32 s10, s14, s12
	s_xor_b32 s10, s10, s13
	s_sub_i32 s10, s10, s13
	s_bitcmp0_b32 s10, 0
	s_cbranch_scc1 .LBB59_3
; %bb.2:
	s_add_i32 s12, s10, 3
	s_cmp_gt_i32 s12, s6
	s_cselect_b32 s12, s7, s12
	s_cbranch_execz .LBB59_4
	s_branch .LBB59_5
.LBB59_3:
                                        ; implicit-def: $sgpr12
.LBB59_4:
	s_add_i32 s6, s10, -1
	s_cmp_gt_i32 s10, 1
	s_cselect_b32 s12, s6, 2
.LBB59_5:
	v_mov_b32_e32 v1, 0
	v_mov_b32_e32 v2, s12
	global_store_dword v1, v2, s[2:3]
.LBB59_6:
	s_or_b64 exec, exec, s[4:5]
	v_add_u32_e32 v2, 1, v0
	v_cmp_gt_i32_e32 vcc, s8, v2
	s_and_saveexec_b64 s[4:5], vcc
	s_cbranch_execz .LBB59_17
; %bb.7:
	s_lshl_b32 s9, s9, 1
	s_or_b32 s10, s9, 1
	v_cvt_f32_u32_e32 v1, s10
	s_sub_i32 s4, 0, s10
	v_lshlrev_b32_e32 v0, 2, v0
	s_and_b32 s11, 0xffff, s11
	v_rcp_iflag_f32_e32 v1, v1
	v_mov_b32_e32 v3, s1
	s_lshl_b32 s1, s11, 2
	v_mov_b32_e32 v7, s3
	v_mul_f32_e32 v1, 0x4f7ffffe, v1
	v_cvt_u32_f32_e32 v1, v1
	v_mul_lo_u32 v4, s4, v1
	s_mov_b64 s[4:5], 0
	v_mul_hi_u32 v6, v1, v4
	v_add_co_u32_e32 v4, vcc, 4, v0
	v_addc_co_u32_e64 v5, s[6:7], 0, 0, vcc
	v_add_u32_e32 v6, v1, v6
	s_branch .LBB59_9
.LBB59_8:                               ;   in Loop: Header=BB59_9 Depth=1
	s_or_b64 exec, exec, s[6:7]
	v_add_u32_e32 v2, s11, v2
	v_cmp_le_i32_e32 vcc, s8, v2
	s_or_b64 s[4:5], vcc, s[4:5]
	v_add_co_u32_e32 v4, vcc, s1, v4
	v_addc_co_u32_e32 v5, vcc, 0, v5, vcc
	global_store_dword v[0:1], v8, off
	s_andn2_b64 exec, exec, s[4:5]
	s_cbranch_execz .LBB59_17
.LBB59_9:                               ; =>This Inner Loop Header: Depth=1
	v_add_co_u32_e32 v0, vcc, s0, v4
	v_addc_co_u32_e32 v1, vcc, v3, v5, vcc
	global_load_dword v8, v[0:1], off
	s_waitcnt vmcnt(0)
	v_add_u32_e32 v8, -1, v8
	v_sub_u32_e32 v9, 0, v8
	v_max_i32_e32 v9, v8, v9
	v_mul_hi_u32 v10, v9, v6
	v_ashrrev_i32_e32 v8, 31, v8
	v_mul_lo_u32 v10, v10, s10
	v_sub_u32_e32 v9, v9, v10
	v_subrev_u32_e32 v10, s10, v9
	v_cmp_le_u32_e32 vcc, s10, v9
	v_cndmask_b32_e32 v9, v9, v10, vcc
	v_subrev_u32_e32 v10, s10, v9
	v_cmp_le_u32_e32 vcc, s10, v9
	v_cndmask_b32_e32 v9, v9, v10, vcc
	v_xor_b32_e32 v9, v9, v8
	v_sub_u32_e32 v9, v9, v8
	v_and_b32_e32 v8, 1, v9
	v_cmp_eq_u32_e32 vcc, 1, v8
                                        ; implicit-def: $vgpr8
	s_and_saveexec_b64 s[6:7], vcc
	s_xor_b64 s[6:7], exec, s[6:7]
; %bb.10:                               ;   in Loop: Header=BB59_9 Depth=1
	v_add_u32_e32 v8, 3, v9
	v_mov_b32_e32 v9, s10
	v_cmp_lt_i32_e32 vcc, s9, v8
	v_cndmask_b32_e32 v8, v8, v9, vcc
                                        ; implicit-def: $vgpr9
; %bb.11:                               ;   in Loop: Header=BB59_9 Depth=1
	s_andn2_saveexec_b64 s[6:7], s[6:7]
; %bb.12:                               ;   in Loop: Header=BB59_9 Depth=1
	v_add_u32_e32 v8, -1, v9
	v_cmp_lt_i32_e32 vcc, 1, v9
	v_cndmask_b32_e32 v8, 2, v8, vcc
; %bb.13:                               ;   in Loop: Header=BB59_9 Depth=1
	s_or_b64 exec, exec, s[6:7]
	global_store_dword v[0:1], v8, off
	v_add_co_u32_e32 v0, vcc, s2, v4
	v_addc_co_u32_e32 v1, vcc, v7, v5, vcc
	global_load_dword v8, v[0:1], off
	s_waitcnt vmcnt(0)
	v_add_u32_e32 v8, -1, v8
	v_sub_u32_e32 v9, 0, v8
	v_max_i32_e32 v9, v8, v9
	v_mul_hi_u32 v10, v9, v6
	v_ashrrev_i32_e32 v8, 31, v8
	v_mul_lo_u32 v10, v10, s10
	v_sub_u32_e32 v9, v9, v10
	v_subrev_u32_e32 v10, s10, v9
	v_cmp_le_u32_e32 vcc, s10, v9
	v_cndmask_b32_e32 v9, v9, v10, vcc
	v_subrev_u32_e32 v10, s10, v9
	v_cmp_le_u32_e32 vcc, s10, v9
	v_cndmask_b32_e32 v9, v9, v10, vcc
	v_xor_b32_e32 v9, v9, v8
	v_sub_u32_e32 v9, v9, v8
	v_and_b32_e32 v8, 1, v9
	v_cmp_eq_u32_e32 vcc, 1, v8
                                        ; implicit-def: $vgpr8
	s_and_saveexec_b64 s[6:7], vcc
	s_xor_b64 s[6:7], exec, s[6:7]
; %bb.14:                               ;   in Loop: Header=BB59_9 Depth=1
	v_add_u32_e32 v8, 3, v9
	v_mov_b32_e32 v9, s10
	v_cmp_lt_i32_e32 vcc, s9, v8
	v_cndmask_b32_e32 v8, v8, v9, vcc
                                        ; implicit-def: $vgpr9
; %bb.15:                               ;   in Loop: Header=BB59_9 Depth=1
	s_andn2_saveexec_b64 s[6:7], s[6:7]
	s_cbranch_execz .LBB59_8
; %bb.16:                               ;   in Loop: Header=BB59_9 Depth=1
	v_add_u32_e32 v8, -1, v9
	v_cmp_lt_i32_e32 vcc, 1, v9
	v_cndmask_b32_e32 v8, 2, v8, vcc
	s_branch .LBB59_8
.LBB59_17:
	s_endpgm
	.section	.rodata,"a",@progbits
	.p2align	6, 0x0
	.amdhsa_kernel _ZN9rocsolver6v33100L17syevj_cycle_pairsIdEEviPiS2_
		.amdhsa_group_segment_fixed_size 0
		.amdhsa_private_segment_fixed_size 0
		.amdhsa_kernarg_size 280
		.amdhsa_user_sgpr_count 6
		.amdhsa_user_sgpr_private_segment_buffer 1
		.amdhsa_user_sgpr_dispatch_ptr 0
		.amdhsa_user_sgpr_queue_ptr 0
		.amdhsa_user_sgpr_kernarg_segment_ptr 1
		.amdhsa_user_sgpr_dispatch_id 0
		.amdhsa_user_sgpr_flat_scratch_init 0
		.amdhsa_user_sgpr_private_segment_size 0
		.amdhsa_uses_dynamic_stack 0
		.amdhsa_system_sgpr_private_segment_wavefront_offset 0
		.amdhsa_system_sgpr_workgroup_id_x 1
		.amdhsa_system_sgpr_workgroup_id_y 0
		.amdhsa_system_sgpr_workgroup_id_z 0
		.amdhsa_system_sgpr_workgroup_info 0
		.amdhsa_system_vgpr_workitem_id 0
		.amdhsa_next_free_vgpr 11
		.amdhsa_next_free_sgpr 16
		.amdhsa_reserve_vcc 1
		.amdhsa_reserve_flat_scratch 0
		.amdhsa_float_round_mode_32 0
		.amdhsa_float_round_mode_16_64 0
		.amdhsa_float_denorm_mode_32 3
		.amdhsa_float_denorm_mode_16_64 3
		.amdhsa_dx10_clamp 1
		.amdhsa_ieee_mode 1
		.amdhsa_fp16_overflow 0
		.amdhsa_exception_fp_ieee_invalid_op 0
		.amdhsa_exception_fp_denorm_src 0
		.amdhsa_exception_fp_ieee_div_zero 0
		.amdhsa_exception_fp_ieee_overflow 0
		.amdhsa_exception_fp_ieee_underflow 0
		.amdhsa_exception_fp_ieee_inexact 0
		.amdhsa_exception_int_div_zero 0
	.end_amdhsa_kernel
	.section	.text._ZN9rocsolver6v33100L17syevj_cycle_pairsIdEEviPiS2_,"axG",@progbits,_ZN9rocsolver6v33100L17syevj_cycle_pairsIdEEviPiS2_,comdat
.Lfunc_end59:
	.size	_ZN9rocsolver6v33100L17syevj_cycle_pairsIdEEviPiS2_, .Lfunc_end59-_ZN9rocsolver6v33100L17syevj_cycle_pairsIdEEviPiS2_
                                        ; -- End function
	.set _ZN9rocsolver6v33100L17syevj_cycle_pairsIdEEviPiS2_.num_vgpr, 11
	.set _ZN9rocsolver6v33100L17syevj_cycle_pairsIdEEviPiS2_.num_agpr, 0
	.set _ZN9rocsolver6v33100L17syevj_cycle_pairsIdEEviPiS2_.numbered_sgpr, 16
	.set _ZN9rocsolver6v33100L17syevj_cycle_pairsIdEEviPiS2_.num_named_barrier, 0
	.set _ZN9rocsolver6v33100L17syevj_cycle_pairsIdEEviPiS2_.private_seg_size, 0
	.set _ZN9rocsolver6v33100L17syevj_cycle_pairsIdEEviPiS2_.uses_vcc, 1
	.set _ZN9rocsolver6v33100L17syevj_cycle_pairsIdEEviPiS2_.uses_flat_scratch, 0
	.set _ZN9rocsolver6v33100L17syevj_cycle_pairsIdEEviPiS2_.has_dyn_sized_stack, 0
	.set _ZN9rocsolver6v33100L17syevj_cycle_pairsIdEEviPiS2_.has_recursion, 0
	.set _ZN9rocsolver6v33100L17syevj_cycle_pairsIdEEviPiS2_.has_indirect_call, 0
	.section	.AMDGPU.csdata,"",@progbits
; Kernel info:
; codeLenInByte = 684
; TotalNumSgprs: 20
; NumVgprs: 11
; ScratchSize: 0
; MemoryBound: 0
; FloatMode: 240
; IeeeMode: 1
; LDSByteSize: 0 bytes/workgroup (compile time only)
; SGPRBlocks: 2
; VGPRBlocks: 2
; NumSGPRsForWavesPerEU: 20
; NumVGPRsForWavesPerEU: 11
; Occupancy: 10
; WaveLimiterHint : 0
; COMPUTE_PGM_RSRC2:SCRATCH_EN: 0
; COMPUTE_PGM_RSRC2:USER_SGPR: 6
; COMPUTE_PGM_RSRC2:TRAP_HANDLER: 0
; COMPUTE_PGM_RSRC2:TGID_X_EN: 1
; COMPUTE_PGM_RSRC2:TGID_Y_EN: 0
; COMPUTE_PGM_RSRC2:TGID_Z_EN: 0
; COMPUTE_PGM_RSRC2:TIDIG_COMP_CNT: 0
	.section	.text._ZN9rocsolver6v33100L15syevj_calc_normIddEEviiPT0_PT_S3_Pi,"axG",@progbits,_ZN9rocsolver6v33100L15syevj_calc_normIddEEviiPT0_PT_S3_Pi,comdat
	.globl	_ZN9rocsolver6v33100L15syevj_calc_normIddEEviiPT0_PT_S3_Pi ; -- Begin function _ZN9rocsolver6v33100L15syevj_calc_normIddEEviiPT0_PT_S3_Pi
	.p2align	8
	.type	_ZN9rocsolver6v33100L15syevj_calc_normIddEEviiPT0_PT_S3_Pi,@function
_ZN9rocsolver6v33100L15syevj_calc_normIddEEviiPT0_PT_S3_Pi: ; @_ZN9rocsolver6v33100L15syevj_calc_normIddEEviiPT0_PT_S3_Pi
; %bb.0:
	s_load_dwordx8 s[8:15], s[4:5], 0x8
	s_mov_b32 s6, s7
	s_ashr_i32 s7, s7, 31
	s_lshl_b64 s[0:1], s[6:7], 2
	s_waitcnt lgkmcnt(0)
	s_add_u32 s2, s14, s0
	s_addc_u32 s3, s15, s1
	s_load_dword s0, s[2:3], 0x4
	s_waitcnt lgkmcnt(0)
	s_cmp_lg_u32 s0, 0
	s_cbranch_scc0 .LBB60_2
.LBB60_1:
	s_endpgm
.LBB60_2:
	s_load_dword s0, s[4:5], 0x34
	s_load_dwordx2 s[16:17], s[4:5], 0x0
	v_mov_b32_e32 v1, 0
	v_mov_b32_e32 v2, 0
	s_waitcnt lgkmcnt(0)
	s_and_b32 s24, s0, 0xffff
	v_cmp_gt_i32_e32 vcc, s16, v0
	s_and_saveexec_b64 s[4:5], vcc
	s_cbranch_execz .LBB60_10
; %bb.3:
	s_mul_i32 s0, s16, s6
	s_mul_i32 s0, s0, s16
	s_ashr_i32 s1, s0, 31
	s_lshl_b64 s[0:1], s[0:1], 3
	s_add_u32 s0, s10, s0
	v_lshlrev_b32_e32 v1, 3, v0
	s_addc_u32 s1, s11, s1
	v_mov_b32_e32 v2, s1
	v_add_co_u32_e32 v3, vcc, s0, v1
	v_addc_co_u32_e32 v4, vcc, 0, v2, vcc
	s_ashr_i32 s1, s16, 31
	s_mov_b32 s0, s16
	v_mov_b32_e32 v1, 0
	s_lshl_b32 s25, s24, 3
	s_lshl_b64 s[10:11], s[0:1], 3
	v_mov_b32_e32 v2, 0
	s_mov_b64 s[18:19], 0
	v_mov_b32_e32 v7, v0
	s_branch .LBB60_6
.LBB60_4:                               ;   in Loop: Header=BB60_6 Depth=1
	s_or_b64 exec, exec, s[22:23]
.LBB60_5:                               ;   in Loop: Header=BB60_6 Depth=1
	s_or_b64 exec, exec, s[20:21]
	v_add_u32_e32 v7, s24, v7
	v_cmp_le_i32_e32 vcc, s16, v7
	s_or_b64 s[18:19], vcc, s[18:19]
	v_add_co_u32_e32 v3, vcc, s25, v3
	v_addc_co_u32_e32 v4, vcc, 0, v4, vcc
	s_andn2_b64 exec, exec, s[18:19]
	s_cbranch_execz .LBB60_9
.LBB60_6:                               ; =>This Loop Header: Depth=1
                                        ;     Child Loop BB60_8 Depth 2
	v_cmp_ne_u32_e32 vcc, 0, v7
	s_and_saveexec_b64 s[20:21], vcc
	s_cbranch_execz .LBB60_5
; %bb.7:                                ;   in Loop: Header=BB60_6 Depth=1
	v_mov_b32_e32 v6, v4
	s_mov_b64 s[22:23], 0
	v_mov_b32_e32 v5, v3
	v_mov_b32_e32 v8, v7
.LBB60_8:                               ;   Parent Loop BB60_6 Depth=1
                                        ; =>  This Inner Loop Header: Depth=2
	global_load_dwordx2 v[9:10], v[5:6], off
	v_add_u32_e32 v8, -1, v8
	v_add_co_u32_e32 v5, vcc, s10, v5
	v_cmp_eq_u32_e64 s[0:1], 0, v8
	s_or_b64 s[22:23], s[0:1], s[22:23]
	s_waitcnt vmcnt(0)
	v_mul_f64 v[9:10], v[9:10], v[9:10]
	v_fma_f64 v[1:2], v[9:10], 2.0, v[1:2]
	v_mov_b32_e32 v9, s11
	v_addc_co_u32_e32 v6, vcc, v6, v9, vcc
	s_andn2_b64 exec, exec, s[22:23]
	s_cbranch_execnz .LBB60_8
	s_branch .LBB60_4
.LBB60_9:
	s_or_b64 exec, exec, s[18:19]
.LBB60_10:
	s_or_b64 exec, exec, s[4:5]
	v_lshl_add_u32 v3, v0, 3, 0
	v_cmp_eq_u32_e32 vcc, 0, v0
	ds_write_b64 v3, v[1:2]
	s_waitcnt lgkmcnt(0)
	s_barrier
	s_and_saveexec_b64 s[0:1], vcc
	s_cbranch_execz .LBB60_1
; %bb.11:
	s_min_i32 s1, s16, s24
	s_cmp_lt_i32 s1, 2
	s_cbranch_scc1 .LBB60_20
; %bb.12:
	s_add_i32 s0, s1, -1
	s_add_i32 s1, s1, -2
	s_cmp_lt_u32 s1, 7
	s_cbranch_scc1 .LBB60_16
; %bb.13:
	s_mov_b32 s5, 0
	s_add_i32 s1, 0, 8
	s_and_b32 s4, s0, -8
.LBB60_14:                              ; =>This Inner Loop Header: Depth=1
	v_mov_b32_e32 v11, s1
	ds_read2_b64 v[3:6], v11 offset1:1
	ds_read2_b64 v[7:10], v11 offset0:2 offset1:3
	s_mov_b32 s10, s5
	s_add_i32 s1, s1, 64
	s_add_i32 s5, s5, 8
	s_waitcnt lgkmcnt(1)
	v_add_f64 v[0:1], v[1:2], v[3:4]
	s_cmp_lg_u32 s4, s5
	v_add_f64 v[0:1], v[0:1], v[5:6]
	s_waitcnt lgkmcnt(0)
	v_add_f64 v[0:1], v[0:1], v[7:8]
	v_add_f64 v[8:9], v[0:1], v[9:10]
	ds_read2_b64 v[0:3], v11 offset0:4 offset1:5
	ds_read2_b64 v[4:7], v11 offset0:6 offset1:7
	s_waitcnt lgkmcnt(1)
	v_add_f64 v[0:1], v[8:9], v[0:1]
	v_add_f64 v[0:1], v[0:1], v[2:3]
	s_waitcnt lgkmcnt(0)
	v_add_f64 v[0:1], v[0:1], v[4:5]
	v_add_f64 v[1:2], v[0:1], v[6:7]
	s_cbranch_scc1 .LBB60_14
; %bb.15:
	s_add_i32 s1, s10, 9
	s_branch .LBB60_17
.LBB60_16:
	s_mov_b32 s1, 1
.LBB60_17:
	s_and_b32 s0, s0, 7
	s_cmp_eq_u32 s0, 0
	s_cbranch_scc1 .LBB60_20
; %bb.18:
	s_lshl_b32 s1, s1, 3
	s_add_i32 s1, s1, 0
.LBB60_19:                              ; =>This Inner Loop Header: Depth=1
	v_mov_b32_e32 v0, s1
	ds_read_b64 v[3:4], v0
	s_add_i32 s1, s1, 8
	s_add_i32 s0, s0, -1
	s_cmp_lg_u32 s0, 0
	s_waitcnt lgkmcnt(0)
	v_add_f64 v[1:2], v[1:2], v[3:4]
	s_cbranch_scc1 .LBB60_19
.LBB60_20:
	s_lshl_b64 s[0:1], s[6:7], 3
	s_add_u32 s4, s8, s0
	s_addc_u32 s5, s9, s1
	v_mov_b32_e32 v0, 0
	s_add_u32 s0, s12, s0
	global_store_dwordx2 v0, v[1:2], s[4:5]
	s_addc_u32 s1, s13, s1
	global_load_dwordx2 v[3:4], v0, s[0:1]
	s_waitcnt vmcnt(0)
	v_cmp_lt_f64_e32 vcc, v[1:2], v[3:4]
	s_and_b64 exec, exec, vcc
	s_cbranch_execz .LBB60_1
; %bb.21:
	s_add_i32 s4, s17, 1
	s_mov_b64 s[0:1], exec
	v_mov_b32_e32 v1, s4
	global_store_dword v0, v1, s[2:3] offset:4
	v_mbcnt_lo_u32_b32 v0, s0, 0
	v_mbcnt_hi_u32_b32 v0, s1, v0
	v_cmp_eq_u32_e32 vcc, 0, v0
	s_and_b64 s[2:3], exec, vcc
	s_mov_b64 exec, s[2:3]
	s_cbranch_execz .LBB60_1
; %bb.22:
	s_bcnt1_i32_b64 s0, s[0:1]
	v_mov_b32_e32 v0, 0
	v_mov_b32_e32 v1, s0
	global_atomic_add v0, v1, s[14:15]
	s_endpgm
	.section	.rodata,"a",@progbits
	.p2align	6, 0x0
	.amdhsa_kernel _ZN9rocsolver6v33100L15syevj_calc_normIddEEviiPT0_PT_S3_Pi
		.amdhsa_group_segment_fixed_size 0
		.amdhsa_private_segment_fixed_size 0
		.amdhsa_kernarg_size 296
		.amdhsa_user_sgpr_count 6
		.amdhsa_user_sgpr_private_segment_buffer 1
		.amdhsa_user_sgpr_dispatch_ptr 0
		.amdhsa_user_sgpr_queue_ptr 0
		.amdhsa_user_sgpr_kernarg_segment_ptr 1
		.amdhsa_user_sgpr_dispatch_id 0
		.amdhsa_user_sgpr_flat_scratch_init 0
		.amdhsa_user_sgpr_private_segment_size 0
		.amdhsa_uses_dynamic_stack 0
		.amdhsa_system_sgpr_private_segment_wavefront_offset 0
		.amdhsa_system_sgpr_workgroup_id_x 1
		.amdhsa_system_sgpr_workgroup_id_y 1
		.amdhsa_system_sgpr_workgroup_id_z 0
		.amdhsa_system_sgpr_workgroup_info 0
		.amdhsa_system_vgpr_workitem_id 0
		.amdhsa_next_free_vgpr 12
		.amdhsa_next_free_sgpr 26
		.amdhsa_reserve_vcc 1
		.amdhsa_reserve_flat_scratch 0
		.amdhsa_float_round_mode_32 0
		.amdhsa_float_round_mode_16_64 0
		.amdhsa_float_denorm_mode_32 3
		.amdhsa_float_denorm_mode_16_64 3
		.amdhsa_dx10_clamp 1
		.amdhsa_ieee_mode 1
		.amdhsa_fp16_overflow 0
		.amdhsa_exception_fp_ieee_invalid_op 0
		.amdhsa_exception_fp_denorm_src 0
		.amdhsa_exception_fp_ieee_div_zero 0
		.amdhsa_exception_fp_ieee_overflow 0
		.amdhsa_exception_fp_ieee_underflow 0
		.amdhsa_exception_fp_ieee_inexact 0
		.amdhsa_exception_int_div_zero 0
	.end_amdhsa_kernel
	.section	.text._ZN9rocsolver6v33100L15syevj_calc_normIddEEviiPT0_PT_S3_Pi,"axG",@progbits,_ZN9rocsolver6v33100L15syevj_calc_normIddEEviiPT0_PT_S3_Pi,comdat
.Lfunc_end60:
	.size	_ZN9rocsolver6v33100L15syevj_calc_normIddEEviiPT0_PT_S3_Pi, .Lfunc_end60-_ZN9rocsolver6v33100L15syevj_calc_normIddEEviiPT0_PT_S3_Pi
                                        ; -- End function
	.set _ZN9rocsolver6v33100L15syevj_calc_normIddEEviiPT0_PT_S3_Pi.num_vgpr, 12
	.set _ZN9rocsolver6v33100L15syevj_calc_normIddEEviiPT0_PT_S3_Pi.num_agpr, 0
	.set _ZN9rocsolver6v33100L15syevj_calc_normIddEEviiPT0_PT_S3_Pi.numbered_sgpr, 26
	.set _ZN9rocsolver6v33100L15syevj_calc_normIddEEviiPT0_PT_S3_Pi.num_named_barrier, 0
	.set _ZN9rocsolver6v33100L15syevj_calc_normIddEEviiPT0_PT_S3_Pi.private_seg_size, 0
	.set _ZN9rocsolver6v33100L15syevj_calc_normIddEEviiPT0_PT_S3_Pi.uses_vcc, 1
	.set _ZN9rocsolver6v33100L15syevj_calc_normIddEEviiPT0_PT_S3_Pi.uses_flat_scratch, 0
	.set _ZN9rocsolver6v33100L15syevj_calc_normIddEEviiPT0_PT_S3_Pi.has_dyn_sized_stack, 0
	.set _ZN9rocsolver6v33100L15syevj_calc_normIddEEviiPT0_PT_S3_Pi.has_recursion, 0
	.set _ZN9rocsolver6v33100L15syevj_calc_normIddEEviiPT0_PT_S3_Pi.has_indirect_call, 0
	.section	.AMDGPU.csdata,"",@progbits
; Kernel info:
; codeLenInByte = 736
; TotalNumSgprs: 30
; NumVgprs: 12
; ScratchSize: 0
; MemoryBound: 0
; FloatMode: 240
; IeeeMode: 1
; LDSByteSize: 0 bytes/workgroup (compile time only)
; SGPRBlocks: 3
; VGPRBlocks: 2
; NumSGPRsForWavesPerEU: 30
; NumVGPRsForWavesPerEU: 12
; Occupancy: 10
; WaveLimiterHint : 0
; COMPUTE_PGM_RSRC2:SCRATCH_EN: 0
; COMPUTE_PGM_RSRC2:USER_SGPR: 6
; COMPUTE_PGM_RSRC2:TRAP_HANDLER: 0
; COMPUTE_PGM_RSRC2:TGID_X_EN: 1
; COMPUTE_PGM_RSRC2:TGID_Y_EN: 1
; COMPUTE_PGM_RSRC2:TGID_Z_EN: 0
; COMPUTE_PGM_RSRC2:TIDIG_COMP_CNT: 0
	.section	.text._ZN9rocsolver6v33100L14syevj_finalizeIddPdEEv14rocblas_esort_14rocblas_evect_iT1_iilPT0_iPiS7_lS8_PT_S8_,"axG",@progbits,_ZN9rocsolver6v33100L14syevj_finalizeIddPdEEv14rocblas_esort_14rocblas_evect_iT1_iilPT0_iPiS7_lS8_PT_S8_,comdat
	.globl	_ZN9rocsolver6v33100L14syevj_finalizeIddPdEEv14rocblas_esort_14rocblas_evect_iT1_iilPT0_iPiS7_lS8_PT_S8_ ; -- Begin function _ZN9rocsolver6v33100L14syevj_finalizeIddPdEEv14rocblas_esort_14rocblas_evect_iT1_iilPT0_iPiS7_lS8_PT_S8_
	.p2align	8
	.type	_ZN9rocsolver6v33100L14syevj_finalizeIddPdEEv14rocblas_esort_14rocblas_evect_iT1_iilPT0_iPiS7_lS8_PT_S8_,@function
_ZN9rocsolver6v33100L14syevj_finalizeIddPdEEv14rocblas_esort_14rocblas_evect_iT1_iilPT0_iPiS7_lS8_PT_S8_: ; @_ZN9rocsolver6v33100L14syevj_finalizeIddPdEEv14rocblas_esort_14rocblas_evect_iT1_iilPT0_iPiS7_lS8_PT_S8_
; %bb.0:
	s_load_dwordx4 s[20:23], s[4:5], 0x20
	s_load_dwordx8 s[8:15], s[4:5], 0x38
	s_load_dwordx4 s[24:27], s[4:5], 0x58
	s_mov_b32 s28, s7
	s_ashr_i32 s29, s7, 31
	v_cmp_eq_u32_e64 s[0:1], 0, v0
	s_and_saveexec_b64 s[2:3], s[0:1]
	s_cbranch_execz .LBB61_2
; %bb.1:
	s_lshl_b64 s[6:7], s[28:29], 2
	s_waitcnt lgkmcnt(0)
	s_add_u32 s16, s26, s6
	s_addc_u32 s17, s27, s7
	s_lshl_b64 s[18:19], s[28:29], 3
	s_add_u32 s18, s22, s18
	s_addc_u32 s19, s23, s19
	s_load_dwordx2 s[22:23], s[18:19], 0x0
	v_mov_b32_e32 v1, 0
	v_bfrev_b32_e32 v2, 8
	v_mov_b32_e32 v10, 0x260
	v_mov_b32_e32 v9, 0
	s_waitcnt lgkmcnt(0)
	v_cmp_lt_f64_e32 vcc, s[22:23], v[1:2]
	s_and_b64 s[26:27], vcc, exec
	s_cselect_b32 s26, 0x100, 0
	v_mov_b32_e32 v1, s26
	v_ldexp_f64 v[1:2], s[22:23], v1
	s_load_dword s22, s[4:5], 0x30
	s_load_dword s23, s[16:17], 0x4
	s_cselect_b32 s26, 0xffffff80, 0
	s_waitcnt lgkmcnt(0)
	s_add_i32 s27, s23, -1
	s_cmp_lt_i32 s23, 1
	v_rsq_f64_e32 v[3:4], v[1:2]
	v_cmp_class_f64_e32 vcc, v[1:2], v10
	s_cselect_b64 s[16:17], -1, 0
	v_mul_f64 v[5:6], v[1:2], v[3:4]
	v_mul_f64 v[3:4], v[3:4], 0.5
	v_fma_f64 v[7:8], -v[3:4], v[5:6], 0.5
	v_fma_f64 v[5:6], v[5:6], v[7:8], v[5:6]
	v_fma_f64 v[3:4], v[3:4], v[7:8], v[3:4]
	v_fma_f64 v[7:8], -v[5:6], v[5:6], v[1:2]
	v_fma_f64 v[5:6], v[7:8], v[3:4], v[5:6]
	v_fma_f64 v[7:8], -v[5:6], v[5:6], v[1:2]
	v_fma_f64 v[3:4], v[7:8], v[3:4], v[5:6]
	v_cndmask_b32_e64 v5, 0, 1, s[16:17]
	s_and_b64 s[16:17], s[16:17], exec
	s_cselect_b32 s16, s22, s27
	s_add_u32 s8, s8, s6
	s_addc_u32 s9, s9, s7
	v_mov_b32_e32 v6, s16
	s_add_u32 s6, s14, s6
	v_ldexp_f64 v[3:4], v[3:4], s26
	global_store_dword v9, v6, s[8:9]
	s_addc_u32 s7, s15, s7
	v_cndmask_b32_e32 v2, v4, v2, vcc
	v_cndmask_b32_e32 v1, v3, v1, vcc
	global_store_dwordx2 v9, v[1:2], s[18:19]
	global_store_dword v9, v5, s[6:7]
.LBB61_2:
	s_or_b64 exec, exec, s[2:3]
	s_load_dwordx4 s[16:19], s[4:5], 0x0
	s_waitcnt lgkmcnt(0)
	s_mul_i32 s2, s12, s29
	s_mul_hi_u32 s3, s12, s28
	s_add_i32 s2, s3, s2
	s_mul_i32 s3, s13, s28
	s_add_i32 s3, s2, s3
	s_mul_i32 s2, s12, s28
	s_lshl_b64 s[22:23], s[2:3], 3
	s_add_u32 s19, s10, s22
	s_addc_u32 s26, s11, s23
	v_cmp_gt_i32_e64 s[2:3], s18, v0
	s_and_saveexec_b64 s[8:9], s[2:3]
	s_cbranch_execz .LBB61_5
; %bb.3:
	s_mul_i32 s6, s18, s28
	s_mul_i32 s6, s6, s18
	s_ashr_i32 s7, s6, 31
	s_load_dword s12, s[4:5], 0x74
	s_lshl_b64 s[6:7], s[6:7], 3
	s_add_u32 s14, s24, s6
	s_addc_u32 s25, s25, s7
	v_mad_u64_u32 v[1:2], s[6:7], v0, s18, v[0:1]
	s_add_i32 s24, s18, 1
	s_waitcnt lgkmcnt(0)
	s_and_b32 s15, s12, 0xffff
	s_mul_i32 s24, s24, s15
	s_mov_b64 s[12:13], 0
	v_mov_b32_e32 v5, s25
	v_mov_b32_e32 v6, s26
	;; [unrolled: 1-line block ×3, first 2 shown]
.LBB61_4:                               ; =>This Inner Loop Header: Depth=1
	v_ashrrev_i32_e32 v2, 31, v1
	v_lshlrev_b64 v[7:8], 3, v[1:2]
	v_ashrrev_i32_e32 v4, 31, v3
	v_add_co_u32_e32 v7, vcc, s14, v7
	v_addc_co_u32_e32 v8, vcc, v5, v8, vcc
	global_load_dwordx2 v[7:8], v[7:8], off
	v_lshlrev_b64 v[9:10], 3, v[3:4]
	v_add_u32_e32 v3, s15, v3
	v_cmp_le_i32_e32 vcc, s18, v3
	v_add_co_u32_e64 v9, s[6:7], s19, v9
	v_addc_co_u32_e64 v10, s[6:7], v6, v10, s[6:7]
	s_or_b64 s[12:13], vcc, s[12:13]
	v_add_u32_e32 v1, s24, v1
	s_waitcnt vmcnt(0)
	global_store_dwordx2 v[9:10], v[7:8], off
	s_andn2_b64 exec, exec, s[12:13]
	s_cbranch_execnz .LBB61_4
.LBB61_5:
	s_or_b64 exec, exec, s[8:9]
	s_cmpk_lg_i32 s17, 0xd5
	s_cselect_b64 s[24:25], -1, 0
	v_cmp_eq_u32_e32 vcc, 0, v0
	s_or_b64 s[8:9], vcc, s[24:25]
	s_cmpk_lg_i32 s16, 0xfb
	s_cselect_b64 s[12:13], -1, 0
	s_and_b64 s[8:9], s[12:13], s[8:9]
	s_cmp_gt_i32 s18, 1
	s_cselect_b64 s[12:13], -1, 0
	s_mov_b32 s7, 0
	s_and_b64 s[8:9], s[12:13], s[8:9]
	s_waitcnt vmcnt(0)
	s_barrier
	s_and_saveexec_b64 s[12:13], s[8:9]
	s_cbranch_execz .LBB61_18
; %bb.6:
	s_load_dwordx4 s[12:15], s[4:5], 0x10
	s_mul_i32 s6, s20, s29
	s_mul_hi_u32 s8, s20, s28
	s_add_i32 s6, s8, s6
	s_mul_i32 s16, s20, s28
	s_waitcnt lgkmcnt(0)
	s_ashr_i32 s9, s14, 31
	s_mov_b32 s8, s14
	s_mul_i32 s14, s21, s28
	s_add_i32 s17, s6, s14
	s_lshl_b64 s[16:17], s[16:17], 3
	s_add_u32 s6, s12, s16
	s_addc_u32 s12, s13, s17
	s_lshl_b64 s[8:9], s[8:9], 3
	s_add_u32 s14, s6, s8
	s_addc_u32 s27, s12, s9
	s_add_u32 s8, s4, 0x68
	s_addc_u32 s9, s5, 0
	s_add_i32 s28, s18, -2
	s_add_u32 s4, s10, s22
	s_addc_u32 s5, s11, s23
	s_add_u32 s10, s4, 8
	v_cndmask_b32_e64 v1, 0, 1, s[24:25]
	s_addc_u32 s11, s5, 0
	v_mov_b32_e32 v3, 0
	v_cmp_ne_u32_e64 s[4:5], 1, v1
	s_mov_b32 s22, 0
	s_mov_b32 s23, 0
	s_branch .LBB61_9
.LBB61_7:                               ;   in Loop: Header=BB61_9 Depth=1
	s_or_b64 exec, exec, s[16:17]
	s_waitcnt vmcnt(0)
	s_barrier
.LBB61_8:                               ;   in Loop: Header=BB61_9 Depth=1
	s_add_u32 s10, s10, 8
	s_addc_u32 s11, s11, 0
	s_add_i32 s22, s22, s15
	s_cmp_lg_u32 s6, s28
	s_cbranch_scc0 .LBB61_18
.LBB61_9:                               ; =>This Loop Header: Depth=1
                                        ;     Child Loop BB61_10 Depth 2
                                        ;     Child Loop BB61_17 Depth 2
	s_mov_b32 s6, s23
	s_lshl_b64 s[12:13], s[6:7], 3
	s_add_u32 s16, s19, s12
	s_addc_u32 s17, s26, s13
	global_load_dwordx2 v[1:2], v3, s[16:17]
	s_add_i32 s23, s23, 1
	s_mov_b64 s[20:21], s[10:11]
	s_mov_b32 s13, s23
	s_mov_b32 s12, s6
.LBB61_10:                              ;   Parent Loop BB61_9 Depth=1
                                        ; =>  This Inner Loop Header: Depth=2
	global_load_dwordx2 v[4:5], v3, s[20:21]
	s_waitcnt vmcnt(0)
	v_cmp_lt_f64_e32 vcc, v[4:5], v[1:2]
	s_and_b64 s[24:25], vcc, exec
	s_cselect_b32 s12, s13, s12
	s_add_i32 s13, s13, 1
	s_add_u32 s20, s20, 8
	s_addc_u32 s21, s21, 0
	v_cndmask_b32_e32 v2, v2, v5, vcc
	s_cmp_lg_u32 s18, s13
	v_cndmask_b32_e32 v1, v1, v4, vcc
	s_cbranch_scc1 .LBB61_10
; %bb.11:                               ;   in Loop: Header=BB61_9 Depth=1
	s_cmp_eq_u32 s12, s6
	s_barrier
	s_cbranch_scc1 .LBB61_8
; %bb.12:                               ;   in Loop: Header=BB61_9 Depth=1
	s_and_saveexec_b64 s[20:21], s[0:1]
	s_cbranch_execz .LBB61_14
; %bb.13:                               ;   in Loop: Header=BB61_9 Depth=1
	global_load_dwordx2 v[4:5], v3, s[16:17]
	s_ashr_i32 s13, s12, 31
	s_lshl_b64 s[24:25], s[12:13], 3
	s_add_u32 s24, s19, s24
	s_addc_u32 s25, s26, s25
	s_waitcnt vmcnt(0)
	global_store_dwordx2 v3, v[4:5], s[24:25]
	global_store_dwordx2 v3, v[1:2], s[16:17]
.LBB61_14:                              ;   in Loop: Header=BB61_9 Depth=1
	s_or_b64 exec, exec, s[20:21]
	s_and_b64 vcc, exec, s[4:5]
	s_cbranch_vccnz .LBB61_8
; %bb.15:                               ;   in Loop: Header=BB61_9 Depth=1
	s_and_saveexec_b64 s[16:17], s[2:3]
	s_cbranch_execz .LBB61_7
; %bb.16:                               ;   in Loop: Header=BB61_9 Depth=1
	s_load_dword s21, s[8:9], 0xc
	s_mul_i32 s20, s12, s15
	s_mov_b64 s[12:13], 0
	v_mov_b32_e32 v1, v0
	s_waitcnt lgkmcnt(0)
	s_and_b32 s21, s21, 0xffff
.LBB61_17:                              ;   Parent Loop BB61_9 Depth=1
                                        ; =>  This Inner Loop Header: Depth=2
	v_add_u32_e32 v4, s20, v1
	v_ashrrev_i32_e32 v5, 31, v4
	v_add_u32_e32 v6, s22, v1
	v_lshlrev_b64 v[4:5], 3, v[4:5]
	v_ashrrev_i32_e32 v7, 31, v6
	v_mov_b32_e32 v2, s27
	v_lshlrev_b64 v[6:7], 3, v[6:7]
	v_add_co_u32_e32 v4, vcc, s14, v4
	v_addc_co_u32_e32 v5, vcc, v2, v5, vcc
	v_mov_b32_e32 v8, s27
	v_add_co_u32_e32 v6, vcc, s14, v6
	v_addc_co_u32_e32 v7, vcc, v8, v7, vcc
	global_load_dwordx2 v[8:9], v[6:7], off
	global_load_dwordx2 v[10:11], v[4:5], off
	v_add_u32_e32 v1, s21, v1
	v_cmp_le_i32_e32 vcc, s18, v1
	s_or_b64 s[12:13], vcc, s[12:13]
	s_waitcnt vmcnt(1)
	global_store_dwordx2 v[4:5], v[8:9], off
	s_waitcnt vmcnt(1)
	global_store_dwordx2 v[6:7], v[10:11], off
	s_andn2_b64 exec, exec, s[12:13]
	s_cbranch_execnz .LBB61_17
	s_branch .LBB61_7
.LBB61_18:
	s_endpgm
	.section	.rodata,"a",@progbits
	.p2align	6, 0x0
	.amdhsa_kernel _ZN9rocsolver6v33100L14syevj_finalizeIddPdEEv14rocblas_esort_14rocblas_evect_iT1_iilPT0_iPiS7_lS8_PT_S8_
		.amdhsa_group_segment_fixed_size 0
		.amdhsa_private_segment_fixed_size 0
		.amdhsa_kernarg_size 360
		.amdhsa_user_sgpr_count 6
		.amdhsa_user_sgpr_private_segment_buffer 1
		.amdhsa_user_sgpr_dispatch_ptr 0
		.amdhsa_user_sgpr_queue_ptr 0
		.amdhsa_user_sgpr_kernarg_segment_ptr 1
		.amdhsa_user_sgpr_dispatch_id 0
		.amdhsa_user_sgpr_flat_scratch_init 0
		.amdhsa_user_sgpr_private_segment_size 0
		.amdhsa_uses_dynamic_stack 0
		.amdhsa_system_sgpr_private_segment_wavefront_offset 0
		.amdhsa_system_sgpr_workgroup_id_x 1
		.amdhsa_system_sgpr_workgroup_id_y 1
		.amdhsa_system_sgpr_workgroup_id_z 0
		.amdhsa_system_sgpr_workgroup_info 0
		.amdhsa_system_vgpr_workitem_id 0
		.amdhsa_next_free_vgpr 12
		.amdhsa_next_free_sgpr 30
		.amdhsa_reserve_vcc 1
		.amdhsa_reserve_flat_scratch 0
		.amdhsa_float_round_mode_32 0
		.amdhsa_float_round_mode_16_64 0
		.amdhsa_float_denorm_mode_32 3
		.amdhsa_float_denorm_mode_16_64 3
		.amdhsa_dx10_clamp 1
		.amdhsa_ieee_mode 1
		.amdhsa_fp16_overflow 0
		.amdhsa_exception_fp_ieee_invalid_op 0
		.amdhsa_exception_fp_denorm_src 0
		.amdhsa_exception_fp_ieee_div_zero 0
		.amdhsa_exception_fp_ieee_overflow 0
		.amdhsa_exception_fp_ieee_underflow 0
		.amdhsa_exception_fp_ieee_inexact 0
		.amdhsa_exception_int_div_zero 0
	.end_amdhsa_kernel
	.section	.text._ZN9rocsolver6v33100L14syevj_finalizeIddPdEEv14rocblas_esort_14rocblas_evect_iT1_iilPT0_iPiS7_lS8_PT_S8_,"axG",@progbits,_ZN9rocsolver6v33100L14syevj_finalizeIddPdEEv14rocblas_esort_14rocblas_evect_iT1_iilPT0_iPiS7_lS8_PT_S8_,comdat
.Lfunc_end61:
	.size	_ZN9rocsolver6v33100L14syevj_finalizeIddPdEEv14rocblas_esort_14rocblas_evect_iT1_iilPT0_iPiS7_lS8_PT_S8_, .Lfunc_end61-_ZN9rocsolver6v33100L14syevj_finalizeIddPdEEv14rocblas_esort_14rocblas_evect_iT1_iilPT0_iPiS7_lS8_PT_S8_
                                        ; -- End function
	.set _ZN9rocsolver6v33100L14syevj_finalizeIddPdEEv14rocblas_esort_14rocblas_evect_iT1_iilPT0_iPiS7_lS8_PT_S8_.num_vgpr, 12
	.set _ZN9rocsolver6v33100L14syevj_finalizeIddPdEEv14rocblas_esort_14rocblas_evect_iT1_iilPT0_iPiS7_lS8_PT_S8_.num_agpr, 0
	.set _ZN9rocsolver6v33100L14syevj_finalizeIddPdEEv14rocblas_esort_14rocblas_evect_iT1_iilPT0_iPiS7_lS8_PT_S8_.numbered_sgpr, 30
	.set _ZN9rocsolver6v33100L14syevj_finalizeIddPdEEv14rocblas_esort_14rocblas_evect_iT1_iilPT0_iPiS7_lS8_PT_S8_.num_named_barrier, 0
	.set _ZN9rocsolver6v33100L14syevj_finalizeIddPdEEv14rocblas_esort_14rocblas_evect_iT1_iilPT0_iPiS7_lS8_PT_S8_.private_seg_size, 0
	.set _ZN9rocsolver6v33100L14syevj_finalizeIddPdEEv14rocblas_esort_14rocblas_evect_iT1_iilPT0_iPiS7_lS8_PT_S8_.uses_vcc, 1
	.set _ZN9rocsolver6v33100L14syevj_finalizeIddPdEEv14rocblas_esort_14rocblas_evect_iT1_iilPT0_iPiS7_lS8_PT_S8_.uses_flat_scratch, 0
	.set _ZN9rocsolver6v33100L14syevj_finalizeIddPdEEv14rocblas_esort_14rocblas_evect_iT1_iilPT0_iPiS7_lS8_PT_S8_.has_dyn_sized_stack, 0
	.set _ZN9rocsolver6v33100L14syevj_finalizeIddPdEEv14rocblas_esort_14rocblas_evect_iT1_iilPT0_iPiS7_lS8_PT_S8_.has_recursion, 0
	.set _ZN9rocsolver6v33100L14syevj_finalizeIddPdEEv14rocblas_esort_14rocblas_evect_iT1_iilPT0_iPiS7_lS8_PT_S8_.has_indirect_call, 0
	.section	.AMDGPU.csdata,"",@progbits
; Kernel info:
; codeLenInByte = 1128
; TotalNumSgprs: 34
; NumVgprs: 12
; ScratchSize: 0
; MemoryBound: 0
; FloatMode: 240
; IeeeMode: 1
; LDSByteSize: 0 bytes/workgroup (compile time only)
; SGPRBlocks: 4
; VGPRBlocks: 2
; NumSGPRsForWavesPerEU: 34
; NumVGPRsForWavesPerEU: 12
; Occupancy: 10
; WaveLimiterHint : 0
; COMPUTE_PGM_RSRC2:SCRATCH_EN: 0
; COMPUTE_PGM_RSRC2:USER_SGPR: 6
; COMPUTE_PGM_RSRC2:TRAP_HANDLER: 0
; COMPUTE_PGM_RSRC2:TGID_X_EN: 1
; COMPUTE_PGM_RSRC2:TGID_Y_EN: 1
; COMPUTE_PGM_RSRC2:TGID_Z_EN: 0
; COMPUTE_PGM_RSRC2:TIDIG_COMP_CNT: 0
	.section	.text._ZN9rocsolver6v33100L18geqr2_kernel_smallILi256EdidPdEEvT1_S3_T3_lS3_lPT2_lPT0_l,"axG",@progbits,_ZN9rocsolver6v33100L18geqr2_kernel_smallILi256EdidPdEEvT1_S3_T3_lS3_lPT2_lPT0_l,comdat
	.globl	_ZN9rocsolver6v33100L18geqr2_kernel_smallILi256EdidPdEEvT1_S3_T3_lS3_lPT2_lPT0_l ; -- Begin function _ZN9rocsolver6v33100L18geqr2_kernel_smallILi256EdidPdEEvT1_S3_T3_lS3_lPT2_lPT0_l
	.p2align	8
	.type	_ZN9rocsolver6v33100L18geqr2_kernel_smallILi256EdidPdEEvT1_S3_T3_lS3_lPT2_lPT0_l,@function
_ZN9rocsolver6v33100L18geqr2_kernel_smallILi256EdidPdEEvT1_S3_T3_lS3_lPT2_lPT0_l: ; @_ZN9rocsolver6v33100L18geqr2_kernel_smallILi256EdidPdEEvT1_S3_T3_lS3_lPT2_lPT0_l
; %bb.0:
	s_load_dwordx8 s[8:15], s[4:5], 0x20
	s_load_dwordx2 s[16:17], s[4:5], 0x0
	s_load_dwordx4 s[0:3], s[4:5], 0x8
	s_load_dword s28, s[4:5], 0x18
	s_load_dwordx2 s[18:19], s[4:5], 0x40
	s_ashr_i32 s6, s7, 31
	s_waitcnt lgkmcnt(0)
	s_mul_hi_u32 s4, s8, s7
	s_mul_i32 s5, s8, s6
	s_add_i32 s4, s4, s5
	s_mul_i32 s5, s9, s7
	s_add_i32 s5, s4, s5
	s_mul_i32 s4, s8, s7
	s_lshl_b64 s[4:5], s[4:5], 3
	s_add_u32 s4, s0, s4
	s_addc_u32 s5, s1, s5
	s_lshl_b64 s[0:1], s[2:3], 3
	s_add_u32 s26, s4, s0
	v_and_b32_e32 v1, 0x7f, v0
	s_addc_u32 s27, s5, s1
	v_cmp_gt_i32_e64 s[0:1], s16, v1
	v_lshrrev_b32_e32 v9, 7, v0
	v_lshlrev_b32_e32 v10, 3, v1
	s_and_saveexec_b64 s[4:5], s[0:1]
	s_cbranch_execz .LBB62_6
; %bb.1:
	v_lshrrev_b32_e32 v5, 7, v0
	v_mul_lo_u32 v2, s16, v5
	s_lshl_b32 s24, s16, 4
	v_cmp_gt_i32_e32 vcc, s17, v5
	s_lshl_b32 s25, s28, 1
	v_lshlrev_b32_e32 v2, 3, v2
	v_add3_u32 v6, v2, v10, 0
	v_mad_u64_u32 v[2:3], s[2:3], s28, v5, v[1:2]
	s_mov_b64 s[8:9], 0
	v_mov_b32_e32 v7, v1
	s_branch .LBB62_3
.LBB62_2:                               ;   in Loop: Header=BB62_3 Depth=1
	s_or_b64 exec, exec, s[20:21]
	v_add_u32_e32 v7, 0x80, v7
	v_cmp_le_i32_e64 s[2:3], s16, v7
	v_add_u32_e32 v6, 0x400, v6
	s_or_b64 s[8:9], s[2:3], s[8:9]
	v_add_u32_e32 v2, 0x80, v2
	s_andn2_b64 exec, exec, s[8:9]
	s_cbranch_execz .LBB62_6
.LBB62_3:                               ; =>This Loop Header: Depth=1
                                        ;     Child Loop BB62_5 Depth 2
	s_and_saveexec_b64 s[20:21], vcc
	s_cbranch_execz .LBB62_2
; %bb.4:                                ;   in Loop: Header=BB62_3 Depth=1
	s_mov_b64 s[22:23], 0
	v_mov_b32_e32 v3, v2
	v_mov_b32_e32 v8, v6
	;; [unrolled: 1-line block ×3, first 2 shown]
.LBB62_5:                               ;   Parent Loop BB62_3 Depth=1
                                        ; =>  This Inner Loop Header: Depth=2
	v_ashrrev_i32_e32 v4, 31, v3
	v_lshlrev_b64 v[12:13], 3, v[3:4]
	v_mov_b32_e32 v14, s27
	v_add_co_u32_e64 v12, s[2:3], s26, v12
	v_addc_co_u32_e64 v13, s[2:3], v14, v13, s[2:3]
	global_load_dwordx2 v[12:13], v[12:13], off
	v_add_u32_e32 v11, 2, v11
	v_cmp_le_i32_e64 s[2:3], s17, v11
	v_add_u32_e32 v3, s25, v3
	s_or_b64 s[22:23], s[2:3], s[22:23]
	s_waitcnt vmcnt(0)
	ds_write_b64 v8, v[12:13]
	v_add_u32_e32 v8, s24, v8
	s_andn2_b64 exec, exec, s[22:23]
	s_cbranch_execnz .LBB62_5
	s_branch .LBB62_2
.LBB62_6:
	s_or_b64 exec, exec, s[4:5]
	s_min_i32 s29, s17, s16
	s_cmp_lt_i32 s29, 1
	s_waitcnt lgkmcnt(0)
	s_barrier
	s_cbranch_scc1 .LBB62_43
; %bb.7:
	s_mul_i32 s2, s12, s6
	s_mul_hi_u32 s3, s12, s7
	s_add_i32 s2, s3, s2
	s_mul_i32 s3, s13, s7
	s_add_i32 s3, s2, s3
	s_mul_i32 s2, s12, s7
	s_lshl_b64 s[2:3], s[2:3], 3
	v_mbcnt_lo_u32_b32 v2, -1, 0
	s_add_u32 s30, s10, s2
	v_mbcnt_hi_u32_b32 v2, -1, v2
	s_addc_u32 s31, s11, s3
	s_mul_i32 s2, s18, s6
	s_mul_hi_u32 s3, s18, s7
	v_and_b32_e32 v3, 63, v2
	s_add_i32 s2, s3, s2
	s_mul_i32 s3, s19, s7
	v_cmp_ne_u32_e32 vcc, 63, v3
	s_add_i32 s3, s2, s3
	s_mul_i32 s2, s18, s7
	v_addc_co_u32_e32 v4, vcc, 0, v2, vcc
	s_lshl_b64 s[2:3], s[2:3], 3
	v_cmp_gt_u32_e32 vcc, 62, v3
	s_add_u32 s33, s14, s2
	s_mul_i32 s2, s17, s16
	v_lshlrev_b32_e32 v11, 2, v4
	v_cndmask_b32_e64 v4, 0, 2, vcc
	v_cmp_gt_u32_e32 vcc, 60, v3
	s_addc_u32 s34, s15, s3
	s_lshl_b32 s2, s2, 3
	v_add_lshl_u32 v12, v4, v2, 2
	v_cndmask_b32_e64 v4, 0, 4, vcc
	v_cmp_gt_u32_e32 vcc, 56, v3
	s_add_i32 s35, s2, 0
	s_lshl_b32 s2, s17, 3
	v_add_lshl_u32 v13, v4, v2, 2
	v_cndmask_b32_e64 v4, 0, 8, vcc
	s_add_i32 s36, s35, s2
	v_add_lshl_u32 v14, v4, v2, 2
	v_cmp_gt_u32_e32 vcc, 48, v3
	v_mul_lo_u32 v4, s16, v0
	v_cndmask_b32_e64 v3, 0, 16, vcc
	s_cmp_eq_u64 s[10:11], 0
	v_add_lshl_u32 v15, v3, v2, 2
	v_mov_b32_e32 v3, 0x80
	s_cselect_b64 s[12:13], -1, 0
	s_cmp_lg_u64 s[10:11], 0
	v_lshl_or_b32 v16, v2, 2, v3
	v_and_b32_e32 v2, 63, v0
	s_cselect_b64 s[10:11], -1, 0
	s_lshl_b32 s37, s16, 3
	s_mov_b32 s9, 0
	v_cmp_eq_u32_e64 s[2:3], 0, v2
	v_lshrrev_b32_e32 v2, 3, v0
	v_lshlrev_b32_e32 v3, 3, v0
	v_add_u32_e32 v4, s16, v4
	s_add_i32 s6, s37, 0
	s_mov_b32 s14, 0
	v_cmp_eq_u32_e64 s[4:5], 0, v0
	v_add3_u32 v17, v3, 0, 8
	s_add_i32 s38, s37, 8
	v_lshl_add_u32 v18, v4, 3, 0
	s_lshl_b32 s39, s16, 11
	v_add_u32_e32 v19, s6, v3
	v_add_u32_e32 v20, s36, v2
	s_brev_b32 s15, 8
	v_mov_b32_e32 v2, 0
	v_mov_b32_e32 v21, 0xffffff80
	s_mov_b32 s40, 0
	s_mov_b32 s41, s17
	;; [unrolled: 1-line block ×4, first 2 shown]
	s_branch .LBB62_9
.LBB62_8:                               ;   in Loop: Header=BB62_9 Depth=1
	s_or_b64 exec, exec, s[6:7]
	s_add_i32 s41, s41, -1
	s_add_i32 s8, s8, 1
	s_add_i32 s42, s42, -1
	s_add_i32 s40, s40, s38
	v_add_u32_e32 v17, s38, v17
	v_add_u32_e32 v18, s38, v18
	s_cmp_eq_u32 s8, s29
	v_add_u32_e32 v19, s38, v19
	s_waitcnt lgkmcnt(0)
	s_barrier
	s_cbranch_scc1 .LBB62_43
.LBB62_9:                               ; =>This Loop Header: Depth=1
                                        ;     Child Loop BB62_11 Depth 2
                                        ;     Child Loop BB62_30 Depth 2
	;; [unrolled: 1-line block ×3, first 2 shown]
                                        ;       Child Loop BB62_36 Depth 3
                                        ;     Child Loop BB62_40 Depth 2
                                        ;       Child Loop BB62_42 Depth 3
	s_sub_i32 s43, s16, s8
	s_add_i32 s45, s43, -1
	v_mov_b32_e32 v3, 0
	v_mov_b32_e32 v4, 0
	v_cmp_gt_i32_e64 s[6:7], s45, v0
	s_and_saveexec_b64 s[18:19], s[6:7]
	s_cbranch_execz .LBB62_13
; %bb.10:                               ;   in Loop: Header=BB62_9 Depth=1
	v_mov_b32_e32 v3, 0
	v_mov_b32_e32 v4, 0
	s_mov_b64 s[20:21], 0
	v_mov_b32_e32 v5, v17
	v_mov_b32_e32 v6, v0
.LBB62_11:                              ;   Parent Loop BB62_9 Depth=1
                                        ; =>  This Inner Loop Header: Depth=2
	ds_read_b64 v[7:8], v5
	v_add_u32_e32 v6, 0x100, v6
	v_cmp_le_i32_e32 vcc, s45, v6
	s_or_b64 s[20:21], vcc, s[20:21]
	v_add_u32_e32 v5, 0x800, v5
	s_waitcnt lgkmcnt(0)
	v_fma_f64 v[3:4], v[7:8], v[7:8], v[3:4]
	s_andn2_b64 exec, exec, s[20:21]
	s_cbranch_execnz .LBB62_11
; %bb.12:                               ;   in Loop: Header=BB62_9 Depth=1
	s_or_b64 exec, exec, s[20:21]
.LBB62_13:                              ;   in Loop: Header=BB62_9 Depth=1
	s_or_b64 exec, exec, s[18:19]
	ds_bpermute_b32 v5, v11, v3
	ds_bpermute_b32 v6, v11, v4
	s_waitcnt lgkmcnt(0)
	v_add_f64 v[3:4], v[3:4], v[5:6]
	ds_bpermute_b32 v5, v12, v3
	ds_bpermute_b32 v6, v12, v4
	s_waitcnt lgkmcnt(0)
	v_add_f64 v[3:4], v[3:4], v[5:6]
	;; [unrolled: 4-line block ×6, first 2 shown]
	s_and_saveexec_b64 s[18:19], s[2:3]
; %bb.14:                               ;   in Loop: Header=BB62_9 Depth=1
	ds_write_b64 v20, v[3:4] offset:8
; %bb.15:                               ;   in Loop: Header=BB62_9 Depth=1
	s_or_b64 exec, exec, s[18:19]
	s_lshl_b32 s18, s8, 3
	s_add_i32 s44, s18, 0
	s_mul_i32 s18, s8, s16
	s_lshl_b32 s18, s18, 3
	s_add_i32 s44, s44, s18
	s_waitcnt lgkmcnt(0)
	s_barrier
	s_and_saveexec_b64 s[18:19], s[4:5]
	s_cbranch_execz .LBB62_28
; %bb.16:                               ;   in Loop: Header=BB62_9 Depth=1
	v_mov_b32_e32 v22, s36
	ds_read2_b64 v[5:8], v22 offset0:2 offset1:3
	ds_read_b64 v[22:23], v22 offset:32
	s_mov_b64 s[24:25], 0
	s_mov_b64 s[20:21], 0
	s_waitcnt lgkmcnt(1)
	v_add_f64 v[3:4], v[3:4], v[5:6]
	v_add_f64 v[3:4], v[3:4], v[7:8]
	s_waitcnt lgkmcnt(0)
	v_add_f64 v[7:8], v[3:4], v[22:23]
                                        ; implicit-def: $vgpr3_vgpr4
	v_cmp_nlt_f64_e32 vcc, 0, v[7:8]
	s_and_saveexec_b64 s[22:23], vcc
	s_xor_b64 s[22:23], exec, s[22:23]
	s_cbranch_execz .LBB62_21
; %bb.17:                               ;   in Loop: Header=BB62_9 Depth=1
	v_mov_b32_e32 v3, v2
	v_mov_b32_e32 v4, s36
	s_and_b64 vcc, exec, s[10:11]
	ds_write_b64 v4, v[2:3]
	s_cbranch_vccz .LBB62_19
; %bb.18:                               ;   in Loop: Header=BB62_9 Depth=1
	v_mov_b32_e32 v3, s44
	ds_read_b64 v[3:4], v3
	s_mov_b64 s[20:21], -1
	s_branch .LBB62_20
.LBB62_19:                              ;   in Loop: Header=BB62_9 Depth=1
                                        ; implicit-def: $vgpr3_vgpr4
.LBB62_20:                              ;   in Loop: Header=BB62_9 Depth=1
	s_and_b64 s[20:21], s[20:21], exec
                                        ; implicit-def: $vgpr7_vgpr8
.LBB62_21:                              ;   in Loop: Header=BB62_9 Depth=1
	s_or_saveexec_b64 s[22:23], s[22:23]
	v_mov_b32_e32 v5, 0
	v_mov_b32_e32 v6, 0x3ff00000
	s_xor_b64 exec, exec, s[22:23]
	s_cbranch_execz .LBB62_23
; %bb.22:                               ;   in Loop: Header=BB62_9 Depth=1
	s_waitcnt lgkmcnt(0)
	v_mov_b32_e32 v3, s44
	ds_read_b64 v[22:23], v3
	v_mov_b32_e32 v5, 0x100
	s_andn2_b64 s[20:21], s[20:21], exec
	s_and_b64 s[46:47], s[10:11], exec
	s_or_b64 s[20:21], s[20:21], s[46:47]
	s_waitcnt lgkmcnt(0)
	v_fma_f64 v[3:4], v[22:23], v[22:23], v[7:8]
	v_cmp_gt_f64_e32 vcc, s[14:15], v[3:4]
	v_cndmask_b32_e32 v5, 0, v5, vcc
	v_ldexp_f64 v[3:4], v[3:4], v5
	v_rsq_f64_e32 v[5:6], v[3:4]
	v_mul_f64 v[7:8], v[3:4], v[5:6]
	v_mul_f64 v[5:6], v[5:6], 0.5
	v_fma_f64 v[24:25], -v[5:6], v[7:8], 0.5
	v_fma_f64 v[7:8], v[7:8], v[24:25], v[7:8]
	v_fma_f64 v[5:6], v[5:6], v[24:25], v[5:6]
	v_fma_f64 v[26:27], -v[7:8], v[7:8], v[3:4]
	v_fma_f64 v[7:8], v[26:27], v[5:6], v[7:8]
	v_fma_f64 v[24:25], -v[7:8], v[7:8], v[3:4]
	v_fma_f64 v[5:6], v[24:25], v[5:6], v[7:8]
	v_cndmask_b32_e32 v7, 0, v21, vcc
	v_ldexp_f64 v[5:6], v[5:6], v7
	v_mov_b32_e32 v7, 0x260
	v_cmp_class_f64_e32 vcc, v[3:4], v7
	v_cndmask_b32_e32 v3, v5, v3, vcc
	v_cndmask_b32_e32 v4, v6, v4, vcc
	v_cmp_le_f64_e32 vcc, 0, v[22:23]
	v_xor_b32_e32 v5, 0x80000000, v4
	v_cndmask_b32_e32 v4, v4, v5, vcc
	v_add_f64 v[5:6], v[22:23], -v[3:4]
	v_div_scale_f64 v[7:8], s[24:25], v[5:6], v[5:6], 1.0
	v_rcp_f64_e32 v[24:25], v[7:8]
	v_fma_f64 v[26:27], -v[7:8], v[24:25], 1.0
	v_fma_f64 v[24:25], v[24:25], v[26:27], v[24:25]
	v_fma_f64 v[26:27], -v[7:8], v[24:25], 1.0
	v_fma_f64 v[24:25], v[24:25], v[26:27], v[24:25]
	v_div_scale_f64 v[26:27], vcc, 1.0, v[5:6], 1.0
	v_mul_f64 v[28:29], v[26:27], v[24:25]
	v_fma_f64 v[7:8], -v[7:8], v[28:29], v[26:27]
	s_nop 1
	v_div_fmas_f64 v[7:8], v[7:8], v[24:25], v[28:29]
	v_div_fixup_f64 v[5:6], v[7:8], v[5:6], 1.0
	v_add_f64 v[7:8], v[3:4], -v[22:23]
	v_div_scale_f64 v[22:23], s[24:25], v[3:4], v[3:4], v[7:8]
	s_and_b64 s[24:25], s[12:13], exec
	v_rcp_f64_e32 v[24:25], v[22:23]
	v_fma_f64 v[26:27], -v[22:23], v[24:25], 1.0
	v_fma_f64 v[24:25], v[24:25], v[26:27], v[24:25]
	v_fma_f64 v[26:27], -v[22:23], v[24:25], 1.0
	v_fma_f64 v[24:25], v[24:25], v[26:27], v[24:25]
	v_div_scale_f64 v[26:27], vcc, v[7:8], v[3:4], v[7:8]
	v_mul_f64 v[28:29], v[26:27], v[24:25]
	v_fma_f64 v[22:23], -v[22:23], v[28:29], v[26:27]
	s_nop 1
	v_div_fmas_f64 v[22:23], v[22:23], v[24:25], v[28:29]
	v_div_fixup_f64 v[7:8], v[22:23], v[3:4], v[7:8]
	v_mov_b32_e32 v22, s36
	ds_write_b64 v22, v[7:8]
.LBB62_23:                              ;   in Loop: Header=BB62_9 Depth=1
	s_or_b64 exec, exec, s[22:23]
	s_and_saveexec_b64 s[22:23], s[20:21]
	s_cbranch_execz .LBB62_25
; %bb.24:                               ;   in Loop: Header=BB62_9 Depth=1
	s_lshl_b64 s[20:21], s[8:9], 3
	s_add_u32 s20, s30, s20
	s_addc_u32 s21, s31, s21
	s_waitcnt lgkmcnt(0)
	global_store_dwordx2 v2, v[3:4], s[20:21]
	v_mov_b32_e32 v3, 0
	v_mov_b32_e32 v4, 0x3ff00000
	s_or_b64 s[24:25], s[24:25], exec
.LBB62_25:                              ;   in Loop: Header=BB62_9 Depth=1
	s_or_b64 exec, exec, s[22:23]
	v_mov_b32_e32 v7, 0
	v_mov_b32_e32 v8, 0
	s_and_saveexec_b64 s[20:21], s[24:25]
	s_cbranch_execz .LBB62_27
; %bb.26:                               ;   in Loop: Header=BB62_9 Depth=1
	v_mov_b32_e32 v7, s44
	s_waitcnt lgkmcnt(0)
	ds_write_b64 v7, v[3:4]
	v_mov_b32_e32 v3, s36
	ds_read_b64 v[7:8], v3
.LBB62_27:                              ;   in Loop: Header=BB62_9 Depth=1
	s_or_b64 exec, exec, s[20:21]
	s_lshl_b64 s[20:21], s[8:9], 3
	s_add_u32 s20, s33, s20
	s_addc_u32 s21, s34, s21
	s_waitcnt lgkmcnt(0)
	v_mov_b32_e32 v3, s36
	global_store_dwordx2 v2, v[7:8], s[20:21]
	ds_write_b64 v3, v[5:6] offset:8
.LBB62_28:                              ;   in Loop: Header=BB62_9 Depth=1
	s_or_b64 exec, exec, s[18:19]
	s_waitcnt vmcnt(0) lgkmcnt(0)
	s_barrier
	s_and_saveexec_b64 s[18:19], s[6:7]
	s_cbranch_execz .LBB62_31
; %bb.29:                               ;   in Loop: Header=BB62_9 Depth=1
	s_mov_b32 s20, 0
	s_mov_b64 s[6:7], 0
	v_mov_b32_e32 v3, v0
.LBB62_30:                              ;   Parent Loop BB62_9 Depth=1
                                        ; =>  This Inner Loop Header: Depth=2
	v_mov_b32_e32 v4, s36
	v_add_u32_e32 v8, s20, v17
	ds_read_b64 v[4:5], v4 offset:8
	ds_read_b64 v[6:7], v8
	v_add_u32_e32 v3, 0x100, v3
	s_addk_i32 s20, 0x800
	v_cmp_le_i32_e32 vcc, s45, v3
	s_or_b64 s[6:7], vcc, s[6:7]
	s_waitcnt lgkmcnt(0)
	v_mul_f64 v[4:5], v[4:5], v[6:7]
	ds_write_b64 v8, v[4:5]
	s_andn2_b64 exec, exec, s[6:7]
	s_cbranch_execnz .LBB62_30
.LBB62_31:                              ;   in Loop: Header=BB62_9 Depth=1
	s_or_b64 exec, exec, s[18:19]
	s_not_b32 s6, s8
	s_add_i32 s22, s17, s6
	v_cmp_gt_i32_e32 vcc, s22, v0
	s_waitcnt lgkmcnt(0)
	s_barrier
	s_and_saveexec_b64 s[6:7], vcc
	s_cbranch_execz .LBB62_37
; %bb.32:                               ;   in Loop: Header=BB62_9 Depth=1
	s_cmp_gt_i32 s43, 0
	s_mov_b64 s[18:19], 0
	s_cselect_b64 s[20:21], -1, 0
	v_mov_b32_e32 v5, v18
	v_mov_b32_e32 v6, v0
	s_branch .LBB62_34
.LBB62_33:                              ;   in Loop: Header=BB62_34 Depth=2
	v_mov_b32_e32 v7, s36
	ds_read_b64 v[7:8], v7
	v_add_u32_e32 v5, s39, v5
	s_waitcnt lgkmcnt(0)
	v_mul_f64 v[3:4], v[3:4], v[7:8]
	v_lshl_add_u32 v7, v6, 3, s35
	v_add_u32_e32 v6, 0x100, v6
	v_cmp_le_i32_e32 vcc, s22, v6
	s_or_b64 s[18:19], vcc, s[18:19]
	ds_write_b64 v7, v[3:4]
	s_andn2_b64 exec, exec, s[18:19]
	s_cbranch_execz .LBB62_37
.LBB62_34:                              ;   Parent Loop BB62_9 Depth=1
                                        ; =>  This Loop Header: Depth=2
                                        ;       Child Loop BB62_36 Depth 3
	v_mov_b32_e32 v3, 0
	v_mov_b32_e32 v4, 0
	s_andn2_b64 vcc, exec, s[20:21]
	s_cbranch_vccnz .LBB62_33
; %bb.35:                               ;   in Loop: Header=BB62_34 Depth=2
	s_mov_b32 s23, s40
	s_mov_b32 s24, s42
	v_mov_b32_e32 v7, v5
.LBB62_36:                              ;   Parent Loop BB62_9 Depth=1
                                        ;     Parent Loop BB62_34 Depth=2
                                        ; =>    This Inner Loop Header: Depth=3
	v_mov_b32_e32 v8, s23
	ds_read_b64 v[22:23], v7
	ds_read_b64 v[24:25], v8
	s_add_i32 s24, s24, -1
	s_add_i32 s23, s23, 8
	s_cmp_eq_u32 s24, 0
	v_add_u32_e32 v7, 8, v7
	s_waitcnt lgkmcnt(0)
	v_fma_f64 v[3:4], v[22:23], v[24:25], v[3:4]
	s_cbranch_scc0 .LBB62_36
	s_branch .LBB62_33
.LBB62_37:                              ;   in Loop: Header=BB62_9 Depth=1
	s_or_b64 exec, exec, s[6:7]
	v_cmp_gt_i32_e32 vcc, s43, v0
	s_waitcnt lgkmcnt(0)
	s_barrier
	s_and_saveexec_b64 s[6:7], vcc
	s_cbranch_execz .LBB62_8
; %bb.38:                               ;   in Loop: Header=BB62_9 Depth=1
	s_cmp_gt_i32 s22, 0
	s_mov_b64 s[18:19], 0
	s_cselect_b64 s[20:21], -1, 0
	v_mov_b32_e32 v3, v19
	v_mov_b32_e32 v4, v0
	s_branch .LBB62_40
.LBB62_39:                              ;   in Loop: Header=BB62_40 Depth=2
	v_add_u32_e32 v4, 0x100, v4
	v_cmp_le_i32_e32 vcc, s43, v4
	s_or_b64 s[18:19], vcc, s[18:19]
	v_add_u32_e32 v3, 0x800, v3
	s_andn2_b64 exec, exec, s[18:19]
	s_cbranch_execz .LBB62_8
.LBB62_40:                              ;   Parent Loop BB62_9 Depth=1
                                        ; =>  This Loop Header: Depth=2
                                        ;       Child Loop BB62_42 Depth 3
	s_andn2_b64 vcc, exec, s[20:21]
	s_cbranch_vccnz .LBB62_39
; %bb.41:                               ;   in Loop: Header=BB62_40 Depth=2
	v_lshl_add_u32 v5, v4, 3, s44
	s_mov_b32 s22, 1
	s_mov_b32 s23, s35
	v_mov_b32_e32 v6, v3
.LBB62_42:                              ;   Parent Loop BB62_9 Depth=1
                                        ;     Parent Loop BB62_40 Depth=2
                                        ; =>    This Inner Loop Header: Depth=3
	v_mov_b32_e32 v24, s23
	ds_read_b64 v[7:8], v6
	ds_read_b64 v[22:23], v5
	;; [unrolled: 1-line block ×3, first 2 shown]
	s_add_i32 s22, s22, 1
	s_add_i32 s23, s23, 8
	s_cmp_eq_u32 s41, s22
	s_waitcnt lgkmcnt(0)
	v_fma_f64 v[7:8], -v[22:23], v[24:25], v[7:8]
	ds_write_b64 v6, v[7:8]
	v_add_u32_e32 v6, s37, v6
	s_cbranch_scc0 .LBB62_42
	s_branch .LBB62_39
.LBB62_43:
	s_and_saveexec_b64 s[2:3], s[0:1]
	s_cbranch_execz .LBB62_49
; %bb.44:
	v_mul_lo_u32 v0, s16, v9
	v_mad_u64_u32 v[2:3], s[0:1], s28, v9, v[1:2]
	v_cmp_gt_i32_e32 vcc, s17, v9
	v_lshlrev_b32_e32 v0, 3, v0
	s_lshl_b32 s8, s28, 1
	v_add3_u32 v0, v0, v10, 0
	s_lshl_b32 s9, s16, 4
	s_mov_b64 s[2:3], 0
	s_branch .LBB62_46
.LBB62_45:                              ;   in Loop: Header=BB62_46 Depth=1
	s_or_b64 exec, exec, s[4:5]
	v_add_u32_e32 v1, 0x80, v1
	v_cmp_le_i32_e64 s[0:1], s16, v1
	v_add_u32_e32 v2, 0x80, v2
	s_or_b64 s[2:3], s[0:1], s[2:3]
	v_add_u32_e32 v0, 0x400, v0
	s_andn2_b64 exec, exec, s[2:3]
	s_cbranch_execz .LBB62_49
.LBB62_46:                              ; =>This Loop Header: Depth=1
                                        ;     Child Loop BB62_48 Depth 2
	s_and_saveexec_b64 s[4:5], vcc
	s_cbranch_execz .LBB62_45
; %bb.47:                               ;   in Loop: Header=BB62_46 Depth=1
	s_mov_b64 s[6:7], 0
	v_mov_b32_e32 v5, v0
	v_mov_b32_e32 v3, v2
	;; [unrolled: 1-line block ×3, first 2 shown]
.LBB62_48:                              ;   Parent Loop BB62_46 Depth=1
                                        ; =>  This Inner Loop Header: Depth=2
	ds_read_b64 v[7:8], v5
	v_ashrrev_i32_e32 v4, 31, v3
	v_add_u32_e32 v6, 2, v6
	v_lshlrev_b64 v[10:11], 3, v[3:4]
	v_cmp_le_i32_e64 s[0:1], s17, v6
	v_mov_b32_e32 v12, s27
	s_or_b64 s[6:7], s[0:1], s[6:7]
	v_add_co_u32_e64 v10, s[0:1], s26, v10
	v_add_u32_e32 v5, s9, v5
	v_add_u32_e32 v3, s8, v3
	v_addc_co_u32_e64 v11, s[0:1], v12, v11, s[0:1]
	s_waitcnt lgkmcnt(0)
	global_store_dwordx2 v[10:11], v[7:8], off
	s_andn2_b64 exec, exec, s[6:7]
	s_cbranch_execnz .LBB62_48
	s_branch .LBB62_45
.LBB62_49:
	s_endpgm
	.section	.rodata,"a",@progbits
	.p2align	6, 0x0
	.amdhsa_kernel _ZN9rocsolver6v33100L18geqr2_kernel_smallILi256EdidPdEEvT1_S3_T3_lS3_lPT2_lPT0_l
		.amdhsa_group_segment_fixed_size 0
		.amdhsa_private_segment_fixed_size 0
		.amdhsa_kernarg_size 72
		.amdhsa_user_sgpr_count 6
		.amdhsa_user_sgpr_private_segment_buffer 1
		.amdhsa_user_sgpr_dispatch_ptr 0
		.amdhsa_user_sgpr_queue_ptr 0
		.amdhsa_user_sgpr_kernarg_segment_ptr 1
		.amdhsa_user_sgpr_dispatch_id 0
		.amdhsa_user_sgpr_flat_scratch_init 0
		.amdhsa_user_sgpr_private_segment_size 0
		.amdhsa_uses_dynamic_stack 0
		.amdhsa_system_sgpr_private_segment_wavefront_offset 0
		.amdhsa_system_sgpr_workgroup_id_x 1
		.amdhsa_system_sgpr_workgroup_id_y 0
		.amdhsa_system_sgpr_workgroup_id_z 1
		.amdhsa_system_sgpr_workgroup_info 0
		.amdhsa_system_vgpr_workitem_id 0
		.amdhsa_next_free_vgpr 30
		.amdhsa_next_free_sgpr 48
		.amdhsa_reserve_vcc 1
		.amdhsa_reserve_flat_scratch 0
		.amdhsa_float_round_mode_32 0
		.amdhsa_float_round_mode_16_64 0
		.amdhsa_float_denorm_mode_32 3
		.amdhsa_float_denorm_mode_16_64 3
		.amdhsa_dx10_clamp 1
		.amdhsa_ieee_mode 1
		.amdhsa_fp16_overflow 0
		.amdhsa_exception_fp_ieee_invalid_op 0
		.amdhsa_exception_fp_denorm_src 0
		.amdhsa_exception_fp_ieee_div_zero 0
		.amdhsa_exception_fp_ieee_overflow 0
		.amdhsa_exception_fp_ieee_underflow 0
		.amdhsa_exception_fp_ieee_inexact 0
		.amdhsa_exception_int_div_zero 0
	.end_amdhsa_kernel
	.section	.text._ZN9rocsolver6v33100L18geqr2_kernel_smallILi256EdidPdEEvT1_S3_T3_lS3_lPT2_lPT0_l,"axG",@progbits,_ZN9rocsolver6v33100L18geqr2_kernel_smallILi256EdidPdEEvT1_S3_T3_lS3_lPT2_lPT0_l,comdat
.Lfunc_end62:
	.size	_ZN9rocsolver6v33100L18geqr2_kernel_smallILi256EdidPdEEvT1_S3_T3_lS3_lPT2_lPT0_l, .Lfunc_end62-_ZN9rocsolver6v33100L18geqr2_kernel_smallILi256EdidPdEEvT1_S3_T3_lS3_lPT2_lPT0_l
                                        ; -- End function
	.set _ZN9rocsolver6v33100L18geqr2_kernel_smallILi256EdidPdEEvT1_S3_T3_lS3_lPT2_lPT0_l.num_vgpr, 30
	.set _ZN9rocsolver6v33100L18geqr2_kernel_smallILi256EdidPdEEvT1_S3_T3_lS3_lPT2_lPT0_l.num_agpr, 0
	.set _ZN9rocsolver6v33100L18geqr2_kernel_smallILi256EdidPdEEvT1_S3_T3_lS3_lPT2_lPT0_l.numbered_sgpr, 48
	.set _ZN9rocsolver6v33100L18geqr2_kernel_smallILi256EdidPdEEvT1_S3_T3_lS3_lPT2_lPT0_l.num_named_barrier, 0
	.set _ZN9rocsolver6v33100L18geqr2_kernel_smallILi256EdidPdEEvT1_S3_T3_lS3_lPT2_lPT0_l.private_seg_size, 0
	.set _ZN9rocsolver6v33100L18geqr2_kernel_smallILi256EdidPdEEvT1_S3_T3_lS3_lPT2_lPT0_l.uses_vcc, 1
	.set _ZN9rocsolver6v33100L18geqr2_kernel_smallILi256EdidPdEEvT1_S3_T3_lS3_lPT2_lPT0_l.uses_flat_scratch, 0
	.set _ZN9rocsolver6v33100L18geqr2_kernel_smallILi256EdidPdEEvT1_S3_T3_lS3_lPT2_lPT0_l.has_dyn_sized_stack, 0
	.set _ZN9rocsolver6v33100L18geqr2_kernel_smallILi256EdidPdEEvT1_S3_T3_lS3_lPT2_lPT0_l.has_recursion, 0
	.set _ZN9rocsolver6v33100L18geqr2_kernel_smallILi256EdidPdEEvT1_S3_T3_lS3_lPT2_lPT0_l.has_indirect_call, 0
	.section	.AMDGPU.csdata,"",@progbits
; Kernel info:
; codeLenInByte = 2504
; TotalNumSgprs: 52
; NumVgprs: 30
; ScratchSize: 0
; MemoryBound: 0
; FloatMode: 240
; IeeeMode: 1
; LDSByteSize: 0 bytes/workgroup (compile time only)
; SGPRBlocks: 6
; VGPRBlocks: 7
; NumSGPRsForWavesPerEU: 52
; NumVGPRsForWavesPerEU: 30
; Occupancy: 8
; WaveLimiterHint : 0
; COMPUTE_PGM_RSRC2:SCRATCH_EN: 0
; COMPUTE_PGM_RSRC2:USER_SGPR: 6
; COMPUTE_PGM_RSRC2:TRAP_HANDLER: 0
; COMPUTE_PGM_RSRC2:TGID_X_EN: 1
; COMPUTE_PGM_RSRC2:TGID_Y_EN: 0
; COMPUTE_PGM_RSRC2:TGID_Z_EN: 1
; COMPUTE_PGM_RSRC2:TIDIG_COMP_CNT: 0
	.section	.text._ZN9rocsolver6v33100L16reset_batch_infoIdiiPdEEvT2_lT0_T1_,"axG",@progbits,_ZN9rocsolver6v33100L16reset_batch_infoIdiiPdEEvT2_lT0_T1_,comdat
	.globl	_ZN9rocsolver6v33100L16reset_batch_infoIdiiPdEEvT2_lT0_T1_ ; -- Begin function _ZN9rocsolver6v33100L16reset_batch_infoIdiiPdEEvT2_lT0_T1_
	.p2align	8
	.type	_ZN9rocsolver6v33100L16reset_batch_infoIdiiPdEEvT2_lT0_T1_,@function
_ZN9rocsolver6v33100L16reset_batch_infoIdiiPdEEvT2_lT0_T1_: ; @_ZN9rocsolver6v33100L16reset_batch_infoIdiiPdEEvT2_lT0_T1_
; %bb.0:
	s_load_dword s2, s[4:5], 0x24
	s_load_dwordx2 s[0:1], s[4:5], 0x10
	s_waitcnt lgkmcnt(0)
	s_and_b32 s2, s2, 0xffff
	s_mul_i32 s6, s6, s2
	v_add_u32_e32 v0, s6, v0
	v_cmp_gt_i32_e32 vcc, s0, v0
	s_and_saveexec_b64 s[2:3], vcc
	s_cbranch_execz .LBB63_2
; %bb.1:
	s_load_dwordx4 s[8:11], s[4:5], 0x0
	s_ashr_i32 s0, s7, 31
	v_ashrrev_i32_e32 v1, 31, v0
	v_lshlrev_b64 v[0:1], 3, v[0:1]
	v_cvt_f64_i32_e32 v[2:3], s1
	s_waitcnt lgkmcnt(0)
	s_mul_hi_u32 s3, s10, s7
	s_mul_i32 s0, s10, s0
	s_mul_i32 s4, s11, s7
	s_add_i32 s0, s3, s0
	s_mul_i32 s2, s10, s7
	s_add_i32 s3, s0, s4
	s_lshl_b64 s[2:3], s[2:3], 3
	s_add_u32 s0, s8, s2
	s_addc_u32 s2, s9, s3
	v_mov_b32_e32 v4, s2
	v_add_co_u32_e32 v0, vcc, s0, v0
	v_addc_co_u32_e32 v1, vcc, v4, v1, vcc
	global_store_dwordx2 v[0:1], v[2:3], off
.LBB63_2:
	s_endpgm
	.section	.rodata,"a",@progbits
	.p2align	6, 0x0
	.amdhsa_kernel _ZN9rocsolver6v33100L16reset_batch_infoIdiiPdEEvT2_lT0_T1_
		.amdhsa_group_segment_fixed_size 0
		.amdhsa_private_segment_fixed_size 0
		.amdhsa_kernarg_size 280
		.amdhsa_user_sgpr_count 6
		.amdhsa_user_sgpr_private_segment_buffer 1
		.amdhsa_user_sgpr_dispatch_ptr 0
		.amdhsa_user_sgpr_queue_ptr 0
		.amdhsa_user_sgpr_kernarg_segment_ptr 1
		.amdhsa_user_sgpr_dispatch_id 0
		.amdhsa_user_sgpr_flat_scratch_init 0
		.amdhsa_user_sgpr_private_segment_size 0
		.amdhsa_uses_dynamic_stack 0
		.amdhsa_system_sgpr_private_segment_wavefront_offset 0
		.amdhsa_system_sgpr_workgroup_id_x 1
		.amdhsa_system_sgpr_workgroup_id_y 1
		.amdhsa_system_sgpr_workgroup_id_z 0
		.amdhsa_system_sgpr_workgroup_info 0
		.amdhsa_system_vgpr_workitem_id 0
		.amdhsa_next_free_vgpr 5
		.amdhsa_next_free_sgpr 12
		.amdhsa_reserve_vcc 1
		.amdhsa_reserve_flat_scratch 0
		.amdhsa_float_round_mode_32 0
		.amdhsa_float_round_mode_16_64 0
		.amdhsa_float_denorm_mode_32 3
		.amdhsa_float_denorm_mode_16_64 3
		.amdhsa_dx10_clamp 1
		.amdhsa_ieee_mode 1
		.amdhsa_fp16_overflow 0
		.amdhsa_exception_fp_ieee_invalid_op 0
		.amdhsa_exception_fp_denorm_src 0
		.amdhsa_exception_fp_ieee_div_zero 0
		.amdhsa_exception_fp_ieee_overflow 0
		.amdhsa_exception_fp_ieee_underflow 0
		.amdhsa_exception_fp_ieee_inexact 0
		.amdhsa_exception_int_div_zero 0
	.end_amdhsa_kernel
	.section	.text._ZN9rocsolver6v33100L16reset_batch_infoIdiiPdEEvT2_lT0_T1_,"axG",@progbits,_ZN9rocsolver6v33100L16reset_batch_infoIdiiPdEEvT2_lT0_T1_,comdat
.Lfunc_end63:
	.size	_ZN9rocsolver6v33100L16reset_batch_infoIdiiPdEEvT2_lT0_T1_, .Lfunc_end63-_ZN9rocsolver6v33100L16reset_batch_infoIdiiPdEEvT2_lT0_T1_
                                        ; -- End function
	.set _ZN9rocsolver6v33100L16reset_batch_infoIdiiPdEEvT2_lT0_T1_.num_vgpr, 5
	.set _ZN9rocsolver6v33100L16reset_batch_infoIdiiPdEEvT2_lT0_T1_.num_agpr, 0
	.set _ZN9rocsolver6v33100L16reset_batch_infoIdiiPdEEvT2_lT0_T1_.numbered_sgpr, 12
	.set _ZN9rocsolver6v33100L16reset_batch_infoIdiiPdEEvT2_lT0_T1_.num_named_barrier, 0
	.set _ZN9rocsolver6v33100L16reset_batch_infoIdiiPdEEvT2_lT0_T1_.private_seg_size, 0
	.set _ZN9rocsolver6v33100L16reset_batch_infoIdiiPdEEvT2_lT0_T1_.uses_vcc, 1
	.set _ZN9rocsolver6v33100L16reset_batch_infoIdiiPdEEvT2_lT0_T1_.uses_flat_scratch, 0
	.set _ZN9rocsolver6v33100L16reset_batch_infoIdiiPdEEvT2_lT0_T1_.has_dyn_sized_stack, 0
	.set _ZN9rocsolver6v33100L16reset_batch_infoIdiiPdEEvT2_lT0_T1_.has_recursion, 0
	.set _ZN9rocsolver6v33100L16reset_batch_infoIdiiPdEEvT2_lT0_T1_.has_indirect_call, 0
	.section	.AMDGPU.csdata,"",@progbits
; Kernel info:
; codeLenInByte = 140
; TotalNumSgprs: 16
; NumVgprs: 5
; ScratchSize: 0
; MemoryBound: 0
; FloatMode: 240
; IeeeMode: 1
; LDSByteSize: 0 bytes/workgroup (compile time only)
; SGPRBlocks: 1
; VGPRBlocks: 1
; NumSGPRsForWavesPerEU: 16
; NumVGPRsForWavesPerEU: 5
; Occupancy: 10
; WaveLimiterHint : 0
; COMPUTE_PGM_RSRC2:SCRATCH_EN: 0
; COMPUTE_PGM_RSRC2:USER_SGPR: 6
; COMPUTE_PGM_RSRC2:TRAP_HANDLER: 0
; COMPUTE_PGM_RSRC2:TGID_X_EN: 1
; COMPUTE_PGM_RSRC2:TGID_Y_EN: 1
; COMPUTE_PGM_RSRC2:TGID_Z_EN: 0
; COMPUTE_PGM_RSRC2:TIDIG_COMP_CNT: 0
	.section	.text._ZN9rocsolver6v33100L8set_diagIdidPdTnNSt9enable_ifIXoont18rocblas_is_complexIT_E18rocblas_is_complexIT1_EEiE4typeELi0EEEvPS5_llT2_lT0_lSA_b,"axG",@progbits,_ZN9rocsolver6v33100L8set_diagIdidPdTnNSt9enable_ifIXoont18rocblas_is_complexIT_E18rocblas_is_complexIT1_EEiE4typeELi0EEEvPS5_llT2_lT0_lSA_b,comdat
	.globl	_ZN9rocsolver6v33100L8set_diagIdidPdTnNSt9enable_ifIXoont18rocblas_is_complexIT_E18rocblas_is_complexIT1_EEiE4typeELi0EEEvPS5_llT2_lT0_lSA_b ; -- Begin function _ZN9rocsolver6v33100L8set_diagIdidPdTnNSt9enable_ifIXoont18rocblas_is_complexIT_E18rocblas_is_complexIT1_EEiE4typeELi0EEEvPS5_llT2_lT0_lSA_b
	.p2align	8
	.type	_ZN9rocsolver6v33100L8set_diagIdidPdTnNSt9enable_ifIXoont18rocblas_is_complexIT_E18rocblas_is_complexIT1_EEiE4typeELi0EEEvPS5_llT2_lT0_lSA_b,@function
_ZN9rocsolver6v33100L8set_diagIdidPdTnNSt9enable_ifIXoont18rocblas_is_complexIT_E18rocblas_is_complexIT1_EEiE4typeELi0EEEvPS5_llT2_lT0_lSA_b: ; @_ZN9rocsolver6v33100L8set_diagIdidPdTnNSt9enable_ifIXoont18rocblas_is_complexIT_E18rocblas_is_complexIT1_EEiE4typeELi0EEEvPS5_llT2_lT0_lSA_b
; %bb.0:
	s_load_dword s2, s[4:5], 0x4c
	s_load_dwordx2 s[0:1], s[4:5], 0x38
	s_waitcnt lgkmcnt(0)
	s_lshr_b32 s2, s2, 16
	s_mul_i32 s7, s7, s2
	v_add_u32_e32 v0, s7, v1
	v_cmp_gt_i32_e32 vcc, s0, v0
	s_and_saveexec_b64 s[2:3], vcc
	s_cbranch_execz .LBB64_2
; %bb.1:
	s_load_dwordx8 s[8:15], s[4:5], 0x0
	s_load_dwordx2 s[2:3], s[4:5], 0x20
	s_load_dword s7, s[4:5], 0x28
	s_load_dwordx2 s[16:17], s[4:5], 0x30
	s_bitcmp1_b32 s1, 0
	s_cselect_b64 vcc, -1, 0
	s_ashr_i32 s4, s6, 31
	v_mov_b32_e32 v7, 0x3ff00000
	s_waitcnt lgkmcnt(0)
	s_mul_hi_u32 s0, s16, s6
	s_mul_i32 s1, s16, s4
	s_add_i32 s0, s0, s1
	s_mul_i32 s1, s17, s6
	s_add_i32 s1, s0, s1
	s_mul_i32 s0, s16, s6
	s_lshl_b64 s[0:1], s[0:1], 3
	s_add_u32 s5, s14, s0
	s_addc_u32 s14, s15, s1
	v_mad_u64_u32 v[1:2], s[0:1], v0, s7, v[0:1]
	s_lshl_b64 s[0:1], s[2:3], 3
	s_add_u32 s0, s5, s0
	v_ashrrev_i32_e32 v2, 31, v1
	v_lshlrev_b64 v[1:2], 3, v[1:2]
	s_addc_u32 s1, s14, s1
	v_mov_b32_e32 v4, s1
	v_add_co_u32_e64 v3, s[0:1], s0, v1
	v_addc_co_u32_e64 v4, s[0:1], v4, v2, s[0:1]
	global_load_dwordx2 v[5:6], v[3:4], off
	s_mul_hi_u32 s1, s12, s6
	s_mul_i32 s2, s12, s4
	s_mul_i32 s3, s13, s6
	s_add_i32 s1, s1, s2
	s_mul_i32 s0, s12, s6
	s_add_i32 s1, s1, s3
	s_lshl_b64 s[0:1], s[0:1], 3
	s_add_u32 s2, s8, s0
	v_ashrrev_i32_e32 v1, 31, v0
	s_addc_u32 s3, s9, s1
	s_lshl_b64 s[0:1], s[10:11], 3
	v_lshlrev_b64 v[0:1], 3, v[0:1]
	s_add_u32 s0, s2, s0
	s_addc_u32 s1, s3, s1
	v_mov_b32_e32 v2, s1
	v_add_co_u32_e64 v0, s[0:1], s0, v0
	v_addc_co_u32_e64 v1, s[0:1], v2, v1, s[0:1]
	s_waitcnt vmcnt(0)
	global_store_dwordx2 v[0:1], v[5:6], off
	v_cndmask_b32_e32 v1, v6, v7, vcc
	v_cndmask_b32_e64 v0, v5, 0, vcc
	global_store_dwordx2 v[3:4], v[0:1], off
.LBB64_2:
	s_endpgm
	.section	.rodata,"a",@progbits
	.p2align	6, 0x0
	.amdhsa_kernel _ZN9rocsolver6v33100L8set_diagIdidPdTnNSt9enable_ifIXoont18rocblas_is_complexIT_E18rocblas_is_complexIT1_EEiE4typeELi0EEEvPS5_llT2_lT0_lSA_b
		.amdhsa_group_segment_fixed_size 0
		.amdhsa_private_segment_fixed_size 0
		.amdhsa_kernarg_size 320
		.amdhsa_user_sgpr_count 6
		.amdhsa_user_sgpr_private_segment_buffer 1
		.amdhsa_user_sgpr_dispatch_ptr 0
		.amdhsa_user_sgpr_queue_ptr 0
		.amdhsa_user_sgpr_kernarg_segment_ptr 1
		.amdhsa_user_sgpr_dispatch_id 0
		.amdhsa_user_sgpr_flat_scratch_init 0
		.amdhsa_user_sgpr_private_segment_size 0
		.amdhsa_uses_dynamic_stack 0
		.amdhsa_system_sgpr_private_segment_wavefront_offset 0
		.amdhsa_system_sgpr_workgroup_id_x 1
		.amdhsa_system_sgpr_workgroup_id_y 1
		.amdhsa_system_sgpr_workgroup_id_z 0
		.amdhsa_system_sgpr_workgroup_info 0
		.amdhsa_system_vgpr_workitem_id 1
		.amdhsa_next_free_vgpr 8
		.amdhsa_next_free_sgpr 18
		.amdhsa_reserve_vcc 1
		.amdhsa_reserve_flat_scratch 0
		.amdhsa_float_round_mode_32 0
		.amdhsa_float_round_mode_16_64 0
		.amdhsa_float_denorm_mode_32 3
		.amdhsa_float_denorm_mode_16_64 3
		.amdhsa_dx10_clamp 1
		.amdhsa_ieee_mode 1
		.amdhsa_fp16_overflow 0
		.amdhsa_exception_fp_ieee_invalid_op 0
		.amdhsa_exception_fp_denorm_src 0
		.amdhsa_exception_fp_ieee_div_zero 0
		.amdhsa_exception_fp_ieee_overflow 0
		.amdhsa_exception_fp_ieee_underflow 0
		.amdhsa_exception_fp_ieee_inexact 0
		.amdhsa_exception_int_div_zero 0
	.end_amdhsa_kernel
	.section	.text._ZN9rocsolver6v33100L8set_diagIdidPdTnNSt9enable_ifIXoont18rocblas_is_complexIT_E18rocblas_is_complexIT1_EEiE4typeELi0EEEvPS5_llT2_lT0_lSA_b,"axG",@progbits,_ZN9rocsolver6v33100L8set_diagIdidPdTnNSt9enable_ifIXoont18rocblas_is_complexIT_E18rocblas_is_complexIT1_EEiE4typeELi0EEEvPS5_llT2_lT0_lSA_b,comdat
.Lfunc_end64:
	.size	_ZN9rocsolver6v33100L8set_diagIdidPdTnNSt9enable_ifIXoont18rocblas_is_complexIT_E18rocblas_is_complexIT1_EEiE4typeELi0EEEvPS5_llT2_lT0_lSA_b, .Lfunc_end64-_ZN9rocsolver6v33100L8set_diagIdidPdTnNSt9enable_ifIXoont18rocblas_is_complexIT_E18rocblas_is_complexIT1_EEiE4typeELi0EEEvPS5_llT2_lT0_lSA_b
                                        ; -- End function
	.set _ZN9rocsolver6v33100L8set_diagIdidPdTnNSt9enable_ifIXoont18rocblas_is_complexIT_E18rocblas_is_complexIT1_EEiE4typeELi0EEEvPS5_llT2_lT0_lSA_b.num_vgpr, 8
	.set _ZN9rocsolver6v33100L8set_diagIdidPdTnNSt9enable_ifIXoont18rocblas_is_complexIT_E18rocblas_is_complexIT1_EEiE4typeELi0EEEvPS5_llT2_lT0_lSA_b.num_agpr, 0
	.set _ZN9rocsolver6v33100L8set_diagIdidPdTnNSt9enable_ifIXoont18rocblas_is_complexIT_E18rocblas_is_complexIT1_EEiE4typeELi0EEEvPS5_llT2_lT0_lSA_b.numbered_sgpr, 18
	.set _ZN9rocsolver6v33100L8set_diagIdidPdTnNSt9enable_ifIXoont18rocblas_is_complexIT_E18rocblas_is_complexIT1_EEiE4typeELi0EEEvPS5_llT2_lT0_lSA_b.num_named_barrier, 0
	.set _ZN9rocsolver6v33100L8set_diagIdidPdTnNSt9enable_ifIXoont18rocblas_is_complexIT_E18rocblas_is_complexIT1_EEiE4typeELi0EEEvPS5_llT2_lT0_lSA_b.private_seg_size, 0
	.set _ZN9rocsolver6v33100L8set_diagIdidPdTnNSt9enable_ifIXoont18rocblas_is_complexIT_E18rocblas_is_complexIT1_EEiE4typeELi0EEEvPS5_llT2_lT0_lSA_b.uses_vcc, 1
	.set _ZN9rocsolver6v33100L8set_diagIdidPdTnNSt9enable_ifIXoont18rocblas_is_complexIT_E18rocblas_is_complexIT1_EEiE4typeELi0EEEvPS5_llT2_lT0_lSA_b.uses_flat_scratch, 0
	.set _ZN9rocsolver6v33100L8set_diagIdidPdTnNSt9enable_ifIXoont18rocblas_is_complexIT_E18rocblas_is_complexIT1_EEiE4typeELi0EEEvPS5_llT2_lT0_lSA_b.has_dyn_sized_stack, 0
	.set _ZN9rocsolver6v33100L8set_diagIdidPdTnNSt9enable_ifIXoont18rocblas_is_complexIT_E18rocblas_is_complexIT1_EEiE4typeELi0EEEvPS5_llT2_lT0_lSA_b.has_recursion, 0
	.set _ZN9rocsolver6v33100L8set_diagIdidPdTnNSt9enable_ifIXoont18rocblas_is_complexIT_E18rocblas_is_complexIT1_EEiE4typeELi0EEEvPS5_llT2_lT0_lSA_b.has_indirect_call, 0
	.section	.AMDGPU.csdata,"",@progbits
; Kernel info:
; codeLenInByte = 312
; TotalNumSgprs: 22
; NumVgprs: 8
; ScratchSize: 0
; MemoryBound: 0
; FloatMode: 240
; IeeeMode: 1
; LDSByteSize: 0 bytes/workgroup (compile time only)
; SGPRBlocks: 2
; VGPRBlocks: 1
; NumSGPRsForWavesPerEU: 22
; NumVGPRsForWavesPerEU: 8
; Occupancy: 10
; WaveLimiterHint : 0
; COMPUTE_PGM_RSRC2:SCRATCH_EN: 0
; COMPUTE_PGM_RSRC2:USER_SGPR: 6
; COMPUTE_PGM_RSRC2:TRAP_HANDLER: 0
; COMPUTE_PGM_RSRC2:TGID_X_EN: 1
; COMPUTE_PGM_RSRC2:TGID_Y_EN: 1
; COMPUTE_PGM_RSRC2:TGID_Z_EN: 0
; COMPUTE_PGM_RSRC2:TIDIG_COMP_CNT: 1
	.section	.text._ZN9rocsolver6v33100L11set_taubetaIdidPdEEvPT_lS4_T2_llPT1_ll,"axG",@progbits,_ZN9rocsolver6v33100L11set_taubetaIdidPdEEvPT_lS4_T2_llPT1_ll,comdat
	.globl	_ZN9rocsolver6v33100L11set_taubetaIdidPdEEvPT_lS4_T2_llPT1_ll ; -- Begin function _ZN9rocsolver6v33100L11set_taubetaIdidPdEEvPT_lS4_T2_llPT1_ll
	.p2align	8
	.type	_ZN9rocsolver6v33100L11set_taubetaIdidPdEEvPT_lS4_T2_llPT1_ll,@function
_ZN9rocsolver6v33100L11set_taubetaIdidPdEEvPT_lS4_T2_llPT1_ll: ; @_ZN9rocsolver6v33100L11set_taubetaIdidPdEEvPT_lS4_T2_llPT1_ll
; %bb.0:
	s_load_dwordx16 s[8:23], s[4:5], 0x0
	s_ashr_i32 s7, s6, 31
	s_mov_b64 s[24:25], 0
	s_mov_b64 s[0:1], 0
	s_waitcnt lgkmcnt(0)
	s_cmp_eq_u64 s[20:21], 0
	s_cbranch_scc1 .LBB65_2
; %bb.1:
	s_load_dwordx2 s[0:1], s[4:5], 0x40
	s_waitcnt lgkmcnt(0)
	s_mul_i32 s2, s0, s7
	s_mul_hi_u32 s3, s0, s6
	s_mul_i32 s1, s1, s6
	s_add_i32 s2, s3, s2
	s_mul_i32 s0, s0, s6
	s_add_i32 s1, s2, s1
	s_lshl_b64 s[0:1], s[0:1], 3
	s_add_u32 s2, s20, s0
	s_addc_u32 s3, s21, s1
	s_lshl_b64 s[0:1], s[22:23], 3
	s_add_u32 s0, s2, s0
	s_addc_u32 s1, s3, s1
.LBB65_2:
	s_mul_i32 s2, s18, s7
	s_mul_hi_u32 s3, s18, s6
	s_add_i32 s2, s3, s2
	s_mul_i32 s3, s19, s6
	s_add_i32 s3, s2, s3
	s_mul_i32 s2, s18, s6
	s_lshl_b64 s[2:3], s[2:3], 3
	s_add_u32 s4, s14, s2
	s_addc_u32 s5, s15, s3
	s_lshl_b64 s[2:3], s[16:17], 3
	s_add_u32 s2, s4, s2
	s_addc_u32 s3, s5, s3
	s_mul_i32 s4, s10, s7
	s_mul_hi_u32 s5, s10, s6
	s_add_i32 s4, s5, s4
	s_mul_i32 s5, s11, s6
	s_add_i32 s5, s4, s5
	s_mul_i32 s4, s10, s6
	s_lshl_b64 s[4:5], s[4:5], 3
	s_add_u32 s4, s8, s4
	s_addc_u32 s5, s9, s5
	s_lshl_b64 s[6:7], s[6:7], 3
	s_add_u32 s10, s12, s6
	s_addc_u32 s11, s13, s7
	s_load_dwordx2 s[12:13], s[10:11], 0x0
	s_cmp_eq_u64 s[0:1], 0
	s_cselect_b64 s[6:7], -1, 0
	s_cmp_lg_u64 s[0:1], 0
	s_cselect_b64 s[8:9], -1, 0
	s_waitcnt lgkmcnt(0)
	v_cmp_ngt_f64_e64 s[14:15], s[12:13], 0
	s_and_b64 vcc, exec, s[14:15]
	s_cbranch_vccz .LBB65_5
; %bb.3:
	v_mov_b32_e32 v0, 0
	v_mov_b32_e32 v1, 0x3ff00000
	global_store_dwordx2 v0, v[0:1], s[10:11]
	v_mov_b32_e32 v1, v0
	s_mov_b64 s[16:17], 0
	s_and_b64 vcc, exec, s[8:9]
	global_store_dwordx2 v0, v[0:1], s[4:5]
	s_cbranch_vccz .LBB65_6
; %bb.4:
	global_load_dwordx2 v[0:1], v0, s[2:3]
	s_mov_b64 s[14:15], -1
	s_and_b64 vcc, exec, s[16:17]
	s_cbranch_vccnz .LBB65_7
	s_branch .LBB65_8
.LBB65_5:
	s_mov_b64 s[16:17], -1
.LBB65_6:
	s_mov_b64 s[14:15], 0
                                        ; implicit-def: $vgpr0_vgpr1
	s_and_b64 vcc, exec, s[16:17]
	s_cbranch_vccz .LBB65_8
.LBB65_7:
	v_mov_b32_e32 v12, 0
	global_load_dwordx2 v[2:3], v12, s[2:3]
	s_mov_b64 s[24:25], s[6:7]
	s_mov_b64 s[14:15], s[8:9]
	s_waitcnt vmcnt(0)
	v_fma_f64 v[0:1], v[2:3], v[2:3], s[12:13]
	s_mov_b32 s12, 0
	s_brev_b32 s13, 8
	v_cmp_gt_f64_e32 vcc, s[12:13], v[0:1]
	s_and_b64 s[12:13], vcc, exec
	s_cselect_b32 s12, 0x100, 0
	v_ldexp_f64 v[0:1], v[0:1], s12
	s_cselect_b32 s12, 0xffffff80, 0
	v_rsq_f64_e32 v[4:5], v[0:1]
	v_mul_f64 v[6:7], v[0:1], v[4:5]
	v_mul_f64 v[4:5], v[4:5], 0.5
	v_fma_f64 v[8:9], -v[4:5], v[6:7], 0.5
	v_fma_f64 v[6:7], v[6:7], v[8:9], v[6:7]
	v_fma_f64 v[4:5], v[4:5], v[8:9], v[4:5]
	v_fma_f64 v[8:9], -v[6:7], v[6:7], v[0:1]
	v_fma_f64 v[6:7], v[8:9], v[4:5], v[6:7]
	v_fma_f64 v[8:9], -v[6:7], v[6:7], v[0:1]
	v_fma_f64 v[4:5], v[8:9], v[4:5], v[6:7]
	v_mov_b32_e32 v6, 0x260
	v_cmp_class_f64_e32 vcc, v[0:1], v6
	v_ldexp_f64 v[4:5], v[4:5], s12
	v_cndmask_b32_e32 v0, v4, v0, vcc
	v_cndmask_b32_e32 v1, v5, v1, vcc
	v_cmp_le_f64_e32 vcc, 0, v[2:3]
	v_xor_b32_e32 v4, 0x80000000, v1
	v_cndmask_b32_e32 v1, v1, v4, vcc
	v_add_f64 v[2:3], v[2:3], -v[0:1]
	v_div_scale_f64 v[4:5], s[12:13], v[2:3], v[2:3], 1.0
	v_rcp_f64_e32 v[6:7], v[4:5]
	v_fma_f64 v[8:9], -v[4:5], v[6:7], 1.0
	v_fma_f64 v[6:7], v[6:7], v[8:9], v[6:7]
	v_div_scale_f64 v[8:9], vcc, 1.0, v[2:3], 1.0
	v_fma_f64 v[10:11], -v[4:5], v[6:7], 1.0
	v_fma_f64 v[6:7], v[6:7], v[10:11], v[6:7]
	v_mul_f64 v[10:11], v[8:9], v[6:7]
	v_fma_f64 v[4:5], -v[4:5], v[10:11], v[8:9]
	v_div_fmas_f64 v[4:5], v[4:5], v[6:7], v[10:11]
	v_div_fixup_f64 v[2:3], v[4:5], v[2:3], 1.0
	global_store_dwordx2 v12, v[2:3], s[10:11]
	global_load_dwordx2 v[2:3], v12, s[2:3]
	s_waitcnt vmcnt(0)
	v_add_f64 v[2:3], v[0:1], -v[2:3]
	v_div_scale_f64 v[4:5], s[10:11], v[0:1], v[0:1], v[2:3]
	v_rcp_f64_e32 v[6:7], v[4:5]
	v_fma_f64 v[8:9], -v[4:5], v[6:7], 1.0
	v_fma_f64 v[6:7], v[6:7], v[8:9], v[6:7]
	v_div_scale_f64 v[8:9], vcc, v[2:3], v[0:1], v[2:3]
	v_fma_f64 v[10:11], -v[4:5], v[6:7], 1.0
	v_fma_f64 v[6:7], v[6:7], v[10:11], v[6:7]
	v_mul_f64 v[10:11], v[8:9], v[6:7]
	v_fma_f64 v[4:5], -v[4:5], v[10:11], v[8:9]
	v_div_fmas_f64 v[4:5], v[4:5], v[6:7], v[10:11]
	v_div_fixup_f64 v[2:3], v[4:5], v[0:1], v[2:3]
	global_store_dwordx2 v12, v[2:3], s[4:5]
.LBB65_8:
	s_andn2_b64 vcc, exec, s[14:15]
	s_cbranch_vccz .LBB65_11
; %bb.9:
	s_andn2_b64 vcc, exec, s[24:25]
	s_cbranch_vccz .LBB65_12
; %bb.10:
	s_endpgm
.LBB65_11:
	v_mov_b32_e32 v2, 0
	s_waitcnt vmcnt(0)
	global_store_dwordx2 v2, v[0:1], s[0:1]
	v_mov_b32_e32 v0, 0
	v_mov_b32_e32 v1, 0x3ff00000
.LBB65_12:
	v_mov_b32_e32 v2, 0
	s_waitcnt vmcnt(0)
	global_store_dwordx2 v2, v[0:1], s[2:3]
	s_endpgm
	.section	.rodata,"a",@progbits
	.p2align	6, 0x0
	.amdhsa_kernel _ZN9rocsolver6v33100L11set_taubetaIdidPdEEvPT_lS4_T2_llPT1_ll
		.amdhsa_group_segment_fixed_size 0
		.amdhsa_private_segment_fixed_size 0
		.amdhsa_kernarg_size 72
		.amdhsa_user_sgpr_count 6
		.amdhsa_user_sgpr_private_segment_buffer 1
		.amdhsa_user_sgpr_dispatch_ptr 0
		.amdhsa_user_sgpr_queue_ptr 0
		.amdhsa_user_sgpr_kernarg_segment_ptr 1
		.amdhsa_user_sgpr_dispatch_id 0
		.amdhsa_user_sgpr_flat_scratch_init 0
		.amdhsa_user_sgpr_private_segment_size 0
		.amdhsa_uses_dynamic_stack 0
		.amdhsa_system_sgpr_private_segment_wavefront_offset 0
		.amdhsa_system_sgpr_workgroup_id_x 1
		.amdhsa_system_sgpr_workgroup_id_y 0
		.amdhsa_system_sgpr_workgroup_id_z 0
		.amdhsa_system_sgpr_workgroup_info 0
		.amdhsa_system_vgpr_workitem_id 0
		.amdhsa_next_free_vgpr 13
		.amdhsa_next_free_sgpr 26
		.amdhsa_reserve_vcc 1
		.amdhsa_reserve_flat_scratch 0
		.amdhsa_float_round_mode_32 0
		.amdhsa_float_round_mode_16_64 0
		.amdhsa_float_denorm_mode_32 3
		.amdhsa_float_denorm_mode_16_64 3
		.amdhsa_dx10_clamp 1
		.amdhsa_ieee_mode 1
		.amdhsa_fp16_overflow 0
		.amdhsa_exception_fp_ieee_invalid_op 0
		.amdhsa_exception_fp_denorm_src 0
		.amdhsa_exception_fp_ieee_div_zero 0
		.amdhsa_exception_fp_ieee_overflow 0
		.amdhsa_exception_fp_ieee_underflow 0
		.amdhsa_exception_fp_ieee_inexact 0
		.amdhsa_exception_int_div_zero 0
	.end_amdhsa_kernel
	.section	.text._ZN9rocsolver6v33100L11set_taubetaIdidPdEEvPT_lS4_T2_llPT1_ll,"axG",@progbits,_ZN9rocsolver6v33100L11set_taubetaIdidPdEEvPT_lS4_T2_llPT1_ll,comdat
.Lfunc_end65:
	.size	_ZN9rocsolver6v33100L11set_taubetaIdidPdEEvPT_lS4_T2_llPT1_ll, .Lfunc_end65-_ZN9rocsolver6v33100L11set_taubetaIdidPdEEvPT_lS4_T2_llPT1_ll
                                        ; -- End function
	.set _ZN9rocsolver6v33100L11set_taubetaIdidPdEEvPT_lS4_T2_llPT1_ll.num_vgpr, 13
	.set _ZN9rocsolver6v33100L11set_taubetaIdidPdEEvPT_lS4_T2_llPT1_ll.num_agpr, 0
	.set _ZN9rocsolver6v33100L11set_taubetaIdidPdEEvPT_lS4_T2_llPT1_ll.numbered_sgpr, 26
	.set _ZN9rocsolver6v33100L11set_taubetaIdidPdEEvPT_lS4_T2_llPT1_ll.num_named_barrier, 0
	.set _ZN9rocsolver6v33100L11set_taubetaIdidPdEEvPT_lS4_T2_llPT1_ll.private_seg_size, 0
	.set _ZN9rocsolver6v33100L11set_taubetaIdidPdEEvPT_lS4_T2_llPT1_ll.uses_vcc, 1
	.set _ZN9rocsolver6v33100L11set_taubetaIdidPdEEvPT_lS4_T2_llPT1_ll.uses_flat_scratch, 0
	.set _ZN9rocsolver6v33100L11set_taubetaIdidPdEEvPT_lS4_T2_llPT1_ll.has_dyn_sized_stack, 0
	.set _ZN9rocsolver6v33100L11set_taubetaIdidPdEEvPT_lS4_T2_llPT1_ll.has_recursion, 0
	.set _ZN9rocsolver6v33100L11set_taubetaIdidPdEEvPT_lS4_T2_llPT1_ll.has_indirect_call, 0
	.section	.AMDGPU.csdata,"",@progbits
; Kernel info:
; codeLenInByte = 788
; TotalNumSgprs: 30
; NumVgprs: 13
; ScratchSize: 0
; MemoryBound: 0
; FloatMode: 240
; IeeeMode: 1
; LDSByteSize: 0 bytes/workgroup (compile time only)
; SGPRBlocks: 3
; VGPRBlocks: 3
; NumSGPRsForWavesPerEU: 30
; NumVGPRsForWavesPerEU: 13
; Occupancy: 10
; WaveLimiterHint : 0
; COMPUTE_PGM_RSRC2:SCRATCH_EN: 0
; COMPUTE_PGM_RSRC2:USER_SGPR: 6
; COMPUTE_PGM_RSRC2:TRAP_HANDLER: 0
; COMPUTE_PGM_RSRC2:TGID_X_EN: 1
; COMPUTE_PGM_RSRC2:TGID_Y_EN: 0
; COMPUTE_PGM_RSRC2:TGID_Z_EN: 0
; COMPUTE_PGM_RSRC2:TIDIG_COMP_CNT: 0
	.section	.text._ZN9rocsolver6v33100L13conj_in_placeIdiPdTnNSt9enable_ifIXnt18rocblas_is_complexIT_EEiE4typeELi0EEEvT0_S7_T1_lS7_l,"axG",@progbits,_ZN9rocsolver6v33100L13conj_in_placeIdiPdTnNSt9enable_ifIXnt18rocblas_is_complexIT_EEiE4typeELi0EEEvT0_S7_T1_lS7_l,comdat
	.globl	_ZN9rocsolver6v33100L13conj_in_placeIdiPdTnNSt9enable_ifIXnt18rocblas_is_complexIT_EEiE4typeELi0EEEvT0_S7_T1_lS7_l ; -- Begin function _ZN9rocsolver6v33100L13conj_in_placeIdiPdTnNSt9enable_ifIXnt18rocblas_is_complexIT_EEiE4typeELi0EEEvT0_S7_T1_lS7_l
	.p2align	8
	.type	_ZN9rocsolver6v33100L13conj_in_placeIdiPdTnNSt9enable_ifIXnt18rocblas_is_complexIT_EEiE4typeELi0EEEvT0_S7_T1_lS7_l,@function
_ZN9rocsolver6v33100L13conj_in_placeIdiPdTnNSt9enable_ifIXnt18rocblas_is_complexIT_EEiE4typeELi0EEEvT0_S7_T1_lS7_l: ; @_ZN9rocsolver6v33100L13conj_in_placeIdiPdTnNSt9enable_ifIXnt18rocblas_is_complexIT_EEiE4typeELi0EEEvT0_S7_T1_lS7_l
; %bb.0:
	s_endpgm
	.section	.rodata,"a",@progbits
	.p2align	6, 0x0
	.amdhsa_kernel _ZN9rocsolver6v33100L13conj_in_placeIdiPdTnNSt9enable_ifIXnt18rocblas_is_complexIT_EEiE4typeELi0EEEvT0_S7_T1_lS7_l
		.amdhsa_group_segment_fixed_size 0
		.amdhsa_private_segment_fixed_size 0
		.amdhsa_kernarg_size 40
		.amdhsa_user_sgpr_count 6
		.amdhsa_user_sgpr_private_segment_buffer 1
		.amdhsa_user_sgpr_dispatch_ptr 0
		.amdhsa_user_sgpr_queue_ptr 0
		.amdhsa_user_sgpr_kernarg_segment_ptr 1
		.amdhsa_user_sgpr_dispatch_id 0
		.amdhsa_user_sgpr_flat_scratch_init 0
		.amdhsa_user_sgpr_private_segment_size 0
		.amdhsa_uses_dynamic_stack 0
		.amdhsa_system_sgpr_private_segment_wavefront_offset 0
		.amdhsa_system_sgpr_workgroup_id_x 1
		.amdhsa_system_sgpr_workgroup_id_y 0
		.amdhsa_system_sgpr_workgroup_id_z 0
		.amdhsa_system_sgpr_workgroup_info 0
		.amdhsa_system_vgpr_workitem_id 0
		.amdhsa_next_free_vgpr 1
		.amdhsa_next_free_sgpr 0
		.amdhsa_reserve_vcc 0
		.amdhsa_reserve_flat_scratch 0
		.amdhsa_float_round_mode_32 0
		.amdhsa_float_round_mode_16_64 0
		.amdhsa_float_denorm_mode_32 3
		.amdhsa_float_denorm_mode_16_64 3
		.amdhsa_dx10_clamp 1
		.amdhsa_ieee_mode 1
		.amdhsa_fp16_overflow 0
		.amdhsa_exception_fp_ieee_invalid_op 0
		.amdhsa_exception_fp_denorm_src 0
		.amdhsa_exception_fp_ieee_div_zero 0
		.amdhsa_exception_fp_ieee_overflow 0
		.amdhsa_exception_fp_ieee_underflow 0
		.amdhsa_exception_fp_ieee_inexact 0
		.amdhsa_exception_int_div_zero 0
	.end_amdhsa_kernel
	.section	.text._ZN9rocsolver6v33100L13conj_in_placeIdiPdTnNSt9enable_ifIXnt18rocblas_is_complexIT_EEiE4typeELi0EEEvT0_S7_T1_lS7_l,"axG",@progbits,_ZN9rocsolver6v33100L13conj_in_placeIdiPdTnNSt9enable_ifIXnt18rocblas_is_complexIT_EEiE4typeELi0EEEvT0_S7_T1_lS7_l,comdat
.Lfunc_end66:
	.size	_ZN9rocsolver6v33100L13conj_in_placeIdiPdTnNSt9enable_ifIXnt18rocblas_is_complexIT_EEiE4typeELi0EEEvT0_S7_T1_lS7_l, .Lfunc_end66-_ZN9rocsolver6v33100L13conj_in_placeIdiPdTnNSt9enable_ifIXnt18rocblas_is_complexIT_EEiE4typeELi0EEEvT0_S7_T1_lS7_l
                                        ; -- End function
	.set _ZN9rocsolver6v33100L13conj_in_placeIdiPdTnNSt9enable_ifIXnt18rocblas_is_complexIT_EEiE4typeELi0EEEvT0_S7_T1_lS7_l.num_vgpr, 0
	.set _ZN9rocsolver6v33100L13conj_in_placeIdiPdTnNSt9enable_ifIXnt18rocblas_is_complexIT_EEiE4typeELi0EEEvT0_S7_T1_lS7_l.num_agpr, 0
	.set _ZN9rocsolver6v33100L13conj_in_placeIdiPdTnNSt9enable_ifIXnt18rocblas_is_complexIT_EEiE4typeELi0EEEvT0_S7_T1_lS7_l.numbered_sgpr, 0
	.set _ZN9rocsolver6v33100L13conj_in_placeIdiPdTnNSt9enable_ifIXnt18rocblas_is_complexIT_EEiE4typeELi0EEEvT0_S7_T1_lS7_l.num_named_barrier, 0
	.set _ZN9rocsolver6v33100L13conj_in_placeIdiPdTnNSt9enable_ifIXnt18rocblas_is_complexIT_EEiE4typeELi0EEEvT0_S7_T1_lS7_l.private_seg_size, 0
	.set _ZN9rocsolver6v33100L13conj_in_placeIdiPdTnNSt9enable_ifIXnt18rocblas_is_complexIT_EEiE4typeELi0EEEvT0_S7_T1_lS7_l.uses_vcc, 0
	.set _ZN9rocsolver6v33100L13conj_in_placeIdiPdTnNSt9enable_ifIXnt18rocblas_is_complexIT_EEiE4typeELi0EEEvT0_S7_T1_lS7_l.uses_flat_scratch, 0
	.set _ZN9rocsolver6v33100L13conj_in_placeIdiPdTnNSt9enable_ifIXnt18rocblas_is_complexIT_EEiE4typeELi0EEEvT0_S7_T1_lS7_l.has_dyn_sized_stack, 0
	.set _ZN9rocsolver6v33100L13conj_in_placeIdiPdTnNSt9enable_ifIXnt18rocblas_is_complexIT_EEiE4typeELi0EEEvT0_S7_T1_lS7_l.has_recursion, 0
	.set _ZN9rocsolver6v33100L13conj_in_placeIdiPdTnNSt9enable_ifIXnt18rocblas_is_complexIT_EEiE4typeELi0EEEvT0_S7_T1_lS7_l.has_indirect_call, 0
	.section	.AMDGPU.csdata,"",@progbits
; Kernel info:
; codeLenInByte = 4
; TotalNumSgprs: 4
; NumVgprs: 0
; ScratchSize: 0
; MemoryBound: 0
; FloatMode: 240
; IeeeMode: 1
; LDSByteSize: 0 bytes/workgroup (compile time only)
; SGPRBlocks: 0
; VGPRBlocks: 0
; NumSGPRsForWavesPerEU: 4
; NumVGPRsForWavesPerEU: 1
; Occupancy: 10
; WaveLimiterHint : 0
; COMPUTE_PGM_RSRC2:SCRATCH_EN: 0
; COMPUTE_PGM_RSRC2:USER_SGPR: 6
; COMPUTE_PGM_RSRC2:TRAP_HANDLER: 0
; COMPUTE_PGM_RSRC2:TGID_X_EN: 1
; COMPUTE_PGM_RSRC2:TGID_Y_EN: 0
; COMPUTE_PGM_RSRC2:TGID_Z_EN: 0
; COMPUTE_PGM_RSRC2:TIDIG_COMP_CNT: 0
	.section	.text._ZN9rocsolver6v33100L16larf_left_kernelILi1024EdiPdEEvT1_S3_T2_lS3_lPKT0_lS4_lS3_l,"axG",@progbits,_ZN9rocsolver6v33100L16larf_left_kernelILi1024EdiPdEEvT1_S3_T2_lS3_lPKT0_lS4_lS3_l,comdat
	.globl	_ZN9rocsolver6v33100L16larf_left_kernelILi1024EdiPdEEvT1_S3_T2_lS3_lPKT0_lS4_lS3_l ; -- Begin function _ZN9rocsolver6v33100L16larf_left_kernelILi1024EdiPdEEvT1_S3_T2_lS3_lPKT0_lS4_lS3_l
	.p2align	8
	.type	_ZN9rocsolver6v33100L16larf_left_kernelILi1024EdiPdEEvT1_S3_T2_lS3_lPKT0_lS4_lS3_l,@function
_ZN9rocsolver6v33100L16larf_left_kernelILi1024EdiPdEEvT1_S3_T2_lS3_lPKT0_lS4_lS3_l: ; @_ZN9rocsolver6v33100L16larf_left_kernelILi1024EdiPdEEvT1_S3_T2_lS3_lPKT0_lS4_lS3_l
; %bb.0:
	s_load_dword s9, s[4:5], 0x0
	s_load_dwordx2 s[10:11], s[4:5], 0x40
	s_load_dword s20, s[4:5], 0x48
	s_load_dwordx2 s[2:3], s[4:5], 0x50
	s_load_dwordx8 s[12:19], s[4:5], 0x20
	s_ashr_i32 s27, s8, 31
	v_mov_b32_e32 v1, 0
	s_waitcnt lgkmcnt(0)
	v_cmp_gt_i32_e64 s[0:1], s9, v0
	v_mov_b32_e32 v2, 0
	s_mul_i32 s24, s2, s27
	s_mul_hi_u32 s25, s2, s8
	s_mul_i32 s26, s3, s8
	s_mul_i32 s6, s2, s8
	s_mul_hi_i32 s21, s7, s20
	s_mul_i32 s20, s7, s20
	s_and_saveexec_b64 s[22:23], s[0:1]
	s_cbranch_execz .LBB67_6
; %bb.1:
	s_load_dword s2, s[4:5], 0x18
	s_load_dwordx4 s[28:31], s[4:5], 0x8
	s_sub_i32 s7, 1, s9
	s_mul_hi_u32 s33, s12, s8
	s_mul_i32 s13, s13, s8
	s_waitcnt lgkmcnt(0)
	s_ashr_i32 s3, s2, 31
	v_cmp_lt_i64_e64 s[4:5], s[2:3], 1
	s_mul_i32 s7, s2, s7
	s_and_b64 s[4:5], s[4:5], exec
	s_cselect_b32 s4, s7, 0
	s_mul_i32 s7, s12, s27
	s_add_i32 s7, s33, s7
	s_ashr_i32 s5, s4, 31
	s_add_i32 s13, s7, s13
	s_mul_i32 s12, s12, s8
	v_lshl_add_u32 v1, v0, 3, 0
	s_lshl_b64 s[12:13], s[12:13], 3
	s_lshl_b64 s[30:31], s[30:31], 3
	;; [unrolled: 1-line block ×3, first 2 shown]
	v_add_u32_e32 v5, 0x80, v1
	v_mad_i64_i32 v[1:2], s[34:35], s2, v0, 0
	s_add_u32 s4, s28, s4
	s_addc_u32 s5, s29, s5
	s_add_u32 s4, s4, s30
	s_addc_u32 s5, s5, s31
	v_lshlrev_b64 v[1:2], 3, v[1:2]
	s_add_u32 s4, s4, s12
	s_addc_u32 s5, s5, s13
	v_mov_b32_e32 v3, s5
	v_add_co_u32_e32 v1, vcc, s4, v1
	s_lshl_b64 s[4:5], s[2:3], 13
	v_addc_co_u32_e32 v2, vcc, v3, v2, vcc
	s_mov_b64 s[2:3], 0
	v_mov_b32_e32 v3, s5
	v_mov_b32_e32 v4, v5
	;; [unrolled: 1-line block ×3, first 2 shown]
.LBB67_2:                               ; =>This Inner Loop Header: Depth=1
	global_load_dwordx2 v[7:8], v[1:2], off
	v_add_co_u32_e32 v1, vcc, s4, v1
	v_add_u32_e32 v6, 0x400, v6
	v_addc_co_u32_e32 v2, vcc, v2, v3, vcc
	v_cmp_le_i32_e32 vcc, s9, v6
	s_or_b64 s[2:3], vcc, s[2:3]
	s_waitcnt vmcnt(0)
	ds_write_b64 v4, v[7:8]
	v_add_u32_e32 v4, 0x2000, v4
	s_andn2_b64 exec, exec, s[2:3]
	s_cbranch_execnz .LBB67_2
; %bb.3:
	s_or_b64 exec, exec, s[2:3]
	s_add_i32 s2, s25, s24
	s_add_i32 s7, s2, s26
	s_lshl_b64 s[2:3], s[6:7], 3
	s_lshl_b64 s[4:5], s[20:21], 3
	s_add_u32 s4, s2, s4
	s_addc_u32 s5, s3, s5
	s_lshl_b64 s[2:3], s[10:11], 3
	s_add_u32 s2, s4, s2
	s_addc_u32 s3, s5, s3
	s_add_u32 s2, s18, s2
	v_lshlrev_b32_e32 v1, 3, v0
	s_addc_u32 s3, s19, s3
	v_mov_b32_e32 v2, s3
	v_add_co_u32_e32 v3, vcc, s2, v1
	v_addc_co_u32_e32 v4, vcc, 0, v2, vcc
	v_mov_b32_e32 v1, 0
	v_mov_b32_e32 v2, 0
	s_mov_b64 s[4:5], 0
	v_mov_b32_e32 v6, v0
.LBB67_4:                               ; =>This Inner Loop Header: Depth=1
	global_load_dwordx2 v[7:8], v[3:4], off
	ds_read_b64 v[9:10], v5
	v_add_u32_e32 v6, 0x400, v6
	v_add_co_u32_e32 v3, vcc, 0x2000, v3
	v_cmp_le_i32_e64 s[2:3], s9, v6
	v_add_u32_e32 v5, 0x2000, v5
	s_or_b64 s[4:5], s[2:3], s[4:5]
	v_addc_co_u32_e32 v4, vcc, 0, v4, vcc
	s_waitcnt vmcnt(0) lgkmcnt(0)
	v_fma_f64 v[1:2], v[7:8], v[9:10], v[1:2]
	s_andn2_b64 exec, exec, s[4:5]
	s_cbranch_execnz .LBB67_4
; %bb.5:
	s_or_b64 exec, exec, s[4:5]
.LBB67_6:
	s_or_b64 exec, exec, s[22:23]
	v_mbcnt_lo_u32_b32 v3, -1, 0
	v_mbcnt_hi_u32_b32 v5, -1, v3
	v_and_b32_e32 v6, 63, v5
	v_cmp_ne_u32_e32 vcc, 63, v6
	v_addc_co_u32_e32 v3, vcc, 0, v5, vcc
	v_lshlrev_b32_e32 v4, 2, v3
	ds_bpermute_b32 v3, v4, v1
	ds_bpermute_b32 v4, v4, v2
	v_cmp_gt_u32_e32 vcc, 62, v6
	s_waitcnt lgkmcnt(0)
	v_add_f64 v[1:2], v[1:2], v[3:4]
	v_cndmask_b32_e64 v3, 0, 2, vcc
	v_add_lshl_u32 v4, v3, v5, 2
	v_cmp_gt_u32_e32 vcc, 60, v6
	ds_bpermute_b32 v3, v4, v1
	ds_bpermute_b32 v4, v4, v2
	s_waitcnt lgkmcnt(0)
	v_add_f64 v[1:2], v[1:2], v[3:4]
	v_cndmask_b32_e64 v3, 0, 4, vcc
	v_add_lshl_u32 v4, v3, v5, 2
	v_cmp_gt_u32_e32 vcc, 56, v6
	ds_bpermute_b32 v3, v4, v1
	ds_bpermute_b32 v4, v4, v2
	;; [unrolled: 7-line block ×3, first 2 shown]
	s_waitcnt lgkmcnt(0)
	v_add_f64 v[1:2], v[1:2], v[3:4]
	v_cndmask_b32_e64 v3, 0, 16, vcc
	v_add_lshl_u32 v4, v3, v5, 2
	ds_bpermute_b32 v3, v4, v1
	ds_bpermute_b32 v4, v4, v2
	s_waitcnt lgkmcnt(0)
	v_add_f64 v[1:2], v[1:2], v[3:4]
	v_mov_b32_e32 v3, 0x80
	v_lshl_or_b32 v4, v5, 2, v3
	ds_bpermute_b32 v3, v4, v1
	ds_bpermute_b32 v4, v4, v2
	s_waitcnt lgkmcnt(0)
	v_add_f64 v[1:2], v[1:2], v[3:4]
	v_and_b32_e32 v3, 63, v0
	v_cmp_eq_u32_e32 vcc, 0, v3
	s_and_saveexec_b64 s[2:3], vcc
; %bb.7:
	v_lshrrev_b32_e32 v3, 3, v0
	v_add_u32_e32 v3, 0, v3
	ds_write_b64 v3, v[1:2]
; %bb.8:
	s_or_b64 exec, exec, s[2:3]
	v_cmp_eq_u32_e32 vcc, 0, v0
	s_waitcnt lgkmcnt(0)
	s_barrier
	s_and_saveexec_b64 s[2:3], vcc
	s_cbranch_execz .LBB67_10
; %bb.9:
	v_mov_b32_e32 v11, 0
	ds_read2_b64 v[3:6], v11 offset0:1 offset1:2
	ds_read2_b64 v[7:10], v11 offset0:3 offset1:4
	s_waitcnt lgkmcnt(1)
	v_add_f64 v[1:2], v[1:2], v[3:4]
	v_add_f64 v[1:2], v[1:2], v[5:6]
	s_waitcnt lgkmcnt(0)
	v_add_f64 v[1:2], v[1:2], v[7:8]
	v_add_f64 v[9:10], v[1:2], v[9:10]
	ds_read2_b64 v[1:4], v11 offset0:5 offset1:6
	ds_read2_b64 v[5:8], v11 offset0:7 offset1:8
	s_waitcnt lgkmcnt(1)
	v_add_f64 v[1:2], v[9:10], v[1:2]
	v_add_f64 v[1:2], v[1:2], v[3:4]
	s_waitcnt lgkmcnt(0)
	v_add_f64 v[1:2], v[1:2], v[5:6]
	v_add_f64 v[9:10], v[1:2], v[7:8]
	ds_read2_b64 v[1:4], v11 offset0:9 offset1:10
	ds_read2_b64 v[5:8], v11 offset0:11 offset1:12
	s_waitcnt lgkmcnt(1)
	v_add_f64 v[1:2], v[9:10], v[1:2]
	v_add_f64 v[1:2], v[1:2], v[3:4]
	s_waitcnt lgkmcnt(0)
	v_add_f64 v[1:2], v[1:2], v[5:6]
	v_add_f64 v[5:6], v[1:2], v[7:8]
	ds_read2_b64 v[1:4], v11 offset0:13 offset1:14
	ds_read_b64 v[7:8], v11 offset:120
	s_waitcnt lgkmcnt(1)
	v_add_f64 v[1:2], v[5:6], v[1:2]
	v_add_f64 v[1:2], v[1:2], v[3:4]
	s_waitcnt lgkmcnt(0)
	v_add_f64 v[1:2], v[1:2], v[7:8]
	ds_write_b64 v11, v[1:2]
.LBB67_10:
	s_or_b64 exec, exec, s[2:3]
	s_waitcnt lgkmcnt(0)
	s_barrier
	s_and_saveexec_b64 s[2:3], s[0:1]
	s_cbranch_execz .LBB67_13
; %bb.11:
	s_mul_i32 s0, s16, s27
	s_mul_hi_u32 s1, s16, s8
	s_add_i32 s0, s1, s0
	s_mul_i32 s1, s17, s8
	s_add_i32 s1, s0, s1
	s_mul_i32 s0, s16, s8
	s_lshl_b64 s[0:1], s[0:1], 3
	s_add_u32 s0, s14, s0
	s_addc_u32 s1, s15, s1
	v_mov_b32_e32 v1, 0
	s_load_dwordx2 s[0:1], s[0:1], 0x0
	ds_read_b64 v[1:2], v1
	s_lshl_b64 s[2:3], s[20:21], 3
	v_lshlrev_b32_e32 v3, 3, v0
	v_add_u32_e32 v4, 0, v3
	v_add_u32_e32 v5, 0x80, v4
	s_waitcnt lgkmcnt(0)
	v_mul_f64 v[1:2], v[1:2], -s[0:1]
	s_add_i32 s0, s25, s24
	s_add_i32 s7, s0, s26
	s_lshl_b64 s[0:1], s[6:7], 3
	s_add_u32 s2, s0, s2
	s_addc_u32 s3, s1, s3
	s_lshl_b64 s[0:1], s[10:11], 3
	s_add_u32 s0, s2, s0
	s_addc_u32 s1, s3, s1
	s_add_u32 s0, s18, s0
	s_addc_u32 s1, s19, s1
	v_mov_b32_e32 v4, s1
	v_add_co_u32_e32 v3, vcc, s0, v3
	v_addc_co_u32_e32 v4, vcc, 0, v4, vcc
	s_mov_b64 s[0:1], 0
.LBB67_12:                              ; =>This Inner Loop Header: Depth=1
	global_load_dwordx2 v[6:7], v[3:4], off
	ds_read_b64 v[8:9], v5
	v_add_u32_e32 v0, 0x400, v0
	v_cmp_le_i32_e32 vcc, s9, v0
	s_or_b64 s[0:1], vcc, s[0:1]
	v_add_u32_e32 v5, 0x2000, v5
	s_waitcnt vmcnt(0) lgkmcnt(0)
	v_fma_f64 v[6:7], v[1:2], v[8:9], v[6:7]
	global_store_dwordx2 v[3:4], v[6:7], off
	v_add_co_u32_e32 v3, vcc, 0x2000, v3
	v_addc_co_u32_e32 v4, vcc, 0, v4, vcc
	s_andn2_b64 exec, exec, s[0:1]
	s_cbranch_execnz .LBB67_12
.LBB67_13:
	s_endpgm
	.section	.rodata,"a",@progbits
	.p2align	6, 0x0
	.amdhsa_kernel _ZN9rocsolver6v33100L16larf_left_kernelILi1024EdiPdEEvT1_S3_T2_lS3_lPKT0_lS4_lS3_l
		.amdhsa_group_segment_fixed_size 0
		.amdhsa_private_segment_fixed_size 0
		.amdhsa_kernarg_size 88
		.amdhsa_user_sgpr_count 6
		.amdhsa_user_sgpr_private_segment_buffer 1
		.amdhsa_user_sgpr_dispatch_ptr 0
		.amdhsa_user_sgpr_queue_ptr 0
		.amdhsa_user_sgpr_kernarg_segment_ptr 1
		.amdhsa_user_sgpr_dispatch_id 0
		.amdhsa_user_sgpr_flat_scratch_init 0
		.amdhsa_user_sgpr_private_segment_size 0
		.amdhsa_uses_dynamic_stack 0
		.amdhsa_system_sgpr_private_segment_wavefront_offset 0
		.amdhsa_system_sgpr_workgroup_id_x 1
		.amdhsa_system_sgpr_workgroup_id_y 1
		.amdhsa_system_sgpr_workgroup_id_z 1
		.amdhsa_system_sgpr_workgroup_info 0
		.amdhsa_system_vgpr_workitem_id 0
		.amdhsa_next_free_vgpr 12
		.amdhsa_next_free_sgpr 36
		.amdhsa_reserve_vcc 1
		.amdhsa_reserve_flat_scratch 0
		.amdhsa_float_round_mode_32 0
		.amdhsa_float_round_mode_16_64 0
		.amdhsa_float_denorm_mode_32 3
		.amdhsa_float_denorm_mode_16_64 3
		.amdhsa_dx10_clamp 1
		.amdhsa_ieee_mode 1
		.amdhsa_fp16_overflow 0
		.amdhsa_exception_fp_ieee_invalid_op 0
		.amdhsa_exception_fp_denorm_src 0
		.amdhsa_exception_fp_ieee_div_zero 0
		.amdhsa_exception_fp_ieee_overflow 0
		.amdhsa_exception_fp_ieee_underflow 0
		.amdhsa_exception_fp_ieee_inexact 0
		.amdhsa_exception_int_div_zero 0
	.end_amdhsa_kernel
	.section	.text._ZN9rocsolver6v33100L16larf_left_kernelILi1024EdiPdEEvT1_S3_T2_lS3_lPKT0_lS4_lS3_l,"axG",@progbits,_ZN9rocsolver6v33100L16larf_left_kernelILi1024EdiPdEEvT1_S3_T2_lS3_lPKT0_lS4_lS3_l,comdat
.Lfunc_end67:
	.size	_ZN9rocsolver6v33100L16larf_left_kernelILi1024EdiPdEEvT1_S3_T2_lS3_lPKT0_lS4_lS3_l, .Lfunc_end67-_ZN9rocsolver6v33100L16larf_left_kernelILi1024EdiPdEEvT1_S3_T2_lS3_lPKT0_lS4_lS3_l
                                        ; -- End function
	.set _ZN9rocsolver6v33100L16larf_left_kernelILi1024EdiPdEEvT1_S3_T2_lS3_lPKT0_lS4_lS3_l.num_vgpr, 12
	.set _ZN9rocsolver6v33100L16larf_left_kernelILi1024EdiPdEEvT1_S3_T2_lS3_lPKT0_lS4_lS3_l.num_agpr, 0
	.set _ZN9rocsolver6v33100L16larf_left_kernelILi1024EdiPdEEvT1_S3_T2_lS3_lPKT0_lS4_lS3_l.numbered_sgpr, 36
	.set _ZN9rocsolver6v33100L16larf_left_kernelILi1024EdiPdEEvT1_S3_T2_lS3_lPKT0_lS4_lS3_l.num_named_barrier, 0
	.set _ZN9rocsolver6v33100L16larf_left_kernelILi1024EdiPdEEvT1_S3_T2_lS3_lPKT0_lS4_lS3_l.private_seg_size, 0
	.set _ZN9rocsolver6v33100L16larf_left_kernelILi1024EdiPdEEvT1_S3_T2_lS3_lPKT0_lS4_lS3_l.uses_vcc, 1
	.set _ZN9rocsolver6v33100L16larf_left_kernelILi1024EdiPdEEvT1_S3_T2_lS3_lPKT0_lS4_lS3_l.uses_flat_scratch, 0
	.set _ZN9rocsolver6v33100L16larf_left_kernelILi1024EdiPdEEvT1_S3_T2_lS3_lPKT0_lS4_lS3_l.has_dyn_sized_stack, 0
	.set _ZN9rocsolver6v33100L16larf_left_kernelILi1024EdiPdEEvT1_S3_T2_lS3_lPKT0_lS4_lS3_l.has_recursion, 0
	.set _ZN9rocsolver6v33100L16larf_left_kernelILi1024EdiPdEEvT1_S3_T2_lS3_lPKT0_lS4_lS3_l.has_indirect_call, 0
	.section	.AMDGPU.csdata,"",@progbits
; Kernel info:
; codeLenInByte = 1320
; TotalNumSgprs: 40
; NumVgprs: 12
; ScratchSize: 0
; MemoryBound: 0
; FloatMode: 240
; IeeeMode: 1
; LDSByteSize: 0 bytes/workgroup (compile time only)
; SGPRBlocks: 4
; VGPRBlocks: 2
; NumSGPRsForWavesPerEU: 40
; NumVGPRsForWavesPerEU: 12
; Occupancy: 10
; WaveLimiterHint : 0
; COMPUTE_PGM_RSRC2:SCRATCH_EN: 0
; COMPUTE_PGM_RSRC2:USER_SGPR: 6
; COMPUTE_PGM_RSRC2:TRAP_HANDLER: 0
; COMPUTE_PGM_RSRC2:TGID_X_EN: 1
; COMPUTE_PGM_RSRC2:TGID_Y_EN: 1
; COMPUTE_PGM_RSRC2:TGID_Z_EN: 1
; COMPUTE_PGM_RSRC2:TIDIG_COMP_CNT: 0
	.section	.text._ZN9rocsolver6v33100L17larf_right_kernelILi1024EdiPdEEvT1_S3_T2_lS3_lPKT0_lS4_lS3_l,"axG",@progbits,_ZN9rocsolver6v33100L17larf_right_kernelILi1024EdiPdEEvT1_S3_T2_lS3_lPKT0_lS4_lS3_l,comdat
	.globl	_ZN9rocsolver6v33100L17larf_right_kernelILi1024EdiPdEEvT1_S3_T2_lS3_lPKT0_lS4_lS3_l ; -- Begin function _ZN9rocsolver6v33100L17larf_right_kernelILi1024EdiPdEEvT1_S3_T2_lS3_lPKT0_lS4_lS3_l
	.p2align	8
	.type	_ZN9rocsolver6v33100L17larf_right_kernelILi1024EdiPdEEvT1_S3_T2_lS3_lPKT0_lS4_lS3_l,@function
_ZN9rocsolver6v33100L17larf_right_kernelILi1024EdiPdEEvT1_S3_T2_lS3_lPKT0_lS4_lS3_l: ; @_ZN9rocsolver6v33100L17larf_right_kernelILi1024EdiPdEEvT1_S3_T2_lS3_lPKT0_lS4_lS3_l
; %bb.0:
	s_load_dword s9, s[4:5], 0x4
	s_load_dwordx8 s[12:19], s[4:5], 0x20
	s_load_dwordx2 s[20:21], s[4:5], 0x40
	s_load_dword s6, s[4:5], 0x48
	s_load_dwordx2 s[0:1], s[4:5], 0x50
	s_ashr_i32 s29, s8, 31
	v_mov_b32_e32 v1, 0
	s_mov_b32 s10, s7
	s_ashr_i32 s11, s7, 31
	s_waitcnt lgkmcnt(0)
	v_cmp_gt_i32_e32 vcc, s9, v0
	v_mov_b32_e32 v2, 0
	v_lshl_add_u32 v5, v0, 3, 0
	s_mul_i32 s26, s0, s29
	s_mul_hi_u32 s27, s0, s8
	s_mul_i32 s28, s1, s8
	s_mul_i32 s22, s0, s8
	s_and_saveexec_b64 s[24:25], vcc
	s_cbranch_execz .LBB68_6
; %bb.1:
	s_load_dword s30, s[4:5], 0x18
	s_load_dwordx4 s[0:3], s[4:5], 0x8
	s_sub_i32 s7, 1, s9
	s_mul_i32 s23, s12, s29
	s_mul_i32 s13, s13, s8
	s_waitcnt lgkmcnt(0)
	s_ashr_i32 s31, s30, 31
	v_cmp_lt_i64_e64 s[4:5], s[30:31], 1
	s_mul_i32 s7, s30, s7
	s_and_b64 s[4:5], s[4:5], exec
	s_cselect_b32 s4, s7, 0
	s_mul_hi_u32 s7, s12, s8
	s_add_i32 s7, s7, s23
	s_ashr_i32 s5, s4, 31
	s_add_i32 s13, s7, s13
	s_mul_i32 s12, s12, s8
	s_lshl_b64 s[12:13], s[12:13], 3
	s_lshl_b64 s[2:3], s[2:3], 3
	;; [unrolled: 1-line block ×3, first 2 shown]
	v_mad_i64_i32 v[1:2], s[34:35], s30, v0, 0
	s_add_u32 s0, s0, s4
	s_addc_u32 s1, s1, s5
	s_add_u32 s0, s0, s2
	s_addc_u32 s1, s1, s3
	v_lshlrev_b64 v[1:2], 3, v[1:2]
	s_add_u32 s0, s0, s12
	s_addc_u32 s1, s1, s13
	v_add_u32_e32 v6, 0x80, v5
	v_mov_b32_e32 v3, s1
	v_add_co_u32_e64 v1, s[0:1], s0, v1
	s_lshl_b64 s[4:5], s[30:31], 13
	v_addc_co_u32_e64 v2, s[0:1], v3, v2, s[0:1]
	s_mov_b64 s[2:3], 0
	v_mov_b32_e32 v3, s5
	v_mov_b32_e32 v4, v6
	;; [unrolled: 1-line block ×3, first 2 shown]
.LBB68_2:                               ; =>This Inner Loop Header: Depth=1
	global_load_dwordx2 v[8:9], v[1:2], off
	v_add_co_u32_e64 v1, s[0:1], s4, v1
	v_add_u32_e32 v7, 0x400, v7
	v_addc_co_u32_e64 v2, s[0:1], v2, v3, s[0:1]
	v_cmp_le_i32_e64 s[0:1], s9, v7
	s_or_b64 s[2:3], s[0:1], s[2:3]
	s_waitcnt vmcnt(0)
	ds_write_b64 v4, v[8:9]
	v_add_u32_e32 v4, 0x2000, v4
	s_andn2_b64 exec, exec, s[2:3]
	s_cbranch_execnz .LBB68_2
; %bb.3:
	s_or_b64 exec, exec, s[2:3]
	v_mad_i64_i32 v[1:2], s[0:1], s6, v0, 0
	s_add_i32 s0, s27, s26
	s_add_i32 s23, s0, s28
	s_ashr_i32 s7, s6, 31
	s_lshl_b64 s[0:1], s[22:23], 3
	s_lshl_b64 s[2:3], s[20:21], 3
	;; [unrolled: 1-line block ×3, first 2 shown]
	s_add_u32 s4, s18, s4
	s_addc_u32 s5, s19, s5
	s_add_u32 s2, s4, s2
	s_addc_u32 s3, s5, s3
	v_lshlrev_b64 v[1:2], 3, v[1:2]
	s_add_u32 s0, s2, s0
	s_addc_u32 s1, s3, s1
	v_mov_b32_e32 v4, s1
	v_add_co_u32_e64 v3, s[0:1], s0, v1
	v_addc_co_u32_e64 v4, s[0:1], v4, v2, s[0:1]
	s_lshl_b64 s[4:5], s[6:7], 13
	v_mov_b32_e32 v1, 0
	v_mov_b32_e32 v2, 0
	s_mov_b64 s[12:13], 0
	v_mov_b32_e32 v7, s5
	v_mov_b32_e32 v8, v0
.LBB68_4:                               ; =>This Inner Loop Header: Depth=1
	global_load_dwordx2 v[9:10], v[3:4], off
	ds_read_b64 v[11:12], v6
	v_add_u32_e32 v8, 0x400, v8
	v_add_co_u32_e64 v3, s[0:1], s4, v3
	v_cmp_le_i32_e64 s[2:3], s9, v8
	v_add_u32_e32 v6, 0x2000, v6
	s_or_b64 s[12:13], s[2:3], s[12:13]
	v_addc_co_u32_e64 v4, s[0:1], v4, v7, s[0:1]
	s_waitcnt vmcnt(0) lgkmcnt(0)
	v_fma_f64 v[1:2], v[9:10], v[11:12], v[1:2]
	s_andn2_b64 exec, exec, s[12:13]
	s_cbranch_execnz .LBB68_4
; %bb.5:
	s_or_b64 exec, exec, s[12:13]
.LBB68_6:
	s_or_b64 exec, exec, s[24:25]
	v_mbcnt_lo_u32_b32 v3, -1, 0
	v_mbcnt_hi_u32_b32 v6, -1, v3
	v_and_b32_e32 v7, 63, v6
	v_cmp_ne_u32_e64 s[0:1], 63, v7
	v_addc_co_u32_e64 v3, s[0:1], 0, v6, s[0:1]
	v_lshlrev_b32_e32 v4, 2, v3
	ds_bpermute_b32 v3, v4, v1
	ds_bpermute_b32 v4, v4, v2
	v_cmp_gt_u32_e64 s[0:1], 62, v7
	s_waitcnt lgkmcnt(0)
	v_add_f64 v[1:2], v[1:2], v[3:4]
	v_cndmask_b32_e64 v3, 0, 2, s[0:1]
	v_add_lshl_u32 v4, v3, v6, 2
	v_cmp_gt_u32_e64 s[0:1], 60, v7
	ds_bpermute_b32 v3, v4, v1
	ds_bpermute_b32 v4, v4, v2
	s_waitcnt lgkmcnt(0)
	v_add_f64 v[1:2], v[1:2], v[3:4]
	v_cndmask_b32_e64 v3, 0, 4, s[0:1]
	v_add_lshl_u32 v4, v3, v6, 2
	v_cmp_gt_u32_e64 s[0:1], 56, v7
	ds_bpermute_b32 v3, v4, v1
	ds_bpermute_b32 v4, v4, v2
	;; [unrolled: 7-line block ×3, first 2 shown]
	s_waitcnt lgkmcnt(0)
	v_add_f64 v[1:2], v[1:2], v[3:4]
	v_cndmask_b32_e64 v3, 0, 16, s[0:1]
	v_add_lshl_u32 v4, v3, v6, 2
	ds_bpermute_b32 v3, v4, v1
	ds_bpermute_b32 v4, v4, v2
	s_waitcnt lgkmcnt(0)
	v_add_f64 v[1:2], v[1:2], v[3:4]
	v_mov_b32_e32 v3, 0x80
	v_lshl_or_b32 v4, v6, 2, v3
	ds_bpermute_b32 v3, v4, v1
	ds_bpermute_b32 v4, v4, v2
	s_waitcnt lgkmcnt(0)
	v_add_f64 v[1:2], v[1:2], v[3:4]
	v_and_b32_e32 v3, 63, v0
	v_cmp_eq_u32_e64 s[0:1], 0, v3
	s_and_saveexec_b64 s[2:3], s[0:1]
; %bb.7:
	v_lshrrev_b32_e32 v3, 3, v0
	v_add_u32_e32 v3, 0, v3
	ds_write_b64 v3, v[1:2]
; %bb.8:
	s_or_b64 exec, exec, s[2:3]
	v_cmp_eq_u32_e64 s[0:1], 0, v0
	s_waitcnt lgkmcnt(0)
	s_barrier
	s_and_saveexec_b64 s[2:3], s[0:1]
	s_cbranch_execz .LBB68_10
; %bb.9:
	v_mov_b32_e32 v14, 0
	ds_read2_b64 v[6:9], v14 offset0:1 offset1:2
	ds_read2_b64 v[10:13], v14 offset0:3 offset1:4
	s_waitcnt lgkmcnt(1)
	v_add_f64 v[1:2], v[1:2], v[6:7]
	v_add_f64 v[1:2], v[1:2], v[8:9]
	s_waitcnt lgkmcnt(0)
	v_add_f64 v[1:2], v[1:2], v[10:11]
	v_add_f64 v[10:11], v[1:2], v[12:13]
	ds_read2_b64 v[1:4], v14 offset0:5 offset1:6
	ds_read2_b64 v[6:9], v14 offset0:7 offset1:8
	s_waitcnt lgkmcnt(1)
	v_add_f64 v[1:2], v[10:11], v[1:2]
	v_add_f64 v[1:2], v[1:2], v[3:4]
	s_waitcnt lgkmcnt(0)
	v_add_f64 v[1:2], v[1:2], v[6:7]
	v_add_f64 v[10:11], v[1:2], v[8:9]
	;; [unrolled: 8-line block ×3, first 2 shown]
	ds_read2_b64 v[1:4], v14 offset0:13 offset1:14
	ds_read_b64 v[8:9], v14 offset:120
	s_waitcnt lgkmcnt(1)
	v_add_f64 v[1:2], v[6:7], v[1:2]
	v_add_f64 v[1:2], v[1:2], v[3:4]
	s_waitcnt lgkmcnt(0)
	v_add_f64 v[1:2], v[1:2], v[8:9]
	ds_write_b64 v14, v[1:2]
.LBB68_10:
	s_or_b64 exec, exec, s[2:3]
	s_waitcnt lgkmcnt(0)
	s_barrier
	s_and_saveexec_b64 s[0:1], vcc
	s_cbranch_execz .LBB68_13
; %bb.11:
	s_mul_i32 s0, s16, s29
	s_mul_hi_u32 s1, s16, s8
	s_add_i32 s0, s1, s0
	s_mul_i32 s1, s17, s8
	s_add_i32 s1, s0, s1
	s_mul_i32 s0, s16, s8
	s_lshl_b64 s[0:1], s[0:1], 3
	s_add_u32 s0, s14, s0
	s_addc_u32 s1, s15, s1
	v_mov_b32_e32 v1, 0
	s_load_dwordx2 s[0:1], s[0:1], 0x0
	ds_read_b64 v[1:2], v1
	s_ashr_i32 s7, s6, 31
	s_lshl_b64 s[2:3], s[20:21], 3
	s_lshl_b64 s[4:5], s[10:11], 3
	v_add_u32_e32 v5, 0x80, v5
	s_waitcnt lgkmcnt(0)
	v_mul_f64 v[1:2], v[1:2], -s[0:1]
	v_mad_i64_i32 v[3:4], s[0:1], s6, v0, 0
	s_add_i32 s0, s27, s26
	s_add_i32 s23, s0, s28
	s_lshl_b64 s[0:1], s[22:23], 3
	s_add_u32 s4, s18, s4
	s_addc_u32 s5, s19, s5
	s_add_u32 s2, s4, s2
	s_addc_u32 s3, s5, s3
	v_lshlrev_b64 v[3:4], 3, v[3:4]
	s_add_u32 s0, s2, s0
	s_addc_u32 s1, s3, s1
	v_mov_b32_e32 v6, s1
	v_add_co_u32_e32 v3, vcc, s0, v3
	s_lshl_b64 s[0:1], s[6:7], 13
	v_addc_co_u32_e32 v4, vcc, v6, v4, vcc
	s_mov_b64 s[2:3], 0
	v_mov_b32_e32 v6, s1
.LBB68_12:                              ; =>This Inner Loop Header: Depth=1
	global_load_dwordx2 v[7:8], v[3:4], off
	ds_read_b64 v[9:10], v5
	v_add_u32_e32 v0, 0x400, v0
	v_cmp_le_i32_e32 vcc, s9, v0
	s_or_b64 s[2:3], vcc, s[2:3]
	v_add_u32_e32 v5, 0x2000, v5
	s_waitcnt vmcnt(0) lgkmcnt(0)
	v_fma_f64 v[7:8], v[1:2], v[9:10], v[7:8]
	global_store_dwordx2 v[3:4], v[7:8], off
	v_add_co_u32_e32 v3, vcc, s0, v3
	v_addc_co_u32_e32 v4, vcc, v4, v6, vcc
	s_andn2_b64 exec, exec, s[2:3]
	s_cbranch_execnz .LBB68_12
.LBB68_13:
	s_endpgm
	.section	.rodata,"a",@progbits
	.p2align	6, 0x0
	.amdhsa_kernel _ZN9rocsolver6v33100L17larf_right_kernelILi1024EdiPdEEvT1_S3_T2_lS3_lPKT0_lS4_lS3_l
		.amdhsa_group_segment_fixed_size 0
		.amdhsa_private_segment_fixed_size 0
		.amdhsa_kernarg_size 88
		.amdhsa_user_sgpr_count 6
		.amdhsa_user_sgpr_private_segment_buffer 1
		.amdhsa_user_sgpr_dispatch_ptr 0
		.amdhsa_user_sgpr_queue_ptr 0
		.amdhsa_user_sgpr_kernarg_segment_ptr 1
		.amdhsa_user_sgpr_dispatch_id 0
		.amdhsa_user_sgpr_flat_scratch_init 0
		.amdhsa_user_sgpr_private_segment_size 0
		.amdhsa_uses_dynamic_stack 0
		.amdhsa_system_sgpr_private_segment_wavefront_offset 0
		.amdhsa_system_sgpr_workgroup_id_x 1
		.amdhsa_system_sgpr_workgroup_id_y 1
		.amdhsa_system_sgpr_workgroup_id_z 1
		.amdhsa_system_sgpr_workgroup_info 0
		.amdhsa_system_vgpr_workitem_id 0
		.amdhsa_next_free_vgpr 15
		.amdhsa_next_free_sgpr 36
		.amdhsa_reserve_vcc 1
		.amdhsa_reserve_flat_scratch 0
		.amdhsa_float_round_mode_32 0
		.amdhsa_float_round_mode_16_64 0
		.amdhsa_float_denorm_mode_32 3
		.amdhsa_float_denorm_mode_16_64 3
		.amdhsa_dx10_clamp 1
		.amdhsa_ieee_mode 1
		.amdhsa_fp16_overflow 0
		.amdhsa_exception_fp_ieee_invalid_op 0
		.amdhsa_exception_fp_denorm_src 0
		.amdhsa_exception_fp_ieee_div_zero 0
		.amdhsa_exception_fp_ieee_overflow 0
		.amdhsa_exception_fp_ieee_underflow 0
		.amdhsa_exception_fp_ieee_inexact 0
		.amdhsa_exception_int_div_zero 0
	.end_amdhsa_kernel
	.section	.text._ZN9rocsolver6v33100L17larf_right_kernelILi1024EdiPdEEvT1_S3_T2_lS3_lPKT0_lS4_lS3_l,"axG",@progbits,_ZN9rocsolver6v33100L17larf_right_kernelILi1024EdiPdEEvT1_S3_T2_lS3_lPKT0_lS4_lS3_l,comdat
.Lfunc_end68:
	.size	_ZN9rocsolver6v33100L17larf_right_kernelILi1024EdiPdEEvT1_S3_T2_lS3_lPKT0_lS4_lS3_l, .Lfunc_end68-_ZN9rocsolver6v33100L17larf_right_kernelILi1024EdiPdEEvT1_S3_T2_lS3_lPKT0_lS4_lS3_l
                                        ; -- End function
	.set _ZN9rocsolver6v33100L17larf_right_kernelILi1024EdiPdEEvT1_S3_T2_lS3_lPKT0_lS4_lS3_l.num_vgpr, 15
	.set _ZN9rocsolver6v33100L17larf_right_kernelILi1024EdiPdEEvT1_S3_T2_lS3_lPKT0_lS4_lS3_l.num_agpr, 0
	.set _ZN9rocsolver6v33100L17larf_right_kernelILi1024EdiPdEEvT1_S3_T2_lS3_lPKT0_lS4_lS3_l.numbered_sgpr, 36
	.set _ZN9rocsolver6v33100L17larf_right_kernelILi1024EdiPdEEvT1_S3_T2_lS3_lPKT0_lS4_lS3_l.num_named_barrier, 0
	.set _ZN9rocsolver6v33100L17larf_right_kernelILi1024EdiPdEEvT1_S3_T2_lS3_lPKT0_lS4_lS3_l.private_seg_size, 0
	.set _ZN9rocsolver6v33100L17larf_right_kernelILi1024EdiPdEEvT1_S3_T2_lS3_lPKT0_lS4_lS3_l.uses_vcc, 1
	.set _ZN9rocsolver6v33100L17larf_right_kernelILi1024EdiPdEEvT1_S3_T2_lS3_lPKT0_lS4_lS3_l.uses_flat_scratch, 0
	.set _ZN9rocsolver6v33100L17larf_right_kernelILi1024EdiPdEEvT1_S3_T2_lS3_lPKT0_lS4_lS3_l.has_dyn_sized_stack, 0
	.set _ZN9rocsolver6v33100L17larf_right_kernelILi1024EdiPdEEvT1_S3_T2_lS3_lPKT0_lS4_lS3_l.has_recursion, 0
	.set _ZN9rocsolver6v33100L17larf_right_kernelILi1024EdiPdEEvT1_S3_T2_lS3_lPKT0_lS4_lS3_l.has_indirect_call, 0
	.section	.AMDGPU.csdata,"",@progbits
; Kernel info:
; codeLenInByte = 1420
; TotalNumSgprs: 40
; NumVgprs: 15
; ScratchSize: 0
; MemoryBound: 0
; FloatMode: 240
; IeeeMode: 1
; LDSByteSize: 0 bytes/workgroup (compile time only)
; SGPRBlocks: 4
; VGPRBlocks: 3
; NumSGPRsForWavesPerEU: 40
; NumVGPRsForWavesPerEU: 15
; Occupancy: 10
; WaveLimiterHint : 0
; COMPUTE_PGM_RSRC2:SCRATCH_EN: 0
; COMPUTE_PGM_RSRC2:USER_SGPR: 6
; COMPUTE_PGM_RSRC2:TRAP_HANDLER: 0
; COMPUTE_PGM_RSRC2:TGID_X_EN: 1
; COMPUTE_PGM_RSRC2:TGID_Y_EN: 1
; COMPUTE_PGM_RSRC2:TGID_Z_EN: 1
; COMPUTE_PGM_RSRC2:TIDIG_COMP_CNT: 0
	.section	.text._ZN9rocsolver6v33100L12restore_diagIdidPdEEvPT1_llT2_lT0_lS6_,"axG",@progbits,_ZN9rocsolver6v33100L12restore_diagIdidPdEEvPT1_llT2_lT0_lS6_,comdat
	.globl	_ZN9rocsolver6v33100L12restore_diagIdidPdEEvPT1_llT2_lT0_lS6_ ; -- Begin function _ZN9rocsolver6v33100L12restore_diagIdidPdEEvPT1_llT2_lT0_lS6_
	.p2align	8
	.type	_ZN9rocsolver6v33100L12restore_diagIdidPdEEvPT1_llT2_lT0_lS6_,@function
_ZN9rocsolver6v33100L12restore_diagIdidPdEEvPT1_llT2_lT0_lS6_: ; @_ZN9rocsolver6v33100L12restore_diagIdidPdEEvPT1_llT2_lT0_lS6_
; %bb.0:
	s_load_dword s0, s[4:5], 0x4c
	s_load_dword s1, s[4:5], 0x38
	s_waitcnt lgkmcnt(0)
	s_lshr_b32 s0, s0, 16
	s_mul_i32 s7, s7, s0
	v_add_u32_e32 v0, s7, v1
	v_cmp_gt_i32_e32 vcc, s1, v0
	s_and_saveexec_b64 s[0:1], vcc
	s_cbranch_execz .LBB69_2
; %bb.1:
	s_load_dwordx2 s[0:1], s[4:5], 0x30
	s_load_dwordx2 s[2:3], s[4:5], 0x20
	s_load_dword s7, s[4:5], 0x28
	s_load_dwordx8 s[8:15], s[4:5], 0x0
	s_ashr_i32 s4, s6, 31
	s_waitcnt lgkmcnt(0)
	s_mul_hi_u32 s5, s0, s6
	s_mul_i32 s16, s0, s4
	s_add_i32 s5, s5, s16
	s_mul_i32 s1, s1, s6
	s_add_i32 s1, s5, s1
	s_mul_i32 s0, s0, s6
	s_lshl_b64 s[0:1], s[0:1], 3
	s_add_u32 s5, s14, s0
	s_addc_u32 s14, s15, s1
	s_lshl_b64 s[0:1], s[2:3], 3
	s_add_u32 s2, s5, s0
	s_addc_u32 s3, s14, s1
	s_mul_hi_u32 s0, s12, s6
	s_mul_i32 s1, s12, s4
	s_add_i32 s0, s0, s1
	s_mul_i32 s1, s13, s6
	s_add_i32 s1, s0, s1
	s_mul_i32 s0, s12, s6
	s_lshl_b64 s[0:1], s[0:1], 3
	s_add_u32 s4, s8, s0
	s_addc_u32 s5, s9, s1
	s_lshl_b64 s[0:1], s[10:11], 3
	s_add_u32 s4, s4, s0
	s_addc_u32 s5, s5, s1
	v_mad_u64_u32 v[2:3], s[0:1], v0, s7, v[0:1]
	v_ashrrev_i32_e32 v1, 31, v0
	v_lshlrev_b64 v[0:1], 3, v[0:1]
	v_mov_b32_e32 v3, s5
	v_add_co_u32_e32 v0, vcc, s4, v0
	v_addc_co_u32_e32 v1, vcc, v3, v1, vcc
	global_load_dwordx2 v[0:1], v[0:1], off
	v_ashrrev_i32_e32 v3, 31, v2
	v_lshlrev_b64 v[2:3], 3, v[2:3]
	v_mov_b32_e32 v4, s3
	v_add_co_u32_e32 v2, vcc, s2, v2
	v_addc_co_u32_e32 v3, vcc, v4, v3, vcc
	s_waitcnt vmcnt(0)
	global_store_dwordx2 v[2:3], v[0:1], off
.LBB69_2:
	s_endpgm
	.section	.rodata,"a",@progbits
	.p2align	6, 0x0
	.amdhsa_kernel _ZN9rocsolver6v33100L12restore_diagIdidPdEEvPT1_llT2_lT0_lS6_
		.amdhsa_group_segment_fixed_size 0
		.amdhsa_private_segment_fixed_size 0
		.amdhsa_kernarg_size 320
		.amdhsa_user_sgpr_count 6
		.amdhsa_user_sgpr_private_segment_buffer 1
		.amdhsa_user_sgpr_dispatch_ptr 0
		.amdhsa_user_sgpr_queue_ptr 0
		.amdhsa_user_sgpr_kernarg_segment_ptr 1
		.amdhsa_user_sgpr_dispatch_id 0
		.amdhsa_user_sgpr_flat_scratch_init 0
		.amdhsa_user_sgpr_private_segment_size 0
		.amdhsa_uses_dynamic_stack 0
		.amdhsa_system_sgpr_private_segment_wavefront_offset 0
		.amdhsa_system_sgpr_workgroup_id_x 1
		.amdhsa_system_sgpr_workgroup_id_y 1
		.amdhsa_system_sgpr_workgroup_id_z 0
		.amdhsa_system_sgpr_workgroup_info 0
		.amdhsa_system_vgpr_workitem_id 1
		.amdhsa_next_free_vgpr 5
		.amdhsa_next_free_sgpr 17
		.amdhsa_reserve_vcc 1
		.amdhsa_reserve_flat_scratch 0
		.amdhsa_float_round_mode_32 0
		.amdhsa_float_round_mode_16_64 0
		.amdhsa_float_denorm_mode_32 3
		.amdhsa_float_denorm_mode_16_64 3
		.amdhsa_dx10_clamp 1
		.amdhsa_ieee_mode 1
		.amdhsa_fp16_overflow 0
		.amdhsa_exception_fp_ieee_invalid_op 0
		.amdhsa_exception_fp_denorm_src 0
		.amdhsa_exception_fp_ieee_div_zero 0
		.amdhsa_exception_fp_ieee_overflow 0
		.amdhsa_exception_fp_ieee_underflow 0
		.amdhsa_exception_fp_ieee_inexact 0
		.amdhsa_exception_int_div_zero 0
	.end_amdhsa_kernel
	.section	.text._ZN9rocsolver6v33100L12restore_diagIdidPdEEvPT1_llT2_lT0_lS6_,"axG",@progbits,_ZN9rocsolver6v33100L12restore_diagIdidPdEEvPT1_llT2_lT0_lS6_,comdat
.Lfunc_end69:
	.size	_ZN9rocsolver6v33100L12restore_diagIdidPdEEvPT1_llT2_lT0_lS6_, .Lfunc_end69-_ZN9rocsolver6v33100L12restore_diagIdidPdEEvPT1_llT2_lT0_lS6_
                                        ; -- End function
	.set _ZN9rocsolver6v33100L12restore_diagIdidPdEEvPT1_llT2_lT0_lS6_.num_vgpr, 5
	.set _ZN9rocsolver6v33100L12restore_diagIdidPdEEvPT1_llT2_lT0_lS6_.num_agpr, 0
	.set _ZN9rocsolver6v33100L12restore_diagIdidPdEEvPT1_llT2_lT0_lS6_.numbered_sgpr, 17
	.set _ZN9rocsolver6v33100L12restore_diagIdidPdEEvPT1_llT2_lT0_lS6_.num_named_barrier, 0
	.set _ZN9rocsolver6v33100L12restore_diagIdidPdEEvPT1_llT2_lT0_lS6_.private_seg_size, 0
	.set _ZN9rocsolver6v33100L12restore_diagIdidPdEEvPT1_llT2_lT0_lS6_.uses_vcc, 1
	.set _ZN9rocsolver6v33100L12restore_diagIdidPdEEvPT1_llT2_lT0_lS6_.uses_flat_scratch, 0
	.set _ZN9rocsolver6v33100L12restore_diagIdidPdEEvPT1_llT2_lT0_lS6_.has_dyn_sized_stack, 0
	.set _ZN9rocsolver6v33100L12restore_diagIdidPdEEvPT1_llT2_lT0_lS6_.has_recursion, 0
	.set _ZN9rocsolver6v33100L12restore_diagIdidPdEEvPT1_llT2_lT0_lS6_.has_indirect_call, 0
	.section	.AMDGPU.csdata,"",@progbits
; Kernel info:
; codeLenInByte = 260
; TotalNumSgprs: 21
; NumVgprs: 5
; ScratchSize: 0
; MemoryBound: 0
; FloatMode: 240
; IeeeMode: 1
; LDSByteSize: 0 bytes/workgroup (compile time only)
; SGPRBlocks: 2
; VGPRBlocks: 1
; NumSGPRsForWavesPerEU: 21
; NumVGPRsForWavesPerEU: 5
; Occupancy: 10
; WaveLimiterHint : 0
; COMPUTE_PGM_RSRC2:SCRATCH_EN: 0
; COMPUTE_PGM_RSRC2:USER_SGPR: 6
; COMPUTE_PGM_RSRC2:TRAP_HANDLER: 0
; COMPUTE_PGM_RSRC2:TGID_X_EN: 1
; COMPUTE_PGM_RSRC2:TGID_Y_EN: 1
; COMPUTE_PGM_RSRC2:TGID_Z_EN: 0
; COMPUTE_PGM_RSRC2:TIDIG_COMP_CNT: 1
	.section	.text._ZN9rocsolver6v33100L14set_triangularIdPdTnNSt9enable_ifIXnt18rocblas_is_complexIT_EEiE4typeELi0EEEviiT0_iilPS4_lS8_il15rocblas_direct_15rocblas_storev_b,"axG",@progbits,_ZN9rocsolver6v33100L14set_triangularIdPdTnNSt9enable_ifIXnt18rocblas_is_complexIT_EEiE4typeELi0EEEviiT0_iilPS4_lS8_il15rocblas_direct_15rocblas_storev_b,comdat
	.globl	_ZN9rocsolver6v33100L14set_triangularIdPdTnNSt9enable_ifIXnt18rocblas_is_complexIT_EEiE4typeELi0EEEviiT0_iilPS4_lS8_il15rocblas_direct_15rocblas_storev_b ; -- Begin function _ZN9rocsolver6v33100L14set_triangularIdPdTnNSt9enable_ifIXnt18rocblas_is_complexIT_EEiE4typeELi0EEEviiT0_iilPS4_lS8_il15rocblas_direct_15rocblas_storev_b
	.p2align	8
	.type	_ZN9rocsolver6v33100L14set_triangularIdPdTnNSt9enable_ifIXnt18rocblas_is_complexIT_EEiE4typeELi0EEEviiT0_iilPS4_lS8_il15rocblas_direct_15rocblas_storev_b,@function
_ZN9rocsolver6v33100L14set_triangularIdPdTnNSt9enable_ifIXnt18rocblas_is_complexIT_EEiE4typeELi0EEEviiT0_iilPS4_lS8_il15rocblas_direct_15rocblas_storev_b: ; @_ZN9rocsolver6v33100L14set_triangularIdPdTnNSt9enable_ifIXnt18rocblas_is_complexIT_EEiE4typeELi0EEEviiT0_iilPS4_lS8_il15rocblas_direct_15rocblas_storev_b
; %bb.0:
	s_load_dword s0, s[4:5], 0x64
	s_load_dwordx2 s[10:11], s[4:5], 0x0
	s_waitcnt lgkmcnt(0)
	s_lshr_b32 s1, s0, 16
	s_and_b32 s0, s0, 0xffff
	s_mul_i32 s6, s6, s0
	s_mul_i32 s7, s7, s1
	v_add_u32_e32 v2, s6, v0
	v_add_u32_e32 v0, s7, v1
	v_max_u32_e32 v1, v2, v0
	v_cmp_gt_u32_e32 vcc, s11, v1
	s_and_saveexec_b64 s[0:1], vcc
	s_cbranch_execz .LBB70_36
; %bb.1:
	s_load_dwordx8 s[12:19], s[4:5], 0x18
	s_load_dword s20, s[4:5], 0x38
	s_load_dwordx2 s[0:1], s[4:5], 0x40
	v_cmp_ne_u32_e32 vcc, v0, v2
	s_waitcnt lgkmcnt(0)
	s_mul_i32 s3, s17, s8
	s_mul_hi_u32 s6, s16, s8
	s_mul_i32 s2, s16, s8
	s_add_i32 s3, s6, s3
	s_lshl_b64 s[2:3], s[2:3], 3
	s_add_u32 s21, s14, s2
	s_mul_i32 s1, s1, s8
	s_mul_hi_u32 s2, s0, s8
	s_addc_u32 s22, s15, s3
	s_add_i32 s1, s2, s1
	s_mul_i32 s0, s0, s8
	s_lshl_b64 s[0:1], s[0:1], 3
	s_add_u32 s14, s18, s0
	s_addc_u32 s15, s19, s1
	s_and_saveexec_b64 s[0:1], vcc
	s_xor_b64 s[6:7], exec, s[0:1]
	s_cbranch_execz .LBB70_34
; %bb.2:
	s_load_dwordx4 s[0:3], s[4:5], 0x8
	s_load_dwordx4 s[16:19], s[4:5], 0x48
	s_mul_i32 s9, s13, s8
	s_mul_hi_u32 s13, s12, s8
	s_add_i32 s9, s13, s9
	s_mul_i32 s8, s12, s8
	s_waitcnt lgkmcnt(0)
	s_ashr_i32 s5, s2, 31
	s_lshl_b64 s[8:9], s[8:9], 3
	s_mov_b32 s4, s2
	s_add_u32 s2, s0, s8
	s_addc_u32 s8, s1, s9
	s_lshl_b64 s[0:1], s[4:5], 3
	s_add_u32 s2, s2, s0
	s_addc_u32 s12, s8, s1
	s_bitcmp1_b32 s18, 0
	s_cselect_b64 s[0:1], -1, 0
	s_xor_b64 s[0:1], s[0:1], -1
	s_mov_b64 s[4:5], -1
	s_cmpk_lg_i32 s16, 0xab
	v_mov_b32_e32 v3, 0
	s_cbranch_scc0 .LBB70_18
; %bb.3:
	v_cmp_le_u32_e32 vcc, v0, v2
	s_and_saveexec_b64 s[4:5], vcc
	s_xor_b64 s[4:5], exec, s[4:5]
	s_cbranch_execz .LBB70_5
; %bb.4:
	v_mad_u64_u32 v[4:5], s[8:9], v2, s20, 0
	s_ashr_i32 s8, s20, 31
	v_mov_b32_e32 v1, v5
	v_mad_u64_u32 v[5:6], s[8:9], v2, s8, v[1:2]
	v_mov_b32_e32 v1, 0
	v_mov_b32_e32 v6, s15
	v_lshlrev_b64 v[4:5], 3, v[4:5]
	v_add_co_u32_e32 v7, vcc, s14, v4
	v_addc_co_u32_e32 v6, vcc, v6, v5, vcc
	v_lshlrev_b64 v[4:5], 3, v[0:1]
	v_add_co_u32_e32 v4, vcc, v7, v4
	v_addc_co_u32_e32 v5, vcc, v6, v5, vcc
	v_mov_b32_e32 v6, v1
	v_mov_b32_e32 v7, v1
	global_store_dwordx2 v[4:5], v[6:7], off
.LBB70_5:
	s_andn2_saveexec_b64 s[4:5], s[4:5]
	s_cbranch_execz .LBB70_17
; %bb.6:
	v_lshlrev_b64 v[4:5], 3, v[2:3]
	v_mov_b32_e32 v1, s22
	v_add_co_u32_e32 v4, vcc, s21, v4
	v_addc_co_u32_e32 v5, vcc, v1, v5, vcc
	global_load_dwordx2 v[4:5], v[4:5], off
	s_cmpk_lg_i32 s17, 0xb5
	s_mov_b64 s[8:9], -1
	s_cbranch_scc0 .LBB70_12
; %bb.7:
	v_mov_b32_e32 v1, 0
	v_lshlrev_b64 v[6:7], 3, v[0:1]
	s_andn2_b64 vcc, exec, s[0:1]
	s_cbranch_vccnz .LBB70_9
; %bb.8:
	s_sub_i32 s8, s10, s11
	v_add_u32_e32 v10, s8, v2
	v_mad_u64_u32 v[8:9], s[8:9], v10, s3, 0
	s_ashr_i32 s8, s3, 31
	v_mov_b32_e32 v1, v9
	v_mad_u64_u32 v[9:10], s[8:9], v10, s8, v[1:2]
	v_mov_b32_e32 v1, s12
	v_mad_u64_u32 v[10:11], s[8:9], v2, s20, 0
	v_lshlrev_b64 v[8:9], 3, v[8:9]
	s_ashr_i32 s8, s20, 31
	v_add_co_u32_e32 v8, vcc, s2, v8
	v_addc_co_u32_e32 v1, vcc, v1, v9, vcc
	v_add_co_u32_e32 v8, vcc, v8, v6
	v_addc_co_u32_e32 v9, vcc, v1, v7, vcc
	global_load_dwordx2 v[8:9], v[8:9], off
	v_mov_b32_e32 v1, v11
	v_mad_u64_u32 v[11:12], s[8:9], v2, s8, v[1:2]
	v_mov_b32_e32 v1, s15
	s_mov_b64 s[8:9], 0
	v_lshlrev_b64 v[10:11], 3, v[10:11]
	v_add_co_u32_e32 v10, vcc, s14, v10
	v_addc_co_u32_e32 v1, vcc, v1, v11, vcc
	v_add_co_u32_e32 v10, vcc, v10, v6
	v_addc_co_u32_e32 v11, vcc, v1, v7, vcc
	s_waitcnt vmcnt(0)
	v_mul_f64 v[8:9], v[8:9], -v[4:5]
	global_store_dwordx2 v[10:11], v[8:9], off
.LBB70_9:
	s_andn2_b64 vcc, exec, s[8:9]
	s_cbranch_vccnz .LBB70_11
; %bb.10:
	v_mad_u64_u32 v[8:9], s[8:9], v2, s20, 0
	s_ashr_i32 s8, s20, 31
	v_mov_b32_e32 v1, v9
	v_mad_u64_u32 v[9:10], s[8:9], v2, s8, v[1:2]
	s_sub_i32 s8, s10, s11
	v_add_u32_e32 v12, s8, v2
	v_mad_u64_u32 v[10:11], s[8:9], v12, s3, 0
	v_lshlrev_b64 v[8:9], 3, v[8:9]
	v_mov_b32_e32 v1, s15
	v_add_co_u32_e32 v13, vcc, s14, v8
	v_addc_co_u32_e32 v14, vcc, v1, v9, vcc
	s_ashr_i32 s8, s3, 31
	v_mov_b32_e32 v1, v11
	v_mad_u64_u32 v[8:9], s[8:9], v12, s8, v[1:2]
	v_add_co_u32_e32 v12, vcc, v13, v6
	v_mov_b32_e32 v11, v8
	v_lshlrev_b64 v[8:9], 3, v[10:11]
	v_addc_co_u32_e32 v13, vcc, v14, v7, vcc
	v_mov_b32_e32 v1, s12
	v_add_co_u32_e32 v8, vcc, s2, v8
	v_addc_co_u32_e32 v1, vcc, v1, v9, vcc
	v_add_co_u32_e32 v6, vcc, v8, v6
	v_addc_co_u32_e32 v7, vcc, v1, v7, vcc
	global_load_dwordx2 v[14:15], v[12:13], off
	s_nop 0
	global_load_dwordx2 v[6:7], v[6:7], off
	s_waitcnt vmcnt(0)
	v_add_f64 v[6:7], v[14:15], v[6:7]
	v_mul_f64 v[6:7], v[6:7], -v[4:5]
	global_store_dwordx2 v[12:13], v[6:7], off
.LBB70_11:
	s_mov_b64 s[8:9], 0
.LBB70_12:
	s_andn2_b64 vcc, exec, s[8:9]
	s_cbranch_vccnz .LBB70_17
; %bb.13:
	s_andn2_b64 vcc, exec, s[0:1]
	s_mov_b64 s[8:9], -1
	s_cbranch_vccnz .LBB70_15
; %bb.14:
	v_mad_u64_u32 v[6:7], s[8:9], v0, s3, 0
	s_ashr_i32 s8, s3, 31
	v_mov_b32_e32 v9, 0
	v_mov_b32_e32 v1, v7
	v_mad_u64_u32 v[7:8], s[8:9], v0, s8, v[1:2]
	s_sub_i32 s8, s10, s11
	v_add_u32_e32 v8, s8, v2
	v_lshlrev_b64 v[6:7], 3, v[6:7]
	v_mov_b32_e32 v1, s12
	v_add_co_u32_e32 v10, vcc, s2, v6
	v_addc_co_u32_e32 v1, vcc, v1, v7, vcc
	v_lshlrev_b64 v[6:7], 3, v[8:9]
	v_add_co_u32_e32 v6, vcc, v10, v6
	v_addc_co_u32_e32 v7, vcc, v1, v7, vcc
	global_load_dwordx2 v[6:7], v[6:7], off
	v_mad_u64_u32 v[10:11], s[8:9], v2, s20, 0
	s_ashr_i32 s8, s20, 31
	v_mov_b32_e32 v1, v11
	v_mad_u64_u32 v[11:12], s[8:9], v2, s8, v[1:2]
	v_mov_b32_e32 v1, v9
	v_mov_b32_e32 v12, s15
	v_lshlrev_b64 v[10:11], 3, v[10:11]
	v_lshlrev_b64 v[8:9], 3, v[0:1]
	v_add_co_u32_e32 v1, vcc, s14, v10
	v_addc_co_u32_e32 v10, vcc, v12, v11, vcc
	v_add_co_u32_e32 v8, vcc, v1, v8
	v_addc_co_u32_e32 v9, vcc, v10, v9, vcc
	s_mov_b64 s[8:9], 0
	s_waitcnt vmcnt(0)
	v_mul_f64 v[6:7], v[6:7], -v[4:5]
	global_store_dwordx2 v[8:9], v[6:7], off
.LBB70_15:
	s_andn2_b64 vcc, exec, s[8:9]
	s_cbranch_vccnz .LBB70_17
; %bb.16:
	v_mad_u64_u32 v[6:7], s[8:9], v2, s20, 0
	s_ashr_i32 s8, s20, 31
	v_mov_b32_e32 v1, v7
	v_mad_u64_u32 v[7:8], s[8:9], v2, s8, v[1:2]
	v_mov_b32_e32 v1, 0
	v_mov_b32_e32 v8, s15
	v_lshlrev_b64 v[6:7], 3, v[6:7]
	v_mov_b32_e32 v14, v1
	v_add_co_u32_e32 v10, vcc, s14, v6
	v_addc_co_u32_e32 v11, vcc, v8, v7, vcc
	v_lshlrev_b64 v[6:7], 3, v[0:1]
	v_mad_u64_u32 v[8:9], s[8:9], v0, s3, 0
	v_add_co_u32_e32 v6, vcc, v10, v6
	v_addc_co_u32_e32 v7, vcc, v11, v7, vcc
	global_load_dwordx2 v[10:11], v[6:7], off
	s_ashr_i32 s8, s3, 31
	v_mov_b32_e32 v1, s12
	s_waitcnt vmcnt(0)
	v_mad_u64_u32 v[12:13], s[8:9], v0, s8, v[9:10]
	s_sub_i32 s8, s10, s11
	v_add_u32_e32 v13, s8, v2
	v_mov_b32_e32 v9, v12
	v_lshlrev_b64 v[8:9], 3, v[8:9]
	v_add_co_u32_e32 v12, vcc, s2, v8
	v_addc_co_u32_e32 v1, vcc, v1, v9, vcc
	v_lshlrev_b64 v[8:9], 3, v[13:14]
	v_add_co_u32_e32 v8, vcc, v12, v8
	v_addc_co_u32_e32 v9, vcc, v1, v9, vcc
	global_load_dwordx2 v[8:9], v[8:9], off
	s_waitcnt vmcnt(0)
	v_add_f64 v[8:9], v[10:11], v[8:9]
	v_mul_f64 v[4:5], v[8:9], -v[4:5]
	global_store_dwordx2 v[6:7], v[4:5], off
.LBB70_17:
	s_or_b64 exec, exec, s[4:5]
	s_mov_b64 s[4:5], 0
.LBB70_18:
	s_andn2_b64 vcc, exec, s[4:5]
	s_cbranch_vccnz .LBB70_34
; %bb.19:
	v_cmp_ge_u32_e32 vcc, v0, v2
	s_and_saveexec_b64 s[4:5], vcc
	s_xor_b64 s[4:5], exec, s[4:5]
	s_cbranch_execz .LBB70_21
; %bb.20:
	s_waitcnt vmcnt(0)
	v_mad_u64_u32 v[3:4], s[8:9], v2, s20, 0
	s_ashr_i32 s8, s20, 31
	v_mov_b32_e32 v1, v4
	v_mad_u64_u32 v[4:5], s[8:9], v2, s8, v[1:2]
	v_mov_b32_e32 v1, 0
	v_mov_b32_e32 v5, s15
	v_lshlrev_b64 v[2:3], 3, v[3:4]
	v_add_co_u32_e32 v4, vcc, s14, v2
	v_addc_co_u32_e32 v5, vcc, v5, v3, vcc
	v_lshlrev_b64 v[2:3], 3, v[0:1]
	v_mov_b32_e32 v0, v1
	v_add_co_u32_e32 v2, vcc, v4, v2
	v_addc_co_u32_e32 v3, vcc, v5, v3, vcc
	global_store_dwordx2 v[2:3], v[0:1], off
                                        ; implicit-def: $vgpr2_vgpr3
                                        ; implicit-def: $vgpr0
.LBB70_21:
	s_andn2_saveexec_b64 s[4:5], s[4:5]
	s_cbranch_execz .LBB70_33
; %bb.22:
	s_waitcnt vmcnt(0)
	v_lshlrev_b64 v[3:4], 3, v[2:3]
	v_mov_b32_e32 v1, s22
	v_add_co_u32_e32 v5, vcc, s21, v3
	v_addc_co_u32_e32 v6, vcc, v1, v4, vcc
	global_load_dwordx2 v[5:6], v[5:6], off
	v_cndmask_b32_e64 v7, 0, 1, s[0:1]
	s_cmpk_lg_i32 s17, 0xb5
	v_mov_b32_e32 v1, 0
	s_mov_b64 s[8:9], -1
	v_cmp_ne_u32_e64 s[0:1], 1, v7
	s_cbranch_scc0 .LBB70_28
; %bb.23:
	s_and_b64 vcc, exec, s[0:1]
	s_cbranch_vccnz .LBB70_25
; %bb.24:
	v_mad_u64_u32 v[7:8], s[8:9], v2, s3, 0
	s_ashr_i32 s8, s3, 31
	v_mad_u64_u32 v[8:9], s[8:9], v2, s8, v[8:9]
	v_mov_b32_e32 v9, s12
	v_lshlrev_b64 v[7:8], 3, v[7:8]
	v_add_co_u32_e32 v10, vcc, s2, v7
	v_addc_co_u32_e32 v11, vcc, v9, v8, vcc
	v_lshlrev_b64 v[7:8], 3, v[0:1]
	v_add_co_u32_e32 v9, vcc, v10, v7
	v_addc_co_u32_e32 v10, vcc, v11, v8, vcc
	global_load_dwordx2 v[9:10], v[9:10], off
	v_mad_u64_u32 v[11:12], s[8:9], v2, s20, 0
	s_ashr_i32 s8, s20, 31
	v_mad_u64_u32 v[12:13], s[8:9], v2, s8, v[12:13]
	v_mov_b32_e32 v13, s15
	s_mov_b64 s[8:9], 0
	v_lshlrev_b64 v[11:12], 3, v[11:12]
	v_add_co_u32_e32 v11, vcc, s14, v11
	v_addc_co_u32_e32 v12, vcc, v13, v12, vcc
	v_add_co_u32_e32 v7, vcc, v11, v7
	v_addc_co_u32_e32 v8, vcc, v12, v8, vcc
	s_waitcnt vmcnt(0)
	v_mul_f64 v[9:10], v[9:10], -v[5:6]
	global_store_dwordx2 v[7:8], v[9:10], off
.LBB70_25:
	s_andn2_b64 vcc, exec, s[8:9]
	s_cbranch_vccnz .LBB70_27
; %bb.26:
	v_mad_u64_u32 v[7:8], s[8:9], v2, s20, 0
	s_ashr_i32 s8, s20, 31
	v_mov_b32_e32 v11, s15
	v_mad_u64_u32 v[8:9], s[8:9], v2, s8, v[8:9]
	v_mad_u64_u32 v[9:10], s[8:9], v2, s3, 0
	v_lshlrev_b64 v[7:8], 3, v[7:8]
	s_ashr_i32 s8, s3, 31
	v_add_co_u32_e32 v12, vcc, s14, v7
	v_addc_co_u32_e32 v13, vcc, v11, v8, vcc
	v_mad_u64_u32 v[10:11], s[8:9], v2, s8, v[10:11]
	v_lshlrev_b64 v[7:8], 3, v[0:1]
	v_mov_b32_e32 v15, s12
	v_add_co_u32_e32 v11, vcc, v12, v7
	v_lshlrev_b64 v[9:10], 3, v[9:10]
	v_addc_co_u32_e32 v12, vcc, v13, v8, vcc
	v_add_co_u32_e32 v9, vcc, s2, v9
	v_addc_co_u32_e32 v10, vcc, v15, v10, vcc
	v_add_co_u32_e32 v7, vcc, v9, v7
	v_addc_co_u32_e32 v8, vcc, v10, v8, vcc
	global_load_dwordx2 v[13:14], v[11:12], off
	s_nop 0
	global_load_dwordx2 v[7:8], v[7:8], off
	s_waitcnt vmcnt(0)
	v_add_f64 v[7:8], v[13:14], v[7:8]
	v_mul_f64 v[7:8], v[7:8], -v[5:6]
	global_store_dwordx2 v[11:12], v[7:8], off
.LBB70_27:
	s_mov_b64 s[8:9], 0
.LBB70_28:
	s_andn2_b64 vcc, exec, s[8:9]
	s_cbranch_vccnz .LBB70_33
; %bb.29:
	v_lshlrev_b64 v[7:8], 3, v[0:1]
	s_and_b64 vcc, exec, s[0:1]
	s_mov_b64 s[0:1], -1
	s_cbranch_vccnz .LBB70_31
; %bb.30:
	v_mad_u64_u32 v[9:10], s[0:1], v0, s3, 0
	s_ashr_i32 s0, s3, 31
	v_mov_b32_e32 v1, v10
	v_mad_u64_u32 v[10:11], s[0:1], v0, s0, v[1:2]
	v_mov_b32_e32 v1, s12
	v_mad_u64_u32 v[11:12], s[0:1], v2, s20, 0
	v_lshlrev_b64 v[9:10], 3, v[9:10]
	s_ashr_i32 s0, s20, 31
	v_add_co_u32_e32 v9, vcc, s2, v9
	v_addc_co_u32_e32 v1, vcc, v1, v10, vcc
	v_add_co_u32_e32 v9, vcc, v9, v3
	v_addc_co_u32_e32 v10, vcc, v1, v4, vcc
	global_load_dwordx2 v[9:10], v[9:10], off
	v_mov_b32_e32 v1, v12
	v_mad_u64_u32 v[12:13], s[0:1], v2, s0, v[1:2]
	v_mov_b32_e32 v1, s15
	s_mov_b64 s[0:1], 0
	v_lshlrev_b64 v[11:12], 3, v[11:12]
	v_add_co_u32_e32 v11, vcc, s14, v11
	v_addc_co_u32_e32 v1, vcc, v1, v12, vcc
	v_add_co_u32_e32 v11, vcc, v11, v7
	v_addc_co_u32_e32 v12, vcc, v1, v8, vcc
	s_waitcnt vmcnt(0)
	v_mul_f64 v[9:10], v[9:10], -v[5:6]
	global_store_dwordx2 v[11:12], v[9:10], off
.LBB70_31:
	s_andn2_b64 vcc, exec, s[0:1]
	s_cbranch_vccnz .LBB70_33
; %bb.32:
	v_mad_u64_u32 v[9:10], s[0:1], v2, s20, 0
	s_ashr_i32 s0, s20, 31
	v_mov_b32_e32 v13, s15
	v_mov_b32_e32 v1, v10
	v_mad_u64_u32 v[1:2], s[0:1], v2, s0, v[1:2]
	v_mad_u64_u32 v[11:12], s[0:1], v0, s3, 0
	v_mov_b32_e32 v10, v1
	v_lshlrev_b64 v[1:2], 3, v[9:10]
	s_ashr_i32 s0, s3, 31
	v_add_co_u32_e32 v9, vcc, s14, v1
	v_addc_co_u32_e32 v2, vcc, v13, v2, vcc
	v_mov_b32_e32 v1, v12
	v_mad_u64_u32 v[0:1], s[0:1], v0, s0, v[1:2]
	v_add_co_u32_e32 v1, vcc, v9, v7
	v_mov_b32_e32 v12, v0
	v_lshlrev_b64 v[9:10], 3, v[11:12]
	v_addc_co_u32_e32 v2, vcc, v2, v8, vcc
	v_mov_b32_e32 v0, s12
	v_add_co_u32_e32 v9, vcc, s2, v9
	v_addc_co_u32_e32 v0, vcc, v0, v10, vcc
	v_add_co_u32_e32 v3, vcc, v9, v3
	v_addc_co_u32_e32 v4, vcc, v0, v4, vcc
	global_load_dwordx2 v[7:8], v[1:2], off
	s_nop 0
	global_load_dwordx2 v[3:4], v[3:4], off
	s_waitcnt vmcnt(0)
	v_add_f64 v[3:4], v[7:8], v[3:4]
	v_mul_f64 v[3:4], v[3:4], -v[5:6]
	global_store_dwordx2 v[1:2], v[3:4], off
.LBB70_33:
	s_or_b64 exec, exec, s[4:5]
                                        ; implicit-def: $vgpr2
.LBB70_34:
	s_andn2_saveexec_b64 s[0:1], s[6:7]
	s_cbranch_execz .LBB70_36
; %bb.35:
	v_mov_b32_e32 v3, 0
	v_lshlrev_b64 v[0:1], 3, v[2:3]
	s_waitcnt vmcnt(0)
	v_mov_b32_e32 v4, s22
	v_add_co_u32_e32 v3, vcc, s21, v0
	v_addc_co_u32_e32 v4, vcc, v4, v1, vcc
	global_load_dwordx2 v[3:4], v[3:4], off
	v_mad_u64_u32 v[5:6], s[0:1], v2, s20, 0
	s_ashr_i32 s0, s20, 31
	v_mad_u64_u32 v[6:7], s[0:1], v2, s0, v[6:7]
	v_mov_b32_e32 v2, s15
	v_lshlrev_b64 v[5:6], 3, v[5:6]
	v_add_co_u32_e32 v5, vcc, s14, v5
	v_addc_co_u32_e32 v2, vcc, v2, v6, vcc
	v_add_co_u32_e32 v0, vcc, v5, v0
	v_addc_co_u32_e32 v1, vcc, v2, v1, vcc
	s_waitcnt vmcnt(0)
	global_store_dwordx2 v[0:1], v[3:4], off
.LBB70_36:
	s_endpgm
	.section	.rodata,"a",@progbits
	.p2align	6, 0x0
	.amdhsa_kernel _ZN9rocsolver6v33100L14set_triangularIdPdTnNSt9enable_ifIXnt18rocblas_is_complexIT_EEiE4typeELi0EEEviiT0_iilPS4_lS8_il15rocblas_direct_15rocblas_storev_b
		.amdhsa_group_segment_fixed_size 0
		.amdhsa_private_segment_fixed_size 0
		.amdhsa_kernarg_size 344
		.amdhsa_user_sgpr_count 6
		.amdhsa_user_sgpr_private_segment_buffer 1
		.amdhsa_user_sgpr_dispatch_ptr 0
		.amdhsa_user_sgpr_queue_ptr 0
		.amdhsa_user_sgpr_kernarg_segment_ptr 1
		.amdhsa_user_sgpr_dispatch_id 0
		.amdhsa_user_sgpr_flat_scratch_init 0
		.amdhsa_user_sgpr_private_segment_size 0
		.amdhsa_uses_dynamic_stack 0
		.amdhsa_system_sgpr_private_segment_wavefront_offset 0
		.amdhsa_system_sgpr_workgroup_id_x 1
		.amdhsa_system_sgpr_workgroup_id_y 1
		.amdhsa_system_sgpr_workgroup_id_z 1
		.amdhsa_system_sgpr_workgroup_info 0
		.amdhsa_system_vgpr_workitem_id 1
		.amdhsa_next_free_vgpr 16
		.amdhsa_next_free_sgpr 23
		.amdhsa_reserve_vcc 1
		.amdhsa_reserve_flat_scratch 0
		.amdhsa_float_round_mode_32 0
		.amdhsa_float_round_mode_16_64 0
		.amdhsa_float_denorm_mode_32 3
		.amdhsa_float_denorm_mode_16_64 3
		.amdhsa_dx10_clamp 1
		.amdhsa_ieee_mode 1
		.amdhsa_fp16_overflow 0
		.amdhsa_exception_fp_ieee_invalid_op 0
		.amdhsa_exception_fp_denorm_src 0
		.amdhsa_exception_fp_ieee_div_zero 0
		.amdhsa_exception_fp_ieee_overflow 0
		.amdhsa_exception_fp_ieee_underflow 0
		.amdhsa_exception_fp_ieee_inexact 0
		.amdhsa_exception_int_div_zero 0
	.end_amdhsa_kernel
	.section	.text._ZN9rocsolver6v33100L14set_triangularIdPdTnNSt9enable_ifIXnt18rocblas_is_complexIT_EEiE4typeELi0EEEviiT0_iilPS4_lS8_il15rocblas_direct_15rocblas_storev_b,"axG",@progbits,_ZN9rocsolver6v33100L14set_triangularIdPdTnNSt9enable_ifIXnt18rocblas_is_complexIT_EEiE4typeELi0EEEviiT0_iilPS4_lS8_il15rocblas_direct_15rocblas_storev_b,comdat
.Lfunc_end70:
	.size	_ZN9rocsolver6v33100L14set_triangularIdPdTnNSt9enable_ifIXnt18rocblas_is_complexIT_EEiE4typeELi0EEEviiT0_iilPS4_lS8_il15rocblas_direct_15rocblas_storev_b, .Lfunc_end70-_ZN9rocsolver6v33100L14set_triangularIdPdTnNSt9enable_ifIXnt18rocblas_is_complexIT_EEiE4typeELi0EEEviiT0_iilPS4_lS8_il15rocblas_direct_15rocblas_storev_b
                                        ; -- End function
	.set _ZN9rocsolver6v33100L14set_triangularIdPdTnNSt9enable_ifIXnt18rocblas_is_complexIT_EEiE4typeELi0EEEviiT0_iilPS4_lS8_il15rocblas_direct_15rocblas_storev_b.num_vgpr, 16
	.set _ZN9rocsolver6v33100L14set_triangularIdPdTnNSt9enable_ifIXnt18rocblas_is_complexIT_EEiE4typeELi0EEEviiT0_iilPS4_lS8_il15rocblas_direct_15rocblas_storev_b.num_agpr, 0
	.set _ZN9rocsolver6v33100L14set_triangularIdPdTnNSt9enable_ifIXnt18rocblas_is_complexIT_EEiE4typeELi0EEEviiT0_iilPS4_lS8_il15rocblas_direct_15rocblas_storev_b.numbered_sgpr, 23
	.set _ZN9rocsolver6v33100L14set_triangularIdPdTnNSt9enable_ifIXnt18rocblas_is_complexIT_EEiE4typeELi0EEEviiT0_iilPS4_lS8_il15rocblas_direct_15rocblas_storev_b.num_named_barrier, 0
	.set _ZN9rocsolver6v33100L14set_triangularIdPdTnNSt9enable_ifIXnt18rocblas_is_complexIT_EEiE4typeELi0EEEviiT0_iilPS4_lS8_il15rocblas_direct_15rocblas_storev_b.private_seg_size, 0
	.set _ZN9rocsolver6v33100L14set_triangularIdPdTnNSt9enable_ifIXnt18rocblas_is_complexIT_EEiE4typeELi0EEEviiT0_iilPS4_lS8_il15rocblas_direct_15rocblas_storev_b.uses_vcc, 1
	.set _ZN9rocsolver6v33100L14set_triangularIdPdTnNSt9enable_ifIXnt18rocblas_is_complexIT_EEiE4typeELi0EEEviiT0_iilPS4_lS8_il15rocblas_direct_15rocblas_storev_b.uses_flat_scratch, 0
	.set _ZN9rocsolver6v33100L14set_triangularIdPdTnNSt9enable_ifIXnt18rocblas_is_complexIT_EEiE4typeELi0EEEviiT0_iilPS4_lS8_il15rocblas_direct_15rocblas_storev_b.has_dyn_sized_stack, 0
	.set _ZN9rocsolver6v33100L14set_triangularIdPdTnNSt9enable_ifIXnt18rocblas_is_complexIT_EEiE4typeELi0EEEviiT0_iilPS4_lS8_il15rocblas_direct_15rocblas_storev_b.has_recursion, 0
	.set _ZN9rocsolver6v33100L14set_triangularIdPdTnNSt9enable_ifIXnt18rocblas_is_complexIT_EEiE4typeELi0EEEviiT0_iilPS4_lS8_il15rocblas_direct_15rocblas_storev_b.has_indirect_call, 0
	.section	.AMDGPU.csdata,"",@progbits
; Kernel info:
; codeLenInByte = 2060
; TotalNumSgprs: 27
; NumVgprs: 16
; ScratchSize: 0
; MemoryBound: 0
; FloatMode: 240
; IeeeMode: 1
; LDSByteSize: 0 bytes/workgroup (compile time only)
; SGPRBlocks: 3
; VGPRBlocks: 3
; NumSGPRsForWavesPerEU: 27
; NumVGPRsForWavesPerEU: 16
; Occupancy: 10
; WaveLimiterHint : 0
; COMPUTE_PGM_RSRC2:SCRATCH_EN: 0
; COMPUTE_PGM_RSRC2:USER_SGPR: 6
; COMPUTE_PGM_RSRC2:TRAP_HANDLER: 0
; COMPUTE_PGM_RSRC2:TGID_X_EN: 1
; COMPUTE_PGM_RSRC2:TGID_Y_EN: 1
; COMPUTE_PGM_RSRC2:TGID_Z_EN: 1
; COMPUTE_PGM_RSRC2:TIDIG_COMP_CNT: 1
	.section	.text._ZN9rocsolver6v33100L7set_tauIdEEviPT_l,"axG",@progbits,_ZN9rocsolver6v33100L7set_tauIdEEviPT_l,comdat
	.globl	_ZN9rocsolver6v33100L7set_tauIdEEviPT_l ; -- Begin function _ZN9rocsolver6v33100L7set_tauIdEEviPT_l
	.p2align	8
	.type	_ZN9rocsolver6v33100L7set_tauIdEEviPT_l,@function
_ZN9rocsolver6v33100L7set_tauIdEEviPT_l: ; @_ZN9rocsolver6v33100L7set_tauIdEEviPT_l
; %bb.0:
	s_load_dword s0, s[4:5], 0x24
	s_load_dword s1, s[4:5], 0x0
	s_waitcnt lgkmcnt(0)
	s_and_b32 s0, s0, 0xffff
	s_mul_i32 s6, s6, s0
	v_add_u32_e32 v0, s6, v0
	v_cmp_gt_u32_e32 vcc, s1, v0
	s_and_saveexec_b64 s[0:1], vcc
	s_cbranch_execz .LBB71_2
; %bb.1:
	s_load_dwordx4 s[0:3], s[4:5], 0x8
	v_mov_b32_e32 v1, 0
	v_lshlrev_b64 v[0:1], 3, v[0:1]
	s_waitcnt lgkmcnt(0)
	s_mul_i32 s3, s3, s7
	s_mul_hi_u32 s4, s2, s7
	s_mul_i32 s2, s2, s7
	s_add_i32 s3, s4, s3
	s_lshl_b64 s[2:3], s[2:3], 3
	s_add_u32 s0, s0, s2
	s_addc_u32 s1, s1, s3
	v_mov_b32_e32 v2, s1
	v_add_co_u32_e32 v0, vcc, s0, v0
	v_addc_co_u32_e32 v1, vcc, v2, v1, vcc
	global_load_dwordx2 v[2:3], v[0:1], off
	s_waitcnt vmcnt(0)
	v_xor_b32_e32 v3, 0x80000000, v3
	global_store_dwordx2 v[0:1], v[2:3], off
.LBB71_2:
	s_endpgm
	.section	.rodata,"a",@progbits
	.p2align	6, 0x0
	.amdhsa_kernel _ZN9rocsolver6v33100L7set_tauIdEEviPT_l
		.amdhsa_group_segment_fixed_size 0
		.amdhsa_private_segment_fixed_size 0
		.amdhsa_kernarg_size 280
		.amdhsa_user_sgpr_count 6
		.amdhsa_user_sgpr_private_segment_buffer 1
		.amdhsa_user_sgpr_dispatch_ptr 0
		.amdhsa_user_sgpr_queue_ptr 0
		.amdhsa_user_sgpr_kernarg_segment_ptr 1
		.amdhsa_user_sgpr_dispatch_id 0
		.amdhsa_user_sgpr_flat_scratch_init 0
		.amdhsa_user_sgpr_private_segment_size 0
		.amdhsa_uses_dynamic_stack 0
		.amdhsa_system_sgpr_private_segment_wavefront_offset 0
		.amdhsa_system_sgpr_workgroup_id_x 1
		.amdhsa_system_sgpr_workgroup_id_y 1
		.amdhsa_system_sgpr_workgroup_id_z 0
		.amdhsa_system_sgpr_workgroup_info 0
		.amdhsa_system_vgpr_workitem_id 0
		.amdhsa_next_free_vgpr 4
		.amdhsa_next_free_sgpr 8
		.amdhsa_reserve_vcc 1
		.amdhsa_reserve_flat_scratch 0
		.amdhsa_float_round_mode_32 0
		.amdhsa_float_round_mode_16_64 0
		.amdhsa_float_denorm_mode_32 3
		.amdhsa_float_denorm_mode_16_64 3
		.amdhsa_dx10_clamp 1
		.amdhsa_ieee_mode 1
		.amdhsa_fp16_overflow 0
		.amdhsa_exception_fp_ieee_invalid_op 0
		.amdhsa_exception_fp_denorm_src 0
		.amdhsa_exception_fp_ieee_div_zero 0
		.amdhsa_exception_fp_ieee_overflow 0
		.amdhsa_exception_fp_ieee_underflow 0
		.amdhsa_exception_fp_ieee_inexact 0
		.amdhsa_exception_int_div_zero 0
	.end_amdhsa_kernel
	.section	.text._ZN9rocsolver6v33100L7set_tauIdEEviPT_l,"axG",@progbits,_ZN9rocsolver6v33100L7set_tauIdEEviPT_l,comdat
.Lfunc_end71:
	.size	_ZN9rocsolver6v33100L7set_tauIdEEviPT_l, .Lfunc_end71-_ZN9rocsolver6v33100L7set_tauIdEEviPT_l
                                        ; -- End function
	.set _ZN9rocsolver6v33100L7set_tauIdEEviPT_l.num_vgpr, 4
	.set _ZN9rocsolver6v33100L7set_tauIdEEviPT_l.num_agpr, 0
	.set _ZN9rocsolver6v33100L7set_tauIdEEviPT_l.numbered_sgpr, 8
	.set _ZN9rocsolver6v33100L7set_tauIdEEviPT_l.num_named_barrier, 0
	.set _ZN9rocsolver6v33100L7set_tauIdEEviPT_l.private_seg_size, 0
	.set _ZN9rocsolver6v33100L7set_tauIdEEviPT_l.uses_vcc, 1
	.set _ZN9rocsolver6v33100L7set_tauIdEEviPT_l.uses_flat_scratch, 0
	.set _ZN9rocsolver6v33100L7set_tauIdEEviPT_l.has_dyn_sized_stack, 0
	.set _ZN9rocsolver6v33100L7set_tauIdEEviPT_l.has_recursion, 0
	.set _ZN9rocsolver6v33100L7set_tauIdEEviPT_l.has_indirect_call, 0
	.section	.AMDGPU.csdata,"",@progbits
; Kernel info:
; codeLenInByte = 144
; TotalNumSgprs: 12
; NumVgprs: 4
; ScratchSize: 0
; MemoryBound: 0
; FloatMode: 240
; IeeeMode: 1
; LDSByteSize: 0 bytes/workgroup (compile time only)
; SGPRBlocks: 1
; VGPRBlocks: 0
; NumSGPRsForWavesPerEU: 12
; NumVGPRsForWavesPerEU: 4
; Occupancy: 10
; WaveLimiterHint : 0
; COMPUTE_PGM_RSRC2:SCRATCH_EN: 0
; COMPUTE_PGM_RSRC2:USER_SGPR: 6
; COMPUTE_PGM_RSRC2:TRAP_HANDLER: 0
; COMPUTE_PGM_RSRC2:TGID_X_EN: 1
; COMPUTE_PGM_RSRC2:TGID_Y_EN: 1
; COMPUTE_PGM_RSRC2:TGID_Z_EN: 0
; COMPUTE_PGM_RSRC2:TIDIG_COMP_CNT: 0
	.section	.text._ZN9rocsolver6v33100L20larft_kernel_forwardIdPdEEv15rocblas_storev_iiT0_iilPT_lS6_il,"axG",@progbits,_ZN9rocsolver6v33100L20larft_kernel_forwardIdPdEEv15rocblas_storev_iiT0_iilPT_lS6_il,comdat
	.globl	_ZN9rocsolver6v33100L20larft_kernel_forwardIdPdEEv15rocblas_storev_iiT0_iilPT_lS6_il ; -- Begin function _ZN9rocsolver6v33100L20larft_kernel_forwardIdPdEEv15rocblas_storev_iiT0_iilPT_lS6_il
	.p2align	8
	.type	_ZN9rocsolver6v33100L20larft_kernel_forwardIdPdEEv15rocblas_storev_iiT0_iilPT_lS6_il,@function
_ZN9rocsolver6v33100L20larft_kernel_forwardIdPdEEv15rocblas_storev_iiT0_iilPT_lS6_il: ; @_ZN9rocsolver6v33100L20larft_kernel_forwardIdPdEEv15rocblas_storev_iiT0_iilPT_lS6_il
; %bb.0:
	s_load_dword s2, s[4:5], 0x5c
	s_load_dword s30, s[4:5], 0x40
	s_load_dwordx2 s[0:1], s[4:5], 0x48
	s_load_dwordx4 s[16:19], s[4:5], 0x0
	s_load_dwordx8 s[8:15], s[4:5], 0x20
	s_ashr_i32 s6, s7, 31
	s_waitcnt lgkmcnt(0)
	s_and_b32 s19, s2, 0xffff
	s_mul_hi_u32 s2, s0, s7
	s_mul_i32 s3, s0, s6
	s_add_i32 s2, s2, s3
	s_mul_i32 s1, s1, s7
	s_add_i32 s1, s2, s1
	s_mul_i32 s0, s0, s7
	s_lshl_b64 s[0:1], s[0:1], 3
	s_add_u32 s31, s14, s0
	s_addc_u32 s33, s15, s1
	v_cmp_gt_i32_e64 s[0:1], s18, v0
	v_lshlrev_b32_e32 v8, 3, v0
	s_and_saveexec_b64 s[2:3], s[0:1]
	s_cbranch_execz .LBB72_5
; %bb.1:
	v_add_u32_e32 v1, 8, v8
	v_mul_lo_u32 v1, s18, v1
	s_lshl_b32 s22, s18, 3
	s_add_i32 s23, s22, 8
	s_add_i32 s24, s30, 1
	v_add3_u32 v4, v1, v8, 0
	v_mad_u64_u32 v[1:2], s[14:15], v0, s30, v[0:1]
	s_mul_i32 s23, s23, s19
	s_mul_i32 s24, s24, s19
	s_mov_b64 s[14:15], 0
	v_mov_b32_e32 v5, s33
	v_mov_b32_e32 v6, v0
.LBB72_2:                               ; =>This Loop Header: Depth=1
                                        ;     Child Loop BB72_3 Depth 2
	s_mov_b64 s[20:21], 0
	v_mov_b32_e32 v2, v1
	v_mov_b32_e32 v7, v4
	;; [unrolled: 1-line block ×3, first 2 shown]
.LBB72_3:                               ;   Parent Loop BB72_2 Depth=1
                                        ; =>  This Inner Loop Header: Depth=2
	v_ashrrev_i32_e32 v3, 31, v2
	v_lshlrev_b64 v[10:11], 3, v[2:3]
	v_add_u32_e32 v9, 1, v9
	v_add_co_u32_e32 v10, vcc, s31, v10
	v_addc_co_u32_e32 v11, vcc, v5, v11, vcc
	global_load_dwordx2 v[10:11], v[10:11], off
	v_cmp_le_i32_e32 vcc, s18, v9
	v_add_u32_e32 v2, s30, v2
	s_or_b64 s[20:21], vcc, s[20:21]
	s_waitcnt vmcnt(0)
	ds_write_b64 v7, v[10:11]
	v_add_u32_e32 v7, s22, v7
	s_andn2_b64 exec, exec, s[20:21]
	s_cbranch_execnz .LBB72_3
; %bb.4:                                ;   in Loop: Header=BB72_2 Depth=1
	s_or_b64 exec, exec, s[20:21]
	v_add_u32_e32 v6, s19, v6
	v_cmp_le_i32_e32 vcc, s18, v6
	v_add_u32_e32 v4, s23, v4
	s_or_b64 s[14:15], vcc, s[14:15]
	v_add_u32_e32 v1, s24, v1
	s_andn2_b64 exec, exec, s[14:15]
	s_cbranch_execnz .LBB72_2
.LBB72_5:
	s_or_b64 exec, exec, s[2:3]
	s_cmp_lt_i32 s18, 2
	s_waitcnt lgkmcnt(0)
	s_barrier
	s_cbranch_scc1 .LBB72_30
; %bb.6:
	s_load_dwordx4 s[20:23], s[4:5], 0x10
	s_mul_i32 s2, s12, s6
	s_mul_hi_u32 s3, s12, s7
	s_add_i32 s4, s3, s2
	s_mul_i32 s5, s13, s7
	s_add_i32 s5, s4, s5
	s_mul_i32 s4, s12, s7
	s_waitcnt lgkmcnt(0)
	s_ashr_i32 s3, s22, 31
	s_lshl_b64 s[4:5], s[4:5], 3
	s_mov_b32 s2, s22
	s_add_u32 s22, s10, s4
	s_addc_u32 s34, s11, s5
	s_lshl_b32 s35, s18, 3
	s_add_i32 s36, s35, 0
	s_cmpk_lg_i32 s16, 0xb5
	s_mul_i32 s4, s8, s6
	s_mul_hi_u32 s6, s8, s7
	s_cselect_b64 s[10:11], -1, 0
	s_add_i32 s4, s6, s4
	s_mul_i32 s6, s9, s7
	s_add_i32 s9, s4, s6
	s_mul_i32 s8, s8, s7
	s_add_i32 s16, s17, -2
	s_lshl_b64 s[12:13], s[8:9], 3
	s_add_u32 s37, s12, 8
	s_addc_u32 s38, s13, 0
	s_lshl_b64 s[2:3], s[2:3], 3
	s_add_u32 s39, s20, s2
	s_addc_u32 s40, s21, s3
	s_ashr_i32 s9, s23, 31
	s_mov_b32 s8, s23
	s_lshl_b32 s6, s23, 1
	s_lshl_b64 s[8:9], s[8:9], 3
	s_lshl_b32 s41, s19, 3
	s_add_u32 s2, s12, s2
	s_addc_u32 s3, s13, s3
	v_add_u32_e32 v3, 8, v8
	s_add_u32 s2, s20, s2
	v_mul_lo_u32 v3, s18, v3
	s_addc_u32 s3, s21, s3
	v_mul_lo_u32 v9, v0, s23
	s_add_u32 s42, s2, 16
	v_mov_b32_e32 v2, s13
	v_add_co_u32_e32 v1, vcc, s12, v8
	s_addc_u32 s43, s3, 0
	s_add_i32 s45, s35, 8
	s_mov_b32 s5, 0
	s_mov_b32 s4, 1
	v_addc_co_u32_e32 v2, vcc, 0, v2, vcc
	s_mul_i32 s44, s23, s19
	v_add3_u32 v10, v3, v8, 0
	s_mul_i32 s45, s45, s19
	v_add_u32_e32 v11, 0, v8
	s_mov_b32 s12, s23
	s_branch .LBB72_8
.LBB72_7:                               ;   in Loop: Header=BB72_8 Depth=1
	s_or_b64 exec, exec, s[2:3]
	s_add_i32 s4, s4, 1
	s_add_i32 s16, s16, -1
	s_add_u32 s37, s37, 8
	s_addc_u32 s38, s38, 0
	s_add_i32 s6, s6, s23
	s_add_u32 s42, s42, 8
	s_addc_u32 s43, s43, 0
	s_add_i32 s12, s12, s23
	s_cmp_eq_u32 s4, s18
	s_waitcnt lgkmcnt(0)
	s_barrier
	s_cbranch_scc1 .LBB72_30
.LBB72_8:                               ; =>This Loop Header: Depth=1
                                        ;     Child Loop BB72_12 Depth 2
                                        ;       Child Loop BB72_14 Depth 3
                                        ;     Child Loop BB72_21 Depth 2
                                        ;       Child Loop BB72_23 Depth 3
	;; [unrolled: 2-line block ×3, first 2 shown]
	s_not_b32 s2, s4
	s_add_i32 s47, s17, s2
	s_mul_i32 s2, s4, s18
	s_lshl_b32 s2, s2, 3
	s_add_i32 s46, s36, s2
	s_mov_b64 s[14:15], -1
	s_and_b64 vcc, exec, s[10:11]
	v_cmp_gt_u32_e64 s[2:3], s4, v0
	s_cbranch_vccz .LBB72_16
; %bb.9:                                ;   in Loop: Header=BB72_8 Depth=1
	s_and_saveexec_b64 s[14:15], s[2:3]
	s_cbranch_execz .LBB72_15
; %bb.10:                               ;   in Loop: Header=BB72_8 Depth=1
	s_ashr_i32 s7, s6, 31
	s_lshl_b64 s[2:3], s[6:7], 3
	s_add_u32 s20, s39, s2
	s_addc_u32 s21, s40, s3
	s_cmp_gt_i32 s47, 0
	s_cselect_b64 s[2:3], -1, 0
	s_lshl_b64 s[24:25], s[4:5], 3
	s_add_u32 s24, s22, s24
	s_addc_u32 s25, s34, s25
	s_load_dwordx2 s[24:25], s[24:25], 0x0
	v_cndmask_b32_e64 v3, 0, 1, s[2:3]
	v_cmp_ne_u32_e64 s[2:3], 1, v3
	v_mov_b32_e32 v4, v2
	s_mov_b64 s[26:27], 0
	v_mov_b32_e32 v3, v1
	v_mov_b32_e32 v7, v0
	s_branch .LBB72_12
.LBB72_11:                              ;   in Loop: Header=BB72_12 Depth=2
	v_lshlrev_b32_e32 v14, 3, v7
	v_add_u32_e32 v12, s46, v14
	ds_read_b64 v[12:13], v12
	v_add_u32_e32 v7, s19, v7
	v_cmp_le_u32_e32 vcc, s4, v7
	s_or_b64 s[26:27], vcc, s[26:27]
	v_add_co_u32_e32 v3, vcc, s41, v3
	s_waitcnt lgkmcnt(0)
	v_fma_f64 v[5:6], v[5:6], s[24:25], v[12:13]
	v_add_u32_e32 v12, 0, v14
	v_addc_co_u32_e32 v4, vcc, 0, v4, vcc
	ds_write_b64 v12, v[5:6]
	s_andn2_b64 exec, exec, s[26:27]
	s_cbranch_execz .LBB72_15
.LBB72_12:                              ;   Parent Loop BB72_8 Depth=1
                                        ; =>  This Loop Header: Depth=2
                                        ;       Child Loop BB72_14 Depth 3
	v_mov_b32_e32 v5, 0
	v_mov_b32_e32 v6, 0
	s_and_b64 vcc, exec, s[2:3]
	s_cbranch_vccnz .LBB72_11
; %bb.13:                               ;   in Loop: Header=BB72_12 Depth=2
	s_mov_b32 s7, 0
	s_mov_b64 s[28:29], s[20:21]
.LBB72_14:                              ;   Parent Loop BB72_8 Depth=1
                                        ;     Parent Loop BB72_12 Depth=2
                                        ; =>    This Inner Loop Header: Depth=3
	v_mov_b32_e32 v13, s29
	v_add_co_u32_e32 v12, vcc, s28, v3
	v_addc_co_u32_e32 v13, vcc, v13, v4, vcc
	global_load_dwordx2 v[12:13], v[12:13], off
	s_add_u32 s48, s28, s37
	s_addc_u32 s49, s29, s38
	s_load_dwordx2 s[48:49], s[48:49], 0x0
	s_add_i32 s7, s7, 1
	s_add_u32 s28, s28, s8
	s_addc_u32 s29, s29, s9
	s_cmp_eq_u32 s16, s7
	s_waitcnt vmcnt(0) lgkmcnt(0)
	v_fma_f64 v[5:6], v[12:13], s[48:49], v[5:6]
	s_cbranch_scc0 .LBB72_14
	s_branch .LBB72_11
.LBB72_15:                              ;   in Loop: Header=BB72_8 Depth=1
	s_or_b64 exec, exec, s[14:15]
	s_mov_b64 s[14:15], 0
.LBB72_16:                              ;   in Loop: Header=BB72_8 Depth=1
	s_andn2_b64 vcc, exec, s[14:15]
	s_cbranch_vccnz .LBB72_25
; %bb.17:                               ;   in Loop: Header=BB72_8 Depth=1
	v_cmp_gt_u32_e32 vcc, s4, v0
	s_and_saveexec_b64 s[2:3], vcc
	s_cbranch_execz .LBB72_24
; %bb.18:                               ;   in Loop: Header=BB72_8 Depth=1
	s_ashr_i32 s13, s12, 31
	s_lshl_b64 s[14:15], s[12:13], 3
	s_add_u32 s14, s42, s14
	s_addc_u32 s15, s43, s15
	s_cmp_gt_i32 s47, 0
	s_cselect_b64 s[20:21], -1, 0
	s_lshl_b64 s[24:25], s[4:5], 3
	s_add_u32 s24, s22, s24
	s_addc_u32 s25, s34, s25
	s_load_dwordx2 s[24:25], s[24:25], 0x0
	s_mov_b64 s[26:27], 0
	v_mov_b32_e32 v3, v9
	v_mov_b32_e32 v12, v0
	s_branch .LBB72_21
.LBB72_19:                              ;   in Loop: Header=BB72_21 Depth=2
	v_mov_b32_e32 v4, 0
	v_mov_b32_e32 v5, 0
.LBB72_20:                              ;   in Loop: Header=BB72_21 Depth=2
	v_lshlrev_b32_e32 v13, 3, v12
	v_add_u32_e32 v6, s46, v13
	ds_read_b64 v[6:7], v6
	v_add_u32_e32 v12, s19, v12
	v_cmp_le_u32_e32 vcc, s4, v12
	s_or_b64 s[26:27], vcc, s[26:27]
	v_add_u32_e32 v3, s44, v3
	s_waitcnt lgkmcnt(0)
	v_fma_f64 v[4:5], v[4:5], s[24:25], v[6:7]
	v_add_u32_e32 v6, 0, v13
	ds_write_b64 v6, v[4:5]
	s_andn2_b64 exec, exec, s[26:27]
	s_cbranch_execz .LBB72_24
.LBB72_21:                              ;   Parent Loop BB72_8 Depth=1
                                        ; =>  This Loop Header: Depth=2
                                        ;       Child Loop BB72_23 Depth 3
	s_andn2_b64 vcc, exec, s[20:21]
	s_cbranch_vccnz .LBB72_19
; %bb.22:                               ;   in Loop: Header=BB72_21 Depth=2
	v_ashrrev_i32_e32 v4, 31, v3
	v_lshlrev_b64 v[4:5], 3, v[3:4]
	v_mov_b32_e32 v7, s43
	v_add_co_u32_e32 v6, vcc, s42, v4
	v_addc_co_u32_e32 v7, vcc, v7, v5, vcc
	v_mov_b32_e32 v4, 0
	v_mov_b32_e32 v5, 0
	s_mov_b32 s7, 0
	s_mov_b64 s[28:29], s[14:15]
.LBB72_23:                              ;   Parent Loop BB72_8 Depth=1
                                        ;     Parent Loop BB72_21 Depth=2
                                        ; =>    This Inner Loop Header: Depth=3
	global_load_dwordx2 v[13:14], v[6:7], off
	s_load_dwordx2 s[48:49], s[28:29], 0x0
	s_add_i32 s7, s7, 1
	s_add_u32 s28, s28, 8
	v_add_co_u32_e32 v6, vcc, 8, v6
	s_addc_u32 s29, s29, 0
	s_cmp_eq_u32 s16, s7
	v_addc_co_u32_e32 v7, vcc, 0, v7, vcc
	s_waitcnt vmcnt(0) lgkmcnt(0)
	v_fma_f64 v[4:5], v[13:14], s[48:49], v[4:5]
	s_cbranch_scc0 .LBB72_23
	s_branch .LBB72_20
.LBB72_24:                              ;   in Loop: Header=BB72_8 Depth=1
	s_or_b64 exec, exec, s[2:3]
.LBB72_25:                              ;   in Loop: Header=BB72_8 Depth=1
	v_cmp_gt_u32_e32 vcc, s4, v0
	s_waitcnt lgkmcnt(0)
	s_barrier
	s_and_saveexec_b64 s[2:3], vcc
	s_cbranch_execz .LBB72_7
; %bb.26:                               ;   in Loop: Header=BB72_8 Depth=1
	s_mov_b64 s[14:15], 0
	v_mov_b32_e32 v5, v11
	v_mov_b32_e32 v6, v10
	;; [unrolled: 1-line block ×3, first 2 shown]
.LBB72_27:                              ;   Parent Loop BB72_8 Depth=1
                                        ; =>  This Loop Header: Depth=2
                                        ;       Child Loop BB72_28 Depth 3
	v_mov_b32_e32 v3, 0
	v_mov_b32_e32 v4, 0
	s_mov_b64 s[20:21], 0
	v_mov_b32_e32 v12, v5
	v_mov_b32_e32 v13, v6
	;; [unrolled: 1-line block ×3, first 2 shown]
.LBB72_28:                              ;   Parent Loop BB72_8 Depth=1
                                        ;     Parent Loop BB72_27 Depth=2
                                        ; =>    This Inner Loop Header: Depth=3
	ds_read_b64 v[15:16], v13
	ds_read_b64 v[17:18], v12
	v_add_u32_e32 v14, 1, v14
	v_cmp_le_u32_e32 vcc, s4, v14
	v_add_u32_e32 v13, s35, v13
	s_or_b64 s[20:21], vcc, s[20:21]
	s_waitcnt lgkmcnt(0)
	v_fma_f64 v[3:4], v[15:16], v[17:18], v[3:4]
	v_add_u32_e32 v12, 8, v12
	s_andn2_b64 exec, exec, s[20:21]
	s_cbranch_execnz .LBB72_28
; %bb.29:                               ;   in Loop: Header=BB72_27 Depth=2
	s_or_b64 exec, exec, s[20:21]
	v_lshl_add_u32 v12, v7, 3, s46
	v_add_u32_e32 v7, s19, v7
	v_cmp_le_u32_e32 vcc, s4, v7
	v_add_u32_e32 v6, s45, v6
	s_or_b64 s[14:15], vcc, s[14:15]
	v_add_u32_e32 v5, s41, v5
	ds_write_b64 v12, v[3:4]
	s_andn2_b64 exec, exec, s[14:15]
	s_cbranch_execnz .LBB72_27
	s_branch .LBB72_7
.LBB72_30:
	s_and_saveexec_b64 s[2:3], s[0:1]
	s_cbranch_execz .LBB72_35
; %bb.31:
	v_add_u32_e32 v1, 8, v8
	v_mul_lo_u32 v3, s18, v1
	v_mad_u64_u32 v[1:2], s[0:1], v0, s30, v[0:1]
	s_lshl_b32 s5, s18, 3
	s_add_i32 s4, s30, 1
	s_add_i32 s6, s5, 8
	s_mul_i32 s4, s4, s19
	v_add3_u32 v4, v3, v8, 0
	s_mul_i32 s6, s6, s19
	s_mov_b64 s[0:1], 0
	v_mov_b32_e32 v5, s33
.LBB72_32:                              ; =>This Loop Header: Depth=1
                                        ;     Child Loop BB72_33 Depth 2
	s_mov_b64 s[2:3], 0
	v_mov_b32_e32 v6, v4
	v_mov_b32_e32 v2, v1
	;; [unrolled: 1-line block ×3, first 2 shown]
.LBB72_33:                              ;   Parent Loop BB72_32 Depth=1
                                        ; =>  This Inner Loop Header: Depth=2
	ds_read_b64 v[8:9], v6
	v_ashrrev_i32_e32 v3, 31, v2
	v_add_u32_e32 v7, 1, v7
	v_lshlrev_b64 v[10:11], 3, v[2:3]
	v_cmp_le_i32_e32 vcc, s18, v7
	s_or_b64 s[2:3], vcc, s[2:3]
	v_add_co_u32_e32 v10, vcc, s31, v10
	v_add_u32_e32 v6, s5, v6
	v_add_u32_e32 v2, s30, v2
	v_addc_co_u32_e32 v11, vcc, v5, v11, vcc
	s_waitcnt lgkmcnt(0)
	global_store_dwordx2 v[10:11], v[8:9], off
	s_andn2_b64 exec, exec, s[2:3]
	s_cbranch_execnz .LBB72_33
; %bb.34:                               ;   in Loop: Header=BB72_32 Depth=1
	s_or_b64 exec, exec, s[2:3]
	v_add_u32_e32 v0, s19, v0
	v_cmp_le_i32_e32 vcc, s18, v0
	v_add_u32_e32 v1, s4, v1
	s_or_b64 s[0:1], vcc, s[0:1]
	v_add_u32_e32 v4, s6, v4
	s_andn2_b64 exec, exec, s[0:1]
	s_cbranch_execnz .LBB72_32
.LBB72_35:
	s_endpgm
	.section	.rodata,"a",@progbits
	.p2align	6, 0x0
	.amdhsa_kernel _ZN9rocsolver6v33100L20larft_kernel_forwardIdPdEEv15rocblas_storev_iiT0_iilPT_lS6_il
		.amdhsa_group_segment_fixed_size 0
		.amdhsa_private_segment_fixed_size 0
		.amdhsa_kernarg_size 336
		.amdhsa_user_sgpr_count 6
		.amdhsa_user_sgpr_private_segment_buffer 1
		.amdhsa_user_sgpr_dispatch_ptr 0
		.amdhsa_user_sgpr_queue_ptr 0
		.amdhsa_user_sgpr_kernarg_segment_ptr 1
		.amdhsa_user_sgpr_dispatch_id 0
		.amdhsa_user_sgpr_flat_scratch_init 0
		.amdhsa_user_sgpr_private_segment_size 0
		.amdhsa_uses_dynamic_stack 0
		.amdhsa_system_sgpr_private_segment_wavefront_offset 0
		.amdhsa_system_sgpr_workgroup_id_x 1
		.amdhsa_system_sgpr_workgroup_id_y 1
		.amdhsa_system_sgpr_workgroup_id_z 0
		.amdhsa_system_sgpr_workgroup_info 0
		.amdhsa_system_vgpr_workitem_id 0
		.amdhsa_next_free_vgpr 19
		.amdhsa_next_free_sgpr 50
		.amdhsa_reserve_vcc 1
		.amdhsa_reserve_flat_scratch 0
		.amdhsa_float_round_mode_32 0
		.amdhsa_float_round_mode_16_64 0
		.amdhsa_float_denorm_mode_32 3
		.amdhsa_float_denorm_mode_16_64 3
		.amdhsa_dx10_clamp 1
		.amdhsa_ieee_mode 1
		.amdhsa_fp16_overflow 0
		.amdhsa_exception_fp_ieee_invalid_op 0
		.amdhsa_exception_fp_denorm_src 0
		.amdhsa_exception_fp_ieee_div_zero 0
		.amdhsa_exception_fp_ieee_overflow 0
		.amdhsa_exception_fp_ieee_underflow 0
		.amdhsa_exception_fp_ieee_inexact 0
		.amdhsa_exception_int_div_zero 0
	.end_amdhsa_kernel
	.section	.text._ZN9rocsolver6v33100L20larft_kernel_forwardIdPdEEv15rocblas_storev_iiT0_iilPT_lS6_il,"axG",@progbits,_ZN9rocsolver6v33100L20larft_kernel_forwardIdPdEEv15rocblas_storev_iiT0_iilPT_lS6_il,comdat
.Lfunc_end72:
	.size	_ZN9rocsolver6v33100L20larft_kernel_forwardIdPdEEv15rocblas_storev_iiT0_iilPT_lS6_il, .Lfunc_end72-_ZN9rocsolver6v33100L20larft_kernel_forwardIdPdEEv15rocblas_storev_iiT0_iilPT_lS6_il
                                        ; -- End function
	.set _ZN9rocsolver6v33100L20larft_kernel_forwardIdPdEEv15rocblas_storev_iiT0_iilPT_lS6_il.num_vgpr, 19
	.set _ZN9rocsolver6v33100L20larft_kernel_forwardIdPdEEv15rocblas_storev_iiT0_iilPT_lS6_il.num_agpr, 0
	.set _ZN9rocsolver6v33100L20larft_kernel_forwardIdPdEEv15rocblas_storev_iiT0_iilPT_lS6_il.numbered_sgpr, 50
	.set _ZN9rocsolver6v33100L20larft_kernel_forwardIdPdEEv15rocblas_storev_iiT0_iilPT_lS6_il.num_named_barrier, 0
	.set _ZN9rocsolver6v33100L20larft_kernel_forwardIdPdEEv15rocblas_storev_iiT0_iilPT_lS6_il.private_seg_size, 0
	.set _ZN9rocsolver6v33100L20larft_kernel_forwardIdPdEEv15rocblas_storev_iiT0_iilPT_lS6_il.uses_vcc, 1
	.set _ZN9rocsolver6v33100L20larft_kernel_forwardIdPdEEv15rocblas_storev_iiT0_iilPT_lS6_il.uses_flat_scratch, 0
	.set _ZN9rocsolver6v33100L20larft_kernel_forwardIdPdEEv15rocblas_storev_iiT0_iilPT_lS6_il.has_dyn_sized_stack, 0
	.set _ZN9rocsolver6v33100L20larft_kernel_forwardIdPdEEv15rocblas_storev_iiT0_iilPT_lS6_il.has_recursion, 0
	.set _ZN9rocsolver6v33100L20larft_kernel_forwardIdPdEEv15rocblas_storev_iiT0_iilPT_lS6_il.has_indirect_call, 0
	.section	.AMDGPU.csdata,"",@progbits
; Kernel info:
; codeLenInByte = 1516
; TotalNumSgprs: 54
; NumVgprs: 19
; ScratchSize: 0
; MemoryBound: 0
; FloatMode: 240
; IeeeMode: 1
; LDSByteSize: 0 bytes/workgroup (compile time only)
; SGPRBlocks: 6
; VGPRBlocks: 4
; NumSGPRsForWavesPerEU: 54
; NumVGPRsForWavesPerEU: 19
; Occupancy: 10
; WaveLimiterHint : 0
; COMPUTE_PGM_RSRC2:SCRATCH_EN: 0
; COMPUTE_PGM_RSRC2:USER_SGPR: 6
; COMPUTE_PGM_RSRC2:TRAP_HANDLER: 0
; COMPUTE_PGM_RSRC2:TGID_X_EN: 1
; COMPUTE_PGM_RSRC2:TGID_Y_EN: 1
; COMPUTE_PGM_RSRC2:TGID_Z_EN: 0
; COMPUTE_PGM_RSRC2:TIDIG_COMP_CNT: 0
	.section	.text._ZN9rocsolver6v33100L21larft_kernel_backwardIdPdEEv15rocblas_storev_iiT0_iilPT_lS6_il,"axG",@progbits,_ZN9rocsolver6v33100L21larft_kernel_backwardIdPdEEv15rocblas_storev_iiT0_iilPT_lS6_il,comdat
	.globl	_ZN9rocsolver6v33100L21larft_kernel_backwardIdPdEEv15rocblas_storev_iiT0_iilPT_lS6_il ; -- Begin function _ZN9rocsolver6v33100L21larft_kernel_backwardIdPdEEv15rocblas_storev_iiT0_iilPT_lS6_il
	.p2align	8
	.type	_ZN9rocsolver6v33100L21larft_kernel_backwardIdPdEEv15rocblas_storev_iiT0_iilPT_lS6_il,@function
_ZN9rocsolver6v33100L21larft_kernel_backwardIdPdEEv15rocblas_storev_iiT0_iilPT_lS6_il: ; @_ZN9rocsolver6v33100L21larft_kernel_backwardIdPdEEv15rocblas_storev_iiT0_iilPT_lS6_il
; %bb.0:
	s_load_dword s2, s[4:5], 0x5c
	s_load_dword s28, s[4:5], 0x40
	s_load_dwordx2 s[0:1], s[4:5], 0x48
	s_load_dwordx4 s[16:19], s[4:5], 0x0
	s_load_dwordx8 s[8:15], s[4:5], 0x20
	s_ashr_i32 s6, s7, 31
	s_waitcnt lgkmcnt(0)
	s_and_b32 s19, s2, 0xffff
	s_mul_hi_u32 s2, s0, s7
	s_mul_i32 s3, s0, s6
	s_add_i32 s2, s2, s3
	s_mul_i32 s1, s1, s7
	s_add_i32 s1, s2, s1
	s_mul_i32 s0, s0, s7
	s_lshl_b64 s[0:1], s[0:1], 3
	s_add_u32 s29, s14, s0
	s_addc_u32 s30, s15, s1
	v_cmp_gt_i32_e64 s[0:1], s18, v0
	v_add_u32_e32 v8, 1, v0
	s_and_saveexec_b64 s[2:3], s[0:1]
	s_cbranch_execz .LBB73_5
; %bb.1:
	s_lshl_b32 s22, s18, 3
	s_add_i32 s14, s22, 0
	v_add_u32_e32 v3, 1, v0
	v_lshl_add_u32 v4, v0, 3, s14
	s_lshl_b32 s23, s19, 3
	s_mov_b64 s[14:15], 0
	v_mov_b32_e32 v5, s30
	v_mov_b32_e32 v6, v0
.LBB73_2:                               ; =>This Loop Header: Depth=1
                                        ;     Child Loop BB73_3 Depth 2
	s_mov_b64 s[20:21], 0
	v_mov_b32_e32 v1, v6
	v_mov_b32_e32 v7, v4
	s_mov_b32 s24, 0
.LBB73_3:                               ;   Parent Loop BB73_2 Depth=1
                                        ; =>  This Inner Loop Header: Depth=2
	v_ashrrev_i32_e32 v2, 31, v1
	v_lshlrev_b64 v[9:10], 3, v[1:2]
	s_add_i32 s24, s24, 1
	v_add_co_u32_e32 v9, vcc, s29, v9
	v_addc_co_u32_e32 v10, vcc, v5, v10, vcc
	global_load_dwordx2 v[9:10], v[9:10], off
	v_cmp_eq_u32_e32 vcc, s24, v3
	v_add_u32_e32 v1, s28, v1
	s_or_b64 s[20:21], vcc, s[20:21]
	s_waitcnt vmcnt(0)
	ds_write_b64 v7, v[9:10]
	v_add_u32_e32 v7, s22, v7
	s_andn2_b64 exec, exec, s[20:21]
	s_cbranch_execnz .LBB73_3
; %bb.4:                                ;   in Loop: Header=BB73_2 Depth=1
	s_or_b64 exec, exec, s[20:21]
	v_add_u32_e32 v6, s19, v6
	v_cmp_le_i32_e32 vcc, s18, v6
	v_add_u32_e32 v3, s19, v3
	s_or_b64 s[14:15], vcc, s[14:15]
	v_add_u32_e32 v4, s23, v4
	s_andn2_b64 exec, exec, s[14:15]
	s_cbranch_execnz .LBB73_2
.LBB73_5:
	s_or_b64 exec, exec, s[2:3]
	s_cmp_lt_i32 s18, 2
	s_waitcnt lgkmcnt(0)
	s_barrier
	s_cbranch_scc1 .LBB73_30
; %bb.6:
	s_load_dwordx4 s[20:23], s[4:5], 0x10
	s_mul_i32 s2, s12, s6
	s_mul_hi_u32 s3, s12, s7
	s_add_i32 s4, s3, s2
	s_mul_i32 s5, s13, s7
	s_add_i32 s5, s4, s5
	s_mul_i32 s4, s12, s7
	s_waitcnt lgkmcnt(0)
	s_ashr_i32 s3, s22, 31
	s_lshl_b64 s[4:5], s[4:5], 3
	s_mov_b32 s2, s22
	s_add_u32 s22, s10, s4
	s_addc_u32 s31, s11, s5
	s_lshl_b32 s33, s18, 3
	s_add_i32 s34, s33, 0
	s_add_i32 s4, s18, -2
	s_sub_i32 s35, s17, s18
	s_cmpk_lg_i32 s16, 0xb5
	s_mul_i32 s6, s8, s6
	s_mul_hi_u32 s12, s8, s7
	s_cselect_b64 s[10:11], -1, 0
	s_add_i32 s6, s12, s6
	s_mul_i32 s9, s9, s7
	s_add_i32 s9, s6, s9
	s_mul_i32 s8, s8, s7
	s_add_i32 s36, s17, -2
	s_lshl_b64 s[6:7], s[8:9], 3
	s_lshl_b64 s[2:3], s[2:3], 3
	s_mov_b32 s5, 0
	s_add_u32 s8, s6, s2
	s_addc_u32 s9, s7, s3
	s_lshl_b64 s[2:3], s[4:5], 3
	s_add_u32 s6, s8, s2
	s_addc_u32 s7, s9, s3
	s_add_u32 s37, s20, s6
	s_addc_u32 s38, s21, s7
	s_ashr_i32 s7, s23, 31
	s_mov_b32 s6, s23
	s_lshl_b64 s[6:7], s[6:7], 3
	s_add_u32 s2, s20, s2
	s_addc_u32 s3, s21, s3
	s_add_u32 s2, s2, s8
	s_addc_u32 s3, s3, s9
	s_lshl_b32 s39, s19, 3
	v_lshlrev_b32_e32 v3, 3, v0
	s_add_u32 s40, s20, s8
	v_add_co_u32_e32 v2, vcc, s2, v3
	s_addc_u32 s41, s21, s9
	s_add_i32 s2, s18, -1
	v_mov_b32_e32 v1, s3
	s_mul_i32 s8, s23, s2
	v_mul_lo_u32 v9, v0, s23
	s_add_i32 s2, s33, 8
	v_addc_co_u32_e32 v4, vcc, 0, v1, vcc
	s_mul_i32 s2, s18, s2
	v_add_co_u32_e32 v1, vcc, 8, v2
	s_add_i32 s2, s2, 0
	v_addc_co_u32_e32 v2, vcc, 0, v4, vcc
	s_mul_i32 s42, s23, s19
	s_mul_i32 s12, s23, s4
	v_add3_u32 v10, s2, v3, -8
	s_xor_b32 s43, s33, -8
	s_branch .LBB73_8
.LBB73_7:                               ;   in Loop: Header=BB73_8 Depth=1
	s_or_b64 exec, exec, s[2:3]
	s_add_i32 s2, s4, -1
	s_add_i32 s36, s36, -1
	s_add_u32 s37, s37, -8
	s_addc_u32 s38, s38, -1
	v_add_co_u32_e32 v1, vcc, -8, v1
	s_sub_i32 s8, s8, s23
	s_sub_i32 s12, s12, s23
	v_addc_co_u32_e32 v2, vcc, -1, v2, vcc
	v_add_u32_e32 v10, s43, v10
	s_cmp_lt_i32 s4, 1
	s_mov_b32 s4, s2
	s_waitcnt lgkmcnt(0)
	s_barrier
	s_cbranch_scc1 .LBB73_30
.LBB73_8:                               ; =>This Loop Header: Depth=1
                                        ;     Child Loop BB73_12 Depth 2
                                        ;       Child Loop BB73_14 Depth 3
                                        ;     Child Loop BB73_21 Depth 2
                                        ;       Child Loop BB73_23 Depth 3
	;; [unrolled: 2-line block ×3, first 2 shown]
	s_not_b32 s2, s4
	s_add_i32 s44, s18, s2
	s_lshl_b32 s2, s4, 3
	s_add_i32 s45, s34, s2
	s_mul_i32 s2, s4, s18
	s_lshl_b32 s2, s2, 3
	s_add_i32 s26, s4, s35
	s_add_i32 s45, s45, s2
	s_mov_b64 s[14:15], -1
	s_and_b64 vcc, exec, s[10:11]
	v_cmp_gt_i32_e64 s[2:3], s44, v0
	s_cbranch_vccz .LBB73_16
; %bb.9:                                ;   in Loop: Header=BB73_8 Depth=1
	s_and_saveexec_b64 s[14:15], s[2:3]
	s_cbranch_execz .LBB73_15
; %bb.10:                               ;   in Loop: Header=BB73_8 Depth=1
	s_cmp_gt_i32 s26, 0
	s_cselect_b64 s[2:3], -1, 0
	s_lshl_b64 s[16:17], s[4:5], 3
	s_add_u32 s16, s22, s16
	s_addc_u32 s17, s31, s17
	s_load_dwordx2 s[16:17], s[16:17], 0x0
	v_cndmask_b32_e64 v3, 0, 1, s[2:3]
	v_cmp_ne_u32_e64 s[2:3], 1, v3
	v_mov_b32_e32 v4, v2
	s_mov_b64 s[20:21], 0
	v_mov_b32_e32 v3, v1
	v_mov_b32_e32 v7, v0
	s_branch .LBB73_12
.LBB73_11:                              ;   in Loop: Header=BB73_12 Depth=2
	v_lshlrev_b32_e32 v13, 3, v7
	v_add_u32_e32 v11, s45, v13
	ds_read_b64 v[11:12], v11 offset:8
	v_add_u32_e32 v7, s19, v7
	v_cmp_le_i32_e32 vcc, s44, v7
	s_or_b64 s[20:21], vcc, s[20:21]
	v_add_co_u32_e32 v3, vcc, s39, v3
	s_waitcnt lgkmcnt(0)
	v_fma_f64 v[5:6], v[5:6], s[16:17], v[11:12]
	v_add_u32_e32 v11, 0, v13
	v_addc_co_u32_e32 v4, vcc, 0, v4, vcc
	ds_write_b64 v11, v[5:6]
	s_andn2_b64 exec, exec, s[20:21]
	s_cbranch_execz .LBB73_15
.LBB73_12:                              ;   Parent Loop BB73_8 Depth=1
                                        ; =>  This Loop Header: Depth=2
                                        ;       Child Loop BB73_14 Depth 3
	v_mov_b32_e32 v5, 0
	v_mov_b32_e32 v6, 0
	s_and_b64 vcc, exec, s[2:3]
	s_cbranch_vccnz .LBB73_11
; %bb.13:                               ;   in Loop: Header=BB73_12 Depth=2
	s_mov_b32 s9, 0
	s_mov_b64 s[24:25], 0
.LBB73_14:                              ;   Parent Loop BB73_8 Depth=1
                                        ;     Parent Loop BB73_12 Depth=2
                                        ; =>    This Inner Loop Header: Depth=3
	v_mov_b32_e32 v12, s25
	v_add_co_u32_e32 v11, vcc, s24, v3
	v_addc_co_u32_e32 v12, vcc, v4, v12, vcc
	global_load_dwordx2 v[11:12], v[11:12], off
	s_add_u32 s46, s37, s24
	s_addc_u32 s47, s38, s25
	s_load_dwordx2 s[46:47], s[46:47], 0x0
	s_add_i32 s9, s9, 1
	s_add_u32 s24, s24, s6
	s_addc_u32 s25, s25, s7
	s_cmp_eq_u32 s36, s9
	s_waitcnt vmcnt(0) lgkmcnt(0)
	v_fma_f64 v[5:6], v[11:12], s[46:47], v[5:6]
	s_cbranch_scc0 .LBB73_14
	s_branch .LBB73_11
.LBB73_15:                              ;   in Loop: Header=BB73_8 Depth=1
	s_or_b64 exec, exec, s[14:15]
	s_mov_b64 s[14:15], 0
.LBB73_16:                              ;   in Loop: Header=BB73_8 Depth=1
	s_andn2_b64 vcc, exec, s[14:15]
	s_cbranch_vccnz .LBB73_25
; %bb.17:                               ;   in Loop: Header=BB73_8 Depth=1
	v_cmp_gt_i32_e32 vcc, s44, v0
	s_and_saveexec_b64 s[2:3], vcc
	s_cbranch_execz .LBB73_24
; %bb.18:                               ;   in Loop: Header=BB73_8 Depth=1
	s_ashr_i32 s9, s8, 31
	s_ashr_i32 s13, s12, 31
	s_lshl_b64 s[24:25], s[8:9], 3
	s_lshl_b64 s[14:15], s[12:13], 3
	s_add_u32 s14, s40, s14
	s_addc_u32 s15, s41, s15
	s_cmp_gt_i32 s26, 0
	s_cselect_b64 s[16:17], -1, 0
	s_lshl_b64 s[20:21], s[4:5], 3
	s_add_u32 s20, s22, s20
	s_addc_u32 s21, s31, s21
	s_load_dwordx2 s[20:21], s[20:21], 0x0
	s_add_u32 s9, s40, s24
	s_addc_u32 s13, s41, s25
	s_mov_b64 s[24:25], 0
	v_mov_b32_e32 v3, v9
	v_mov_b32_e32 v11, v0
	s_branch .LBB73_21
.LBB73_19:                              ;   in Loop: Header=BB73_21 Depth=2
	v_mov_b32_e32 v4, 0
	v_mov_b32_e32 v5, 0
.LBB73_20:                              ;   in Loop: Header=BB73_21 Depth=2
	v_lshlrev_b32_e32 v12, 3, v11
	v_add_u32_e32 v6, s45, v12
	ds_read_b64 v[6:7], v6 offset:8
	v_add_u32_e32 v11, s19, v11
	v_cmp_le_i32_e32 vcc, s44, v11
	s_or_b64 s[24:25], vcc, s[24:25]
	v_add_u32_e32 v3, s42, v3
	s_waitcnt lgkmcnt(0)
	v_fma_f64 v[4:5], v[4:5], s[20:21], v[6:7]
	v_add_u32_e32 v6, 0, v12
	ds_write_b64 v6, v[4:5]
	s_andn2_b64 exec, exec, s[24:25]
	s_cbranch_execz .LBB73_24
.LBB73_21:                              ;   Parent Loop BB73_8 Depth=1
                                        ; =>  This Loop Header: Depth=2
                                        ;       Child Loop BB73_23 Depth 3
	s_andn2_b64 vcc, exec, s[16:17]
	s_cbranch_vccnz .LBB73_19
; %bb.22:                               ;   in Loop: Header=BB73_21 Depth=2
	v_ashrrev_i32_e32 v4, 31, v3
	v_lshlrev_b64 v[4:5], 3, v[3:4]
	v_mov_b32_e32 v7, s13
	v_add_co_u32_e32 v6, vcc, s9, v4
	v_addc_co_u32_e32 v7, vcc, v7, v5, vcc
	v_mov_b32_e32 v4, 0
	v_mov_b32_e32 v5, 0
	s_mov_b32 s46, 0
	s_mov_b64 s[26:27], s[14:15]
.LBB73_23:                              ;   Parent Loop BB73_8 Depth=1
                                        ;     Parent Loop BB73_21 Depth=2
                                        ; =>    This Inner Loop Header: Depth=3
	global_load_dwordx2 v[12:13], v[6:7], off
	s_load_dwordx2 s[48:49], s[26:27], 0x0
	s_add_i32 s46, s46, 1
	s_add_u32 s26, s26, 8
	v_add_co_u32_e32 v6, vcc, 8, v6
	s_addc_u32 s27, s27, 0
	s_cmp_eq_u32 s36, s46
	v_addc_co_u32_e32 v7, vcc, 0, v7, vcc
	s_waitcnt vmcnt(0) lgkmcnt(0)
	v_fma_f64 v[4:5], v[12:13], s[48:49], v[4:5]
	s_cbranch_scc0 .LBB73_23
	s_branch .LBB73_20
.LBB73_24:                              ;   in Loop: Header=BB73_8 Depth=1
	s_or_b64 exec, exec, s[2:3]
.LBB73_25:                              ;   in Loop: Header=BB73_8 Depth=1
	v_cmp_gt_i32_e32 vcc, s44, v0
	s_waitcnt lgkmcnt(0)
	s_barrier
	s_and_saveexec_b64 s[2:3], vcc
	s_cbranch_execz .LBB73_7
; %bb.26:                               ;   in Loop: Header=BB73_8 Depth=1
	s_mov_b64 s[14:15], 0
	v_mov_b32_e32 v5, v10
	v_mov_b32_e32 v6, v0
.LBB73_27:                              ;   Parent Loop BB73_8 Depth=1
                                        ; =>  This Loop Header: Depth=2
                                        ;       Child Loop BB73_28 Depth 3
	v_mov_b32_e32 v3, 0
	v_mov_b32_e32 v4, 0
	s_mov_b32 s9, -1
	s_mov_b32 s13, 0
	s_mov_b64 s[16:17], 0
	v_mov_b32_e32 v7, v5
.LBB73_28:                              ;   Parent Loop BB73_8 Depth=1
                                        ;     Parent Loop BB73_27 Depth=2
                                        ; =>    This Inner Loop Header: Depth=3
	v_mov_b32_e32 v13, s13
	ds_read_b64 v[11:12], v7
	ds_read_b64 v[13:14], v13
	s_add_i32 s9, s9, 1
	s_add_i32 s13, s13, 8
	v_cmp_eq_u32_e32 vcc, s9, v6
	s_or_b64 s[16:17], vcc, s[16:17]
	s_waitcnt lgkmcnt(0)
	v_fma_f64 v[3:4], v[11:12], v[13:14], v[3:4]
	v_add_u32_e32 v7, s33, v7
	s_andn2_b64 exec, exec, s[16:17]
	s_cbranch_execnz .LBB73_28
; %bb.29:                               ;   in Loop: Header=BB73_27 Depth=2
	s_or_b64 exec, exec, s[16:17]
	v_lshl_add_u32 v7, v6, 3, s45
	v_add_u32_e32 v6, s19, v6
	v_cmp_le_i32_e32 vcc, s44, v6
	s_or_b64 s[14:15], vcc, s[14:15]
	v_add_u32_e32 v5, s39, v5
	ds_write_b64 v7, v[3:4] offset:8
	s_andn2_b64 exec, exec, s[14:15]
	s_cbranch_execnz .LBB73_27
	s_branch .LBB73_7
.LBB73_30:
	s_and_saveexec_b64 s[2:3], s[0:1]
	s_cbranch_execz .LBB73_35
; %bb.31:
	s_lshl_b32 s4, s18, 3
	s_add_i32 s0, s4, 0
	v_lshl_add_u32 v3, v0, 3, s0
	s_lshl_b32 s5, s19, 3
	s_mov_b64 s[0:1], 0
	v_mov_b32_e32 v4, s30
.LBB73_32:                              ; =>This Loop Header: Depth=1
                                        ;     Child Loop BB73_33 Depth 2
	s_mov_b64 s[2:3], 0
	v_mov_b32_e32 v5, v3
	v_mov_b32_e32 v1, v0
	s_mov_b32 s6, 0
.LBB73_33:                              ;   Parent Loop BB73_32 Depth=1
                                        ; =>  This Inner Loop Header: Depth=2
	ds_read_b64 v[6:7], v5
	v_ashrrev_i32_e32 v2, 31, v1
	s_add_i32 s6, s6, 1
	v_lshlrev_b64 v[9:10], 3, v[1:2]
	v_cmp_eq_u32_e32 vcc, s6, v8
	s_or_b64 s[2:3], vcc, s[2:3]
	v_add_co_u32_e32 v9, vcc, s29, v9
	v_add_u32_e32 v5, s4, v5
	v_add_u32_e32 v1, s28, v1
	v_addc_co_u32_e32 v10, vcc, v4, v10, vcc
	s_waitcnt lgkmcnt(0)
	global_store_dwordx2 v[9:10], v[6:7], off
	s_andn2_b64 exec, exec, s[2:3]
	s_cbranch_execnz .LBB73_33
; %bb.34:                               ;   in Loop: Header=BB73_32 Depth=1
	s_or_b64 exec, exec, s[2:3]
	v_add_u32_e32 v0, s19, v0
	v_cmp_le_i32_e32 vcc, s18, v0
	v_add_u32_e32 v8, s19, v8
	s_or_b64 s[0:1], vcc, s[0:1]
	v_add_u32_e32 v3, s5, v3
	s_andn2_b64 exec, exec, s[0:1]
	s_cbranch_execnz .LBB73_32
.LBB73_35:
	s_endpgm
	.section	.rodata,"a",@progbits
	.p2align	6, 0x0
	.amdhsa_kernel _ZN9rocsolver6v33100L21larft_kernel_backwardIdPdEEv15rocblas_storev_iiT0_iilPT_lS6_il
		.amdhsa_group_segment_fixed_size 0
		.amdhsa_private_segment_fixed_size 0
		.amdhsa_kernarg_size 336
		.amdhsa_user_sgpr_count 6
		.amdhsa_user_sgpr_private_segment_buffer 1
		.amdhsa_user_sgpr_dispatch_ptr 0
		.amdhsa_user_sgpr_queue_ptr 0
		.amdhsa_user_sgpr_kernarg_segment_ptr 1
		.amdhsa_user_sgpr_dispatch_id 0
		.amdhsa_user_sgpr_flat_scratch_init 0
		.amdhsa_user_sgpr_private_segment_size 0
		.amdhsa_uses_dynamic_stack 0
		.amdhsa_system_sgpr_private_segment_wavefront_offset 0
		.amdhsa_system_sgpr_workgroup_id_x 1
		.amdhsa_system_sgpr_workgroup_id_y 1
		.amdhsa_system_sgpr_workgroup_id_z 0
		.amdhsa_system_sgpr_workgroup_info 0
		.amdhsa_system_vgpr_workitem_id 0
		.amdhsa_next_free_vgpr 15
		.amdhsa_next_free_sgpr 50
		.amdhsa_reserve_vcc 1
		.amdhsa_reserve_flat_scratch 0
		.amdhsa_float_round_mode_32 0
		.amdhsa_float_round_mode_16_64 0
		.amdhsa_float_denorm_mode_32 3
		.amdhsa_float_denorm_mode_16_64 3
		.amdhsa_dx10_clamp 1
		.amdhsa_ieee_mode 1
		.amdhsa_fp16_overflow 0
		.amdhsa_exception_fp_ieee_invalid_op 0
		.amdhsa_exception_fp_denorm_src 0
		.amdhsa_exception_fp_ieee_div_zero 0
		.amdhsa_exception_fp_ieee_overflow 0
		.amdhsa_exception_fp_ieee_underflow 0
		.amdhsa_exception_fp_ieee_inexact 0
		.amdhsa_exception_int_div_zero 0
	.end_amdhsa_kernel
	.section	.text._ZN9rocsolver6v33100L21larft_kernel_backwardIdPdEEv15rocblas_storev_iiT0_iilPT_lS6_il,"axG",@progbits,_ZN9rocsolver6v33100L21larft_kernel_backwardIdPdEEv15rocblas_storev_iiT0_iilPT_lS6_il,comdat
.Lfunc_end73:
	.size	_ZN9rocsolver6v33100L21larft_kernel_backwardIdPdEEv15rocblas_storev_iiT0_iilPT_lS6_il, .Lfunc_end73-_ZN9rocsolver6v33100L21larft_kernel_backwardIdPdEEv15rocblas_storev_iiT0_iilPT_lS6_il
                                        ; -- End function
	.set _ZN9rocsolver6v33100L21larft_kernel_backwardIdPdEEv15rocblas_storev_iiT0_iilPT_lS6_il.num_vgpr, 15
	.set _ZN9rocsolver6v33100L21larft_kernel_backwardIdPdEEv15rocblas_storev_iiT0_iilPT_lS6_il.num_agpr, 0
	.set _ZN9rocsolver6v33100L21larft_kernel_backwardIdPdEEv15rocblas_storev_iiT0_iilPT_lS6_il.numbered_sgpr, 50
	.set _ZN9rocsolver6v33100L21larft_kernel_backwardIdPdEEv15rocblas_storev_iiT0_iilPT_lS6_il.num_named_barrier, 0
	.set _ZN9rocsolver6v33100L21larft_kernel_backwardIdPdEEv15rocblas_storev_iiT0_iilPT_lS6_il.private_seg_size, 0
	.set _ZN9rocsolver6v33100L21larft_kernel_backwardIdPdEEv15rocblas_storev_iiT0_iilPT_lS6_il.uses_vcc, 1
	.set _ZN9rocsolver6v33100L21larft_kernel_backwardIdPdEEv15rocblas_storev_iiT0_iilPT_lS6_il.uses_flat_scratch, 0
	.set _ZN9rocsolver6v33100L21larft_kernel_backwardIdPdEEv15rocblas_storev_iiT0_iilPT_lS6_il.has_dyn_sized_stack, 0
	.set _ZN9rocsolver6v33100L21larft_kernel_backwardIdPdEEv15rocblas_storev_iiT0_iilPT_lS6_il.has_recursion, 0
	.set _ZN9rocsolver6v33100L21larft_kernel_backwardIdPdEEv15rocblas_storev_iiT0_iilPT_lS6_il.has_indirect_call, 0
	.section	.AMDGPU.csdata,"",@progbits
; Kernel info:
; codeLenInByte = 1504
; TotalNumSgprs: 54
; NumVgprs: 15
; ScratchSize: 0
; MemoryBound: 0
; FloatMode: 240
; IeeeMode: 1
; LDSByteSize: 0 bytes/workgroup (compile time only)
; SGPRBlocks: 6
; VGPRBlocks: 3
; NumSGPRsForWavesPerEU: 54
; NumVGPRsForWavesPerEU: 15
; Occupancy: 10
; WaveLimiterHint : 0
; COMPUTE_PGM_RSRC2:SCRATCH_EN: 0
; COMPUTE_PGM_RSRC2:USER_SGPR: 6
; COMPUTE_PGM_RSRC2:TRAP_HANDLER: 0
; COMPUTE_PGM_RSRC2:TGID_X_EN: 1
; COMPUTE_PGM_RSRC2:TGID_Y_EN: 1
; COMPUTE_PGM_RSRC2:TGID_Z_EN: 0
; COMPUTE_PGM_RSRC2:TIDIG_COMP_CNT: 0
	.section	.text._ZN9rocsolver6v33100L9copymatA1IdPdEEviiT0_iilPT_,"axG",@progbits,_ZN9rocsolver6v33100L9copymatA1IdPdEEviiT0_iilPT_,comdat
	.globl	_ZN9rocsolver6v33100L9copymatA1IdPdEEviiT0_iilPT_ ; -- Begin function _ZN9rocsolver6v33100L9copymatA1IdPdEEviiT0_iilPT_
	.p2align	8
	.type	_ZN9rocsolver6v33100L9copymatA1IdPdEEviiT0_iilPT_,@function
_ZN9rocsolver6v33100L9copymatA1IdPdEEviiT0_iilPT_: ; @_ZN9rocsolver6v33100L9copymatA1IdPdEEviiT0_iilPT_
; %bb.0:
	s_load_dword s0, s[4:5], 0x34
	s_load_dwordx2 s[2:3], s[4:5], 0x0
	s_waitcnt lgkmcnt(0)
	s_lshr_b32 s1, s0, 16
	s_and_b32 s0, s0, 0xffff
	s_mul_i32 s6, s6, s0
	s_mul_i32 s7, s7, s1
	v_add_u32_e32 v2, s6, v0
	v_add_u32_e32 v0, s7, v1
	v_cmp_gt_u32_e32 vcc, s2, v0
	v_cmp_gt_u32_e64 s[0:1], s3, v2
	s_and_b64 s[0:1], s[0:1], vcc
	s_and_saveexec_b64 s[6:7], s[0:1]
	s_cbranch_execz .LBB74_2
; %bb.1:
	s_ashr_i32 s0, s2, 31
	s_load_dwordx8 s[12:19], s[4:5], 0x8
	s_mul_hi_u32 s4, s2, s8
	s_mul_i32 s0, s0, s8
	s_ashr_i32 s1, s3, 31
	s_add_i32 s0, s4, s0
	s_mul_i32 s4, s2, s8
	s_mul_i32 s1, s4, s1
	s_mul_hi_u32 s5, s4, s3
	s_add_i32 s1, s5, s1
	s_mul_i32 s0, s0, s3
	s_add_i32 s1, s1, s0
	s_mul_i32 s0, s4, s3
	s_lshl_b64 s[0:1], s[0:1], 3
	s_waitcnt lgkmcnt(0)
	s_add_u32 s3, s18, s0
	s_mul_i32 s4, s17, s8
	s_mul_hi_u32 s5, s16, s8
	s_addc_u32 s6, s19, s1
	s_add_i32 s5, s5, s4
	s_mul_i32 s4, s16, s8
	s_ashr_i32 s1, s14, 31
	s_lshl_b64 s[4:5], s[4:5], 3
	s_add_u32 s7, s12, s4
	s_addc_u32 s8, s13, s5
	v_mad_u64_u32 v[3:4], s[4:5], v2, s15, v[0:1]
	s_mov_b32 s0, s14
	s_lshl_b64 s[0:1], s[0:1], 3
	v_mov_b32_e32 v4, 0
	s_add_u32 s0, s7, s0
	v_lshlrev_b64 v[5:6], 3, v[3:4]
	s_addc_u32 s1, s8, s1
	v_mov_b32_e32 v1, s1
	v_add_co_u32_e32 v5, vcc, s0, v5
	v_addc_co_u32_e32 v6, vcc, v1, v6, vcc
	global_load_dwordx2 v[5:6], v[5:6], off
	v_mad_u64_u32 v[0:1], s[0:1], v2, s2, v[0:1]
	v_mov_b32_e32 v1, v4
	v_mov_b32_e32 v2, s6
	v_lshlrev_b64 v[0:1], 3, v[0:1]
	v_add_co_u32_e32 v0, vcc, s3, v0
	v_addc_co_u32_e32 v1, vcc, v2, v1, vcc
	s_waitcnt vmcnt(0)
	global_store_dwordx2 v[0:1], v[5:6], off
.LBB74_2:
	s_endpgm
	.section	.rodata,"a",@progbits
	.p2align	6, 0x0
	.amdhsa_kernel _ZN9rocsolver6v33100L9copymatA1IdPdEEviiT0_iilPT_
		.amdhsa_group_segment_fixed_size 0
		.amdhsa_private_segment_fixed_size 0
		.amdhsa_kernarg_size 296
		.amdhsa_user_sgpr_count 6
		.amdhsa_user_sgpr_private_segment_buffer 1
		.amdhsa_user_sgpr_dispatch_ptr 0
		.amdhsa_user_sgpr_queue_ptr 0
		.amdhsa_user_sgpr_kernarg_segment_ptr 1
		.amdhsa_user_sgpr_dispatch_id 0
		.amdhsa_user_sgpr_flat_scratch_init 0
		.amdhsa_user_sgpr_private_segment_size 0
		.amdhsa_uses_dynamic_stack 0
		.amdhsa_system_sgpr_private_segment_wavefront_offset 0
		.amdhsa_system_sgpr_workgroup_id_x 1
		.amdhsa_system_sgpr_workgroup_id_y 1
		.amdhsa_system_sgpr_workgroup_id_z 1
		.amdhsa_system_sgpr_workgroup_info 0
		.amdhsa_system_vgpr_workitem_id 1
		.amdhsa_next_free_vgpr 7
		.amdhsa_next_free_sgpr 20
		.amdhsa_reserve_vcc 1
		.amdhsa_reserve_flat_scratch 0
		.amdhsa_float_round_mode_32 0
		.amdhsa_float_round_mode_16_64 0
		.amdhsa_float_denorm_mode_32 3
		.amdhsa_float_denorm_mode_16_64 3
		.amdhsa_dx10_clamp 1
		.amdhsa_ieee_mode 1
		.amdhsa_fp16_overflow 0
		.amdhsa_exception_fp_ieee_invalid_op 0
		.amdhsa_exception_fp_denorm_src 0
		.amdhsa_exception_fp_ieee_div_zero 0
		.amdhsa_exception_fp_ieee_overflow 0
		.amdhsa_exception_fp_ieee_underflow 0
		.amdhsa_exception_fp_ieee_inexact 0
		.amdhsa_exception_int_div_zero 0
	.end_amdhsa_kernel
	.section	.text._ZN9rocsolver6v33100L9copymatA1IdPdEEviiT0_iilPT_,"axG",@progbits,_ZN9rocsolver6v33100L9copymatA1IdPdEEviiT0_iilPT_,comdat
.Lfunc_end74:
	.size	_ZN9rocsolver6v33100L9copymatA1IdPdEEviiT0_iilPT_, .Lfunc_end74-_ZN9rocsolver6v33100L9copymatA1IdPdEEviiT0_iilPT_
                                        ; -- End function
	.set _ZN9rocsolver6v33100L9copymatA1IdPdEEviiT0_iilPT_.num_vgpr, 7
	.set _ZN9rocsolver6v33100L9copymatA1IdPdEEviiT0_iilPT_.num_agpr, 0
	.set _ZN9rocsolver6v33100L9copymatA1IdPdEEviiT0_iilPT_.numbered_sgpr, 20
	.set _ZN9rocsolver6v33100L9copymatA1IdPdEEviiT0_iilPT_.num_named_barrier, 0
	.set _ZN9rocsolver6v33100L9copymatA1IdPdEEviiT0_iilPT_.private_seg_size, 0
	.set _ZN9rocsolver6v33100L9copymatA1IdPdEEviiT0_iilPT_.uses_vcc, 1
	.set _ZN9rocsolver6v33100L9copymatA1IdPdEEviiT0_iilPT_.uses_flat_scratch, 0
	.set _ZN9rocsolver6v33100L9copymatA1IdPdEEviiT0_iilPT_.has_dyn_sized_stack, 0
	.set _ZN9rocsolver6v33100L9copymatA1IdPdEEviiT0_iilPT_.has_recursion, 0
	.set _ZN9rocsolver6v33100L9copymatA1IdPdEEviiT0_iilPT_.has_indirect_call, 0
	.section	.AMDGPU.csdata,"",@progbits
; Kernel info:
; codeLenInByte = 280
; TotalNumSgprs: 24
; NumVgprs: 7
; ScratchSize: 0
; MemoryBound: 0
; FloatMode: 240
; IeeeMode: 1
; LDSByteSize: 0 bytes/workgroup (compile time only)
; SGPRBlocks: 2
; VGPRBlocks: 1
; NumSGPRsForWavesPerEU: 24
; NumVGPRsForWavesPerEU: 7
; Occupancy: 10
; WaveLimiterHint : 0
; COMPUTE_PGM_RSRC2:SCRATCH_EN: 0
; COMPUTE_PGM_RSRC2:USER_SGPR: 6
; COMPUTE_PGM_RSRC2:TRAP_HANDLER: 0
; COMPUTE_PGM_RSRC2:TGID_X_EN: 1
; COMPUTE_PGM_RSRC2:TGID_Y_EN: 1
; COMPUTE_PGM_RSRC2:TGID_Z_EN: 1
; COMPUTE_PGM_RSRC2:TIDIG_COMP_CNT: 1
	.section	.text._ZN9rocsolver6v33100L8addmatA1IdPdEEviiT0_iilPT_,"axG",@progbits,_ZN9rocsolver6v33100L8addmatA1IdPdEEviiT0_iilPT_,comdat
	.globl	_ZN9rocsolver6v33100L8addmatA1IdPdEEviiT0_iilPT_ ; -- Begin function _ZN9rocsolver6v33100L8addmatA1IdPdEEviiT0_iilPT_
	.p2align	8
	.type	_ZN9rocsolver6v33100L8addmatA1IdPdEEviiT0_iilPT_,@function
_ZN9rocsolver6v33100L8addmatA1IdPdEEviiT0_iilPT_: ; @_ZN9rocsolver6v33100L8addmatA1IdPdEEviiT0_iilPT_
; %bb.0:
	s_load_dword s0, s[4:5], 0x34
	s_load_dwordx2 s[2:3], s[4:5], 0x0
	s_waitcnt lgkmcnt(0)
	s_lshr_b32 s1, s0, 16
	s_and_b32 s0, s0, 0xffff
	s_mul_i32 s6, s6, s0
	s_mul_i32 s7, s7, s1
	v_add_u32_e32 v2, s6, v0
	v_add_u32_e32 v0, s7, v1
	v_cmp_gt_u32_e32 vcc, s2, v0
	v_cmp_gt_u32_e64 s[0:1], s3, v2
	s_and_b64 s[0:1], s[0:1], vcc
	s_and_saveexec_b64 s[6:7], s[0:1]
	s_cbranch_execz .LBB75_2
; %bb.1:
	s_ashr_i32 s0, s2, 31
	s_load_dwordx8 s[12:19], s[4:5], 0x8
	s_mul_hi_u32 s4, s2, s8
	s_mul_i32 s0, s0, s8
	s_ashr_i32 s1, s3, 31
	s_add_i32 s0, s4, s0
	s_mul_i32 s4, s2, s8
	s_mul_i32 s1, s4, s1
	s_mul_hi_u32 s5, s4, s3
	s_add_i32 s1, s5, s1
	s_mul_i32 s0, s0, s3
	s_add_i32 s1, s1, s0
	s_mul_i32 s0, s4, s3
	s_lshl_b64 s[0:1], s[0:1], 3
	s_waitcnt lgkmcnt(0)
	s_add_u32 s6, s18, s0
	s_mul_i32 s3, s17, s8
	s_mul_hi_u32 s4, s16, s8
	s_addc_u32 s7, s19, s1
	s_add_i32 s5, s4, s3
	s_mul_i32 s4, s16, s8
	v_mad_u64_u32 v[3:4], s[2:3], v2, s2, v[0:1]
	s_ashr_i32 s1, s14, 31
	s_lshl_b64 s[4:5], s[4:5], 3
	s_mov_b32 s0, s14
	s_add_u32 s4, s12, s4
	s_addc_u32 s5, s13, s5
	s_lshl_b64 s[0:1], s[0:1], 3
	v_mov_b32_e32 v4, 0
	s_add_u32 s2, s4, s0
	v_lshlrev_b64 v[5:6], 3, v[3:4]
	s_addc_u32 s3, s5, s1
	v_mad_u64_u32 v[0:1], s[0:1], v2, s15, v[0:1]
	v_mov_b32_e32 v3, s7
	v_add_co_u32_e32 v1, vcc, s6, v5
	v_addc_co_u32_e32 v2, vcc, v3, v6, vcc
	global_load_dwordx2 v[2:3], v[1:2], off
	v_mov_b32_e32 v1, v4
	v_lshlrev_b64 v[0:1], 3, v[0:1]
	v_mov_b32_e32 v4, s3
	v_add_co_u32_e32 v0, vcc, s2, v0
	v_addc_co_u32_e32 v1, vcc, v4, v1, vcc
	global_load_dwordx2 v[4:5], v[0:1], off
	s_waitcnt vmcnt(0)
	v_add_f64 v[2:3], v[4:5], -v[2:3]
	global_store_dwordx2 v[0:1], v[2:3], off
.LBB75_2:
	s_endpgm
	.section	.rodata,"a",@progbits
	.p2align	6, 0x0
	.amdhsa_kernel _ZN9rocsolver6v33100L8addmatA1IdPdEEviiT0_iilPT_
		.amdhsa_group_segment_fixed_size 0
		.amdhsa_private_segment_fixed_size 0
		.amdhsa_kernarg_size 296
		.amdhsa_user_sgpr_count 6
		.amdhsa_user_sgpr_private_segment_buffer 1
		.amdhsa_user_sgpr_dispatch_ptr 0
		.amdhsa_user_sgpr_queue_ptr 0
		.amdhsa_user_sgpr_kernarg_segment_ptr 1
		.amdhsa_user_sgpr_dispatch_id 0
		.amdhsa_user_sgpr_flat_scratch_init 0
		.amdhsa_user_sgpr_private_segment_size 0
		.amdhsa_uses_dynamic_stack 0
		.amdhsa_system_sgpr_private_segment_wavefront_offset 0
		.amdhsa_system_sgpr_workgroup_id_x 1
		.amdhsa_system_sgpr_workgroup_id_y 1
		.amdhsa_system_sgpr_workgroup_id_z 1
		.amdhsa_system_sgpr_workgroup_info 0
		.amdhsa_system_vgpr_workitem_id 1
		.amdhsa_next_free_vgpr 7
		.amdhsa_next_free_sgpr 20
		.amdhsa_reserve_vcc 1
		.amdhsa_reserve_flat_scratch 0
		.amdhsa_float_round_mode_32 0
		.amdhsa_float_round_mode_16_64 0
		.amdhsa_float_denorm_mode_32 3
		.amdhsa_float_denorm_mode_16_64 3
		.amdhsa_dx10_clamp 1
		.amdhsa_ieee_mode 1
		.amdhsa_fp16_overflow 0
		.amdhsa_exception_fp_ieee_invalid_op 0
		.amdhsa_exception_fp_denorm_src 0
		.amdhsa_exception_fp_ieee_div_zero 0
		.amdhsa_exception_fp_ieee_overflow 0
		.amdhsa_exception_fp_ieee_underflow 0
		.amdhsa_exception_fp_ieee_inexact 0
		.amdhsa_exception_int_div_zero 0
	.end_amdhsa_kernel
	.section	.text._ZN9rocsolver6v33100L8addmatA1IdPdEEviiT0_iilPT_,"axG",@progbits,_ZN9rocsolver6v33100L8addmatA1IdPdEEviiT0_iilPT_,comdat
.Lfunc_end75:
	.size	_ZN9rocsolver6v33100L8addmatA1IdPdEEviiT0_iilPT_, .Lfunc_end75-_ZN9rocsolver6v33100L8addmatA1IdPdEEviiT0_iilPT_
                                        ; -- End function
	.set _ZN9rocsolver6v33100L8addmatA1IdPdEEviiT0_iilPT_.num_vgpr, 7
	.set _ZN9rocsolver6v33100L8addmatA1IdPdEEviiT0_iilPT_.num_agpr, 0
	.set _ZN9rocsolver6v33100L8addmatA1IdPdEEviiT0_iilPT_.numbered_sgpr, 20
	.set _ZN9rocsolver6v33100L8addmatA1IdPdEEviiT0_iilPT_.num_named_barrier, 0
	.set _ZN9rocsolver6v33100L8addmatA1IdPdEEviiT0_iilPT_.private_seg_size, 0
	.set _ZN9rocsolver6v33100L8addmatA1IdPdEEviiT0_iilPT_.uses_vcc, 1
	.set _ZN9rocsolver6v33100L8addmatA1IdPdEEviiT0_iilPT_.uses_flat_scratch, 0
	.set _ZN9rocsolver6v33100L8addmatA1IdPdEEviiT0_iilPT_.has_dyn_sized_stack, 0
	.set _ZN9rocsolver6v33100L8addmatA1IdPdEEviiT0_iilPT_.has_recursion, 0
	.set _ZN9rocsolver6v33100L8addmatA1IdPdEEviiT0_iilPT_.has_indirect_call, 0
	.section	.AMDGPU.csdata,"",@progbits
; Kernel info:
; codeLenInByte = 296
; TotalNumSgprs: 24
; NumVgprs: 7
; ScratchSize: 0
; MemoryBound: 0
; FloatMode: 240
; IeeeMode: 1
; LDSByteSize: 0 bytes/workgroup (compile time only)
; SGPRBlocks: 2
; VGPRBlocks: 1
; NumSGPRsForWavesPerEU: 24
; NumVGPRsForWavesPerEU: 7
; Occupancy: 10
; WaveLimiterHint : 0
; COMPUTE_PGM_RSRC2:SCRATCH_EN: 0
; COMPUTE_PGM_RSRC2:USER_SGPR: 6
; COMPUTE_PGM_RSRC2:TRAP_HANDLER: 0
; COMPUTE_PGM_RSRC2:TGID_X_EN: 1
; COMPUTE_PGM_RSRC2:TGID_Y_EN: 1
; COMPUTE_PGM_RSRC2:TGID_Z_EN: 1
; COMPUTE_PGM_RSRC2:TIDIG_COMP_CNT: 1
	.section	.text._ZN9rocsolver6v33100L15gesvdj_finalizeIddEEviPT0_lPT_ilS5_il,"axG",@progbits,_ZN9rocsolver6v33100L15gesvdj_finalizeIddEEviPT0_lPT_ilS5_il,comdat
	.globl	_ZN9rocsolver6v33100L15gesvdj_finalizeIddEEviPT0_lPT_ilS5_il ; -- Begin function _ZN9rocsolver6v33100L15gesvdj_finalizeIddEEviPT0_lPT_ilS5_il
	.p2align	8
	.type	_ZN9rocsolver6v33100L15gesvdj_finalizeIddEEviPT0_lPT_ilS5_il,@function
_ZN9rocsolver6v33100L15gesvdj_finalizeIddEEviPT0_lPT_ilS5_il: ; @_ZN9rocsolver6v33100L15gesvdj_finalizeIddEEviPT0_lPT_ilS5_il
; %bb.0:
	s_load_dword s0, s[4:5], 0x54
	s_load_dword s8, s[4:5], 0x0
	s_mov_b32 s2, 0
	s_waitcnt lgkmcnt(0)
	s_and_b32 s0, s0, 0xffff
	s_mul_i32 s6, s6, s0
	v_add_u32_e32 v0, s6, v0
	v_max_i32_e32 v1, 0, v0
	v_cmp_gt_i32_e32 vcc, s8, v1
	s_and_saveexec_b64 s[0:1], vcc
	s_cbranch_execz .LBB76_7
; %bb.1:
	s_ashr_i32 s6, s7, 31
	s_load_dwordx4 s[12:15], s[4:5], 0x8
	s_load_dwordx2 s[0:1], s[4:5], 0x18
	s_load_dword s3, s[4:5], 0x20
	s_load_dwordx4 s[16:19], s[4:5], 0x28
	s_load_dword s9, s[4:5], 0x38
	s_load_dwordx2 s[20:21], s[4:5], 0x40
	s_waitcnt lgkmcnt(0)
	s_mul_hi_u32 s4, s14, s7
	s_mul_i32 s5, s14, s6
	s_add_i32 s4, s4, s5
	s_mul_i32 s5, s15, s7
	s_add_i32 s5, s4, s5
	s_mul_i32 s4, s14, s7
	s_lshl_b64 s[4:5], s[4:5], 3
	s_add_u32 s4, s12, s4
	s_mul_hi_u32 s10, s16, s7
	s_mul_i32 s11, s16, s6
	s_addc_u32 s5, s13, s5
	s_add_i32 s10, s10, s11
	s_mul_i32 s11, s17, s7
	s_add_i32 s11, s10, s11
	s_mul_i32 s10, s16, s7
	s_lshl_b64 s[10:11], s[10:11], 3
	s_add_u32 s10, s0, s10
	s_addc_u32 s11, s1, s11
	s_mul_hi_u32 s0, s20, s7
	s_mul_i32 s1, s20, s6
	s_add_i32 s0, s0, s1
	s_mul_i32 s1, s21, s7
	s_add_i32 s1, s0, s1
	s_mul_i32 s0, s20, s7
	s_lshl_b64 s[0:1], s[0:1], 3
	s_add_u32 s12, s18, s0
	s_addc_u32 s13, s19, s1
	s_add_i32 s14, s3, 1
	v_cmp_eq_u32_e64 s[0:1], 0, v0
	v_mov_b32_e32 v3, 0
	s_branch .LBB76_3
.LBB76_2:                               ;   in Loop: Header=BB76_3 Depth=1
	s_add_i32 s8, s8, -1
	s_add_i32 s2, s2, s14
	s_add_u32 s4, s4, 8
	s_addc_u32 s5, s5, 0
	s_cmp_lg_u32 s8, 0
	v_add_u32_e32 v0, s9, v0
	s_cbranch_scc0 .LBB76_7
.LBB76_3:                               ; =>This Inner Loop Header: Depth=1
	s_ashr_i32 s3, s2, 31
	s_lshl_b64 s[6:7], s[2:3], 3
	s_add_u32 s6, s10, s6
	s_addc_u32 s7, s11, s7
	global_load_dwordx2 v[1:2], v3, s[6:7]
	s_and_saveexec_b64 s[6:7], s[0:1]
	s_cbranch_execz .LBB76_5
; %bb.4:                                ;   in Loop: Header=BB76_3 Depth=1
	s_waitcnt vmcnt(0)
	v_and_b32_e32 v5, 0x7fffffff, v2
	v_mov_b32_e32 v4, v1
	global_store_dwordx2 v3, v[4:5], s[4:5]
.LBB76_5:                               ;   in Loop: Header=BB76_3 Depth=1
	s_or_b64 exec, exec, s[6:7]
	s_waitcnt vmcnt(0)
	v_cmp_ngt_f64_e32 vcc, 0, v[1:2]
	s_cbranch_vccnz .LBB76_2
; %bb.6:                                ;   in Loop: Header=BB76_3 Depth=1
	v_ashrrev_i32_e32 v1, 31, v0
	v_lshlrev_b64 v[1:2], 3, v[0:1]
	v_mov_b32_e32 v4, s13
	v_add_co_u32_e32 v1, vcc, s12, v1
	v_addc_co_u32_e32 v2, vcc, v4, v2, vcc
	global_load_dwordx2 v[4:5], v[1:2], off
	s_waitcnt vmcnt(0)
	v_xor_b32_e32 v5, 0x80000000, v5
	global_store_dwordx2 v[1:2], v[4:5], off
	s_branch .LBB76_2
.LBB76_7:
	s_endpgm
	.section	.rodata,"a",@progbits
	.p2align	6, 0x0
	.amdhsa_kernel _ZN9rocsolver6v33100L15gesvdj_finalizeIddEEviPT0_lPT_ilS5_il
		.amdhsa_group_segment_fixed_size 0
		.amdhsa_private_segment_fixed_size 0
		.amdhsa_kernarg_size 328
		.amdhsa_user_sgpr_count 6
		.amdhsa_user_sgpr_private_segment_buffer 1
		.amdhsa_user_sgpr_dispatch_ptr 0
		.amdhsa_user_sgpr_queue_ptr 0
		.amdhsa_user_sgpr_kernarg_segment_ptr 1
		.amdhsa_user_sgpr_dispatch_id 0
		.amdhsa_user_sgpr_flat_scratch_init 0
		.amdhsa_user_sgpr_private_segment_size 0
		.amdhsa_uses_dynamic_stack 0
		.amdhsa_system_sgpr_private_segment_wavefront_offset 0
		.amdhsa_system_sgpr_workgroup_id_x 1
		.amdhsa_system_sgpr_workgroup_id_y 1
		.amdhsa_system_sgpr_workgroup_id_z 0
		.amdhsa_system_sgpr_workgroup_info 0
		.amdhsa_system_vgpr_workitem_id 0
		.amdhsa_next_free_vgpr 6
		.amdhsa_next_free_sgpr 22
		.amdhsa_reserve_vcc 1
		.amdhsa_reserve_flat_scratch 0
		.amdhsa_float_round_mode_32 0
		.amdhsa_float_round_mode_16_64 0
		.amdhsa_float_denorm_mode_32 3
		.amdhsa_float_denorm_mode_16_64 3
		.amdhsa_dx10_clamp 1
		.amdhsa_ieee_mode 1
		.amdhsa_fp16_overflow 0
		.amdhsa_exception_fp_ieee_invalid_op 0
		.amdhsa_exception_fp_denorm_src 0
		.amdhsa_exception_fp_ieee_div_zero 0
		.amdhsa_exception_fp_ieee_overflow 0
		.amdhsa_exception_fp_ieee_underflow 0
		.amdhsa_exception_fp_ieee_inexact 0
		.amdhsa_exception_int_div_zero 0
	.end_amdhsa_kernel
	.section	.text._ZN9rocsolver6v33100L15gesvdj_finalizeIddEEviPT0_lPT_ilS5_il,"axG",@progbits,_ZN9rocsolver6v33100L15gesvdj_finalizeIddEEviPT0_lPT_ilS5_il,comdat
.Lfunc_end76:
	.size	_ZN9rocsolver6v33100L15gesvdj_finalizeIddEEviPT0_lPT_ilS5_il, .Lfunc_end76-_ZN9rocsolver6v33100L15gesvdj_finalizeIddEEviPT0_lPT_ilS5_il
                                        ; -- End function
	.set _ZN9rocsolver6v33100L15gesvdj_finalizeIddEEviPT0_lPT_ilS5_il.num_vgpr, 6
	.set _ZN9rocsolver6v33100L15gesvdj_finalizeIddEEviPT0_lPT_ilS5_il.num_agpr, 0
	.set _ZN9rocsolver6v33100L15gesvdj_finalizeIddEEviPT0_lPT_ilS5_il.numbered_sgpr, 22
	.set _ZN9rocsolver6v33100L15gesvdj_finalizeIddEEviPT0_lPT_ilS5_il.num_named_barrier, 0
	.set _ZN9rocsolver6v33100L15gesvdj_finalizeIddEEviPT0_lPT_ilS5_il.private_seg_size, 0
	.set _ZN9rocsolver6v33100L15gesvdj_finalizeIddEEviPT0_lPT_ilS5_il.uses_vcc, 1
	.set _ZN9rocsolver6v33100L15gesvdj_finalizeIddEEviPT0_lPT_ilS5_il.uses_flat_scratch, 0
	.set _ZN9rocsolver6v33100L15gesvdj_finalizeIddEEviPT0_lPT_ilS5_il.has_dyn_sized_stack, 0
	.set _ZN9rocsolver6v33100L15gesvdj_finalizeIddEEviPT0_lPT_ilS5_il.has_recursion, 0
	.set _ZN9rocsolver6v33100L15gesvdj_finalizeIddEEviPT0_lPT_ilS5_il.has_indirect_call, 0
	.section	.AMDGPU.csdata,"",@progbits
; Kernel info:
; codeLenInByte = 400
; TotalNumSgprs: 26
; NumVgprs: 6
; ScratchSize: 0
; MemoryBound: 0
; FloatMode: 240
; IeeeMode: 1
; LDSByteSize: 0 bytes/workgroup (compile time only)
; SGPRBlocks: 3
; VGPRBlocks: 1
; NumSGPRsForWavesPerEU: 26
; NumVGPRsForWavesPerEU: 6
; Occupancy: 10
; WaveLimiterHint : 0
; COMPUTE_PGM_RSRC2:SCRATCH_EN: 0
; COMPUTE_PGM_RSRC2:USER_SGPR: 6
; COMPUTE_PGM_RSRC2:TRAP_HANDLER: 0
; COMPUTE_PGM_RSRC2:TGID_X_EN: 1
; COMPUTE_PGM_RSRC2:TGID_Y_EN: 1
; COMPUTE_PGM_RSRC2:TGID_Z_EN: 0
; COMPUTE_PGM_RSRC2:TIDIG_COMP_CNT: 0
	.section	.text._ZN9rocsolver6v33100L16org2r_init_identIdPdEEviiiT0_iil,"axG",@progbits,_ZN9rocsolver6v33100L16org2r_init_identIdPdEEviiiT0_iil,comdat
	.globl	_ZN9rocsolver6v33100L16org2r_init_identIdPdEEviiiT0_iil ; -- Begin function _ZN9rocsolver6v33100L16org2r_init_identIdPdEEviiiT0_iil
	.p2align	8
	.type	_ZN9rocsolver6v33100L16org2r_init_identIdPdEEviiiT0_iil,@function
_ZN9rocsolver6v33100L16org2r_init_identIdPdEEviiiT0_iil: ; @_ZN9rocsolver6v33100L16org2r_init_identIdPdEEviiiT0_iil
; %bb.0:
	s_load_dword s9, s[4:5], 0x34
	s_load_dwordx4 s[0:3], s[4:5], 0x0
	s_waitcnt lgkmcnt(0)
	s_lshr_b32 s3, s9, 16
	s_and_b32 s9, s9, 0xffff
	s_mul_i32 s7, s7, s3
	s_mul_i32 s6, s6, s9
	v_add_u32_e32 v1, s7, v1
	v_add_u32_e32 v2, s6, v0
	v_cmp_gt_u32_e32 vcc, s0, v2
	v_cmp_gt_u32_e64 s[0:1], s1, v1
	s_and_b64 s[0:1], vcc, s[0:1]
	s_and_saveexec_b64 s[6:7], s[0:1]
	s_cbranch_execz .LBB77_13
; %bb.1:
	s_load_dwordx2 s[0:1], s[4:5], 0x18
	v_cmp_ne_u32_e32 vcc, v2, v1
	s_mov_b64 s[10:11], 0
                                        ; implicit-def: $vgpr0
	s_and_saveexec_b64 s[6:7], vcc
	s_xor_b64 s[6:7], exec, s[6:7]
	s_cbranch_execz .LBB77_9
; %bb.2:
	v_cmp_le_u32_e32 vcc, v1, v2
                                        ; implicit-def: $vgpr0
	s_and_saveexec_b64 s[12:13], vcc
	s_xor_b64 s[12:13], exec, s[12:13]
	s_cbranch_execz .LBB77_6
; %bb.3:
	v_cmp_le_u32_e32 vcc, s2, v1
	s_mov_b64 s[2:3], 0
                                        ; implicit-def: $vgpr0
	s_and_saveexec_b64 s[10:11], vcc
	s_xor_b64 s[10:11], exec, s[10:11]
	s_cbranch_execz .LBB77_5
; %bb.4:
	s_waitcnt lgkmcnt(0)
	v_mad_u64_u32 v[0:1], s[14:15], v1, s1, v[2:3]
	s_mov_b64 s[2:3], exec
.LBB77_5:
	s_or_b64 exec, exec, s[10:11]
	s_and_b64 s[10:11], s[2:3], exec
                                        ; implicit-def: $vgpr2
                                        ; implicit-def: $vgpr1
.LBB77_6:
	s_andn2_saveexec_b64 s[2:3], s[12:13]
	s_cbranch_execz .LBB77_8
; %bb.7:
	s_waitcnt lgkmcnt(0)
	v_mad_u64_u32 v[0:1], s[12:13], v1, s1, v[2:3]
	s_or_b64 s[10:11], s[10:11], exec
.LBB77_8:
	s_or_b64 exec, exec, s[2:3]
	s_and_b64 s[10:11], s[10:11], exec
                                        ; implicit-def: $vgpr1
.LBB77_9:
	s_or_saveexec_b64 s[2:3], s[6:7]
	v_mov_b32_e32 v2, 0
	v_mov_b32_e32 v3, 0
	s_xor_b64 exec, exec, s[2:3]
	s_cbranch_execz .LBB77_11
; %bb.10:
	s_waitcnt lgkmcnt(0)
	v_mad_u64_u32 v[0:1], s[6:7], v1, s1, v[1:2]
	v_mov_b32_e32 v2, 0
	v_mov_b32_e32 v3, 0x3ff00000
	s_or_b64 s[10:11], s[10:11], exec
.LBB77_11:
	s_or_b64 exec, exec, s[2:3]
	s_and_b64 exec, exec, s[10:11]
	s_cbranch_execz .LBB77_13
; %bb.12:
	s_load_dwordx2 s[2:3], s[4:5], 0x20
	s_load_dwordx2 s[6:7], s[4:5], 0x10
	s_waitcnt lgkmcnt(0)
	s_ashr_i32 s1, s0, 31
	v_mov_b32_e32 v1, 0
	v_lshlrev_b64 v[0:1], 3, v[0:1]
	s_mul_i32 s3, s3, s8
	s_mul_hi_u32 s4, s2, s8
	s_mul_i32 s2, s2, s8
	s_add_i32 s3, s4, s3
	s_lshl_b64 s[2:3], s[2:3], 3
	s_add_u32 s2, s6, s2
	s_addc_u32 s3, s7, s3
	s_lshl_b64 s[0:1], s[0:1], 3
	s_add_u32 s0, s2, s0
	s_addc_u32 s1, s3, s1
	v_mov_b32_e32 v4, s1
	v_add_co_u32_e32 v0, vcc, s0, v0
	v_addc_co_u32_e32 v1, vcc, v4, v1, vcc
	global_store_dwordx2 v[0:1], v[2:3], off
.LBB77_13:
	s_endpgm
	.section	.rodata,"a",@progbits
	.p2align	6, 0x0
	.amdhsa_kernel _ZN9rocsolver6v33100L16org2r_init_identIdPdEEviiiT0_iil
		.amdhsa_group_segment_fixed_size 0
		.amdhsa_private_segment_fixed_size 0
		.amdhsa_kernarg_size 296
		.amdhsa_user_sgpr_count 6
		.amdhsa_user_sgpr_private_segment_buffer 1
		.amdhsa_user_sgpr_dispatch_ptr 0
		.amdhsa_user_sgpr_queue_ptr 0
		.amdhsa_user_sgpr_kernarg_segment_ptr 1
		.amdhsa_user_sgpr_dispatch_id 0
		.amdhsa_user_sgpr_flat_scratch_init 0
		.amdhsa_user_sgpr_private_segment_size 0
		.amdhsa_uses_dynamic_stack 0
		.amdhsa_system_sgpr_private_segment_wavefront_offset 0
		.amdhsa_system_sgpr_workgroup_id_x 1
		.amdhsa_system_sgpr_workgroup_id_y 1
		.amdhsa_system_sgpr_workgroup_id_z 1
		.amdhsa_system_sgpr_workgroup_info 0
		.amdhsa_system_vgpr_workitem_id 1
		.amdhsa_next_free_vgpr 5
		.amdhsa_next_free_sgpr 16
		.amdhsa_reserve_vcc 1
		.amdhsa_reserve_flat_scratch 0
		.amdhsa_float_round_mode_32 0
		.amdhsa_float_round_mode_16_64 0
		.amdhsa_float_denorm_mode_32 3
		.amdhsa_float_denorm_mode_16_64 3
		.amdhsa_dx10_clamp 1
		.amdhsa_ieee_mode 1
		.amdhsa_fp16_overflow 0
		.amdhsa_exception_fp_ieee_invalid_op 0
		.amdhsa_exception_fp_denorm_src 0
		.amdhsa_exception_fp_ieee_div_zero 0
		.amdhsa_exception_fp_ieee_overflow 0
		.amdhsa_exception_fp_ieee_underflow 0
		.amdhsa_exception_fp_ieee_inexact 0
		.amdhsa_exception_int_div_zero 0
	.end_amdhsa_kernel
	.section	.text._ZN9rocsolver6v33100L16org2r_init_identIdPdEEviiiT0_iil,"axG",@progbits,_ZN9rocsolver6v33100L16org2r_init_identIdPdEEviiiT0_iil,comdat
.Lfunc_end77:
	.size	_ZN9rocsolver6v33100L16org2r_init_identIdPdEEviiiT0_iil, .Lfunc_end77-_ZN9rocsolver6v33100L16org2r_init_identIdPdEEviiiT0_iil
                                        ; -- End function
	.set _ZN9rocsolver6v33100L16org2r_init_identIdPdEEviiiT0_iil.num_vgpr, 5
	.set _ZN9rocsolver6v33100L16org2r_init_identIdPdEEviiiT0_iil.num_agpr, 0
	.set _ZN9rocsolver6v33100L16org2r_init_identIdPdEEviiiT0_iil.numbered_sgpr, 16
	.set _ZN9rocsolver6v33100L16org2r_init_identIdPdEEviiiT0_iil.num_named_barrier, 0
	.set _ZN9rocsolver6v33100L16org2r_init_identIdPdEEviiiT0_iil.private_seg_size, 0
	.set _ZN9rocsolver6v33100L16org2r_init_identIdPdEEviiiT0_iil.uses_vcc, 1
	.set _ZN9rocsolver6v33100L16org2r_init_identIdPdEEviiiT0_iil.uses_flat_scratch, 0
	.set _ZN9rocsolver6v33100L16org2r_init_identIdPdEEviiiT0_iil.has_dyn_sized_stack, 0
	.set _ZN9rocsolver6v33100L16org2r_init_identIdPdEEviiiT0_iil.has_recursion, 0
	.set _ZN9rocsolver6v33100L16org2r_init_identIdPdEEviiiT0_iil.has_indirect_call, 0
	.section	.AMDGPU.csdata,"",@progbits
; Kernel info:
; codeLenInByte = 352
; TotalNumSgprs: 20
; NumVgprs: 5
; ScratchSize: 0
; MemoryBound: 0
; FloatMode: 240
; IeeeMode: 1
; LDSByteSize: 0 bytes/workgroup (compile time only)
; SGPRBlocks: 2
; VGPRBlocks: 1
; NumSGPRsForWavesPerEU: 20
; NumVGPRsForWavesPerEU: 5
; Occupancy: 10
; WaveLimiterHint : 0
; COMPUTE_PGM_RSRC2:SCRATCH_EN: 0
; COMPUTE_PGM_RSRC2:USER_SGPR: 6
; COMPUTE_PGM_RSRC2:TRAP_HANDLER: 0
; COMPUTE_PGM_RSRC2:TGID_X_EN: 1
; COMPUTE_PGM_RSRC2:TGID_Y_EN: 1
; COMPUTE_PGM_RSRC2:TGID_Z_EN: 1
; COMPUTE_PGM_RSRC2:TIDIG_COMP_CNT: 1
	.section	.text._ZN9rocsolver6v33100L12subtract_tauIdPdEEviiT0_iilPT_l,"axG",@progbits,_ZN9rocsolver6v33100L12subtract_tauIdPdEEviiT0_iilPT_l,comdat
	.globl	_ZN9rocsolver6v33100L12subtract_tauIdPdEEviiT0_iilPT_l ; -- Begin function _ZN9rocsolver6v33100L12subtract_tauIdPdEEviiT0_iilPT_l
	.p2align	8
	.type	_ZN9rocsolver6v33100L12subtract_tauIdPdEEviiT0_iilPT_l,@function
_ZN9rocsolver6v33100L12subtract_tauIdPdEEviiT0_iilPT_l: ; @_ZN9rocsolver6v33100L12subtract_tauIdPdEEviiT0_iilPT_l
; %bb.0:
	s_load_dwordx2 s[12:13], s[4:5], 0x10
	s_load_dwordx4 s[0:3], s[4:5], 0x18
	s_load_dwordx4 s[8:11], s[4:5], 0x0
	s_load_dwordx2 s[14:15], s[4:5], 0x28
	v_mov_b32_e32 v4, 0
	s_waitcnt lgkmcnt(0)
	s_ashr_i32 s5, s12, 31
	s_mul_i32 s1, s1, s6
	s_mul_hi_u32 s7, s0, s6
	s_add_i32 s1, s7, s1
	s_mul_i32 s0, s0, s6
	s_lshl_b64 s[0:1], s[0:1], 3
	s_mov_b32 s4, s12
	s_add_u32 s7, s10, s0
	s_addc_u32 s10, s11, s1
	s_lshl_b64 s[0:1], s[4:5], 3
	s_add_u32 s4, s7, s0
	s_addc_u32 s5, s10, s1
	s_mul_i32 s0, s15, s6
	s_mul_hi_u32 s1, s14, s6
	s_add_i32 s1, s1, s0
	s_mul_i32 s0, s14, s6
	s_lshl_b64 s[0:1], s[0:1], 3
	s_add_u32 s0, s2, s0
	s_addc_u32 s1, s3, s1
	s_load_dwordx2 s[2:3], s[0:1], 0x0
	s_waitcnt lgkmcnt(0)
	s_xor_b32 s6, s3, 0x80000000
	v_add_f64 v[2:3], -s[2:3], 1.0
	v_mov_b32_e32 v0, s2
	v_mov_b32_e32 v1, s6
	global_store_dwordx2 v4, v[0:1], s[0:1]
	s_mul_i32 s0, s13, s9
	s_add_i32 s0, s0, s8
	s_ashr_i32 s1, s0, 31
	s_lshl_b64 s[0:1], s[0:1], 3
	s_add_u32 s0, s4, s0
	s_addc_u32 s1, s5, s1
	global_store_dwordx2 v4, v[2:3], s[0:1]
	s_endpgm
	.section	.rodata,"a",@progbits
	.p2align	6, 0x0
	.amdhsa_kernel _ZN9rocsolver6v33100L12subtract_tauIdPdEEviiT0_iilPT_l
		.amdhsa_group_segment_fixed_size 0
		.amdhsa_private_segment_fixed_size 0
		.amdhsa_kernarg_size 48
		.amdhsa_user_sgpr_count 6
		.amdhsa_user_sgpr_private_segment_buffer 1
		.amdhsa_user_sgpr_dispatch_ptr 0
		.amdhsa_user_sgpr_queue_ptr 0
		.amdhsa_user_sgpr_kernarg_segment_ptr 1
		.amdhsa_user_sgpr_dispatch_id 0
		.amdhsa_user_sgpr_flat_scratch_init 0
		.amdhsa_user_sgpr_private_segment_size 0
		.amdhsa_uses_dynamic_stack 0
		.amdhsa_system_sgpr_private_segment_wavefront_offset 0
		.amdhsa_system_sgpr_workgroup_id_x 1
		.amdhsa_system_sgpr_workgroup_id_y 0
		.amdhsa_system_sgpr_workgroup_id_z 0
		.amdhsa_system_sgpr_workgroup_info 0
		.amdhsa_system_vgpr_workitem_id 0
		.amdhsa_next_free_vgpr 5
		.amdhsa_next_free_sgpr 16
		.amdhsa_reserve_vcc 0
		.amdhsa_reserve_flat_scratch 0
		.amdhsa_float_round_mode_32 0
		.amdhsa_float_round_mode_16_64 0
		.amdhsa_float_denorm_mode_32 3
		.amdhsa_float_denorm_mode_16_64 3
		.amdhsa_dx10_clamp 1
		.amdhsa_ieee_mode 1
		.amdhsa_fp16_overflow 0
		.amdhsa_exception_fp_ieee_invalid_op 0
		.amdhsa_exception_fp_denorm_src 0
		.amdhsa_exception_fp_ieee_div_zero 0
		.amdhsa_exception_fp_ieee_overflow 0
		.amdhsa_exception_fp_ieee_underflow 0
		.amdhsa_exception_fp_ieee_inexact 0
		.amdhsa_exception_int_div_zero 0
	.end_amdhsa_kernel
	.section	.text._ZN9rocsolver6v33100L12subtract_tauIdPdEEviiT0_iilPT_l,"axG",@progbits,_ZN9rocsolver6v33100L12subtract_tauIdPdEEviiT0_iilPT_l,comdat
.Lfunc_end78:
	.size	_ZN9rocsolver6v33100L12subtract_tauIdPdEEviiT0_iilPT_l, .Lfunc_end78-_ZN9rocsolver6v33100L12subtract_tauIdPdEEviiT0_iilPT_l
                                        ; -- End function
	.set _ZN9rocsolver6v33100L12subtract_tauIdPdEEviiT0_iilPT_l.num_vgpr, 5
	.set _ZN9rocsolver6v33100L12subtract_tauIdPdEEviiT0_iilPT_l.num_agpr, 0
	.set _ZN9rocsolver6v33100L12subtract_tauIdPdEEviiT0_iilPT_l.numbered_sgpr, 16
	.set _ZN9rocsolver6v33100L12subtract_tauIdPdEEviiT0_iilPT_l.num_named_barrier, 0
	.set _ZN9rocsolver6v33100L12subtract_tauIdPdEEviiT0_iilPT_l.private_seg_size, 0
	.set _ZN9rocsolver6v33100L12subtract_tauIdPdEEviiT0_iilPT_l.uses_vcc, 0
	.set _ZN9rocsolver6v33100L12subtract_tauIdPdEEviiT0_iilPT_l.uses_flat_scratch, 0
	.set _ZN9rocsolver6v33100L12subtract_tauIdPdEEviiT0_iilPT_l.has_dyn_sized_stack, 0
	.set _ZN9rocsolver6v33100L12subtract_tauIdPdEEviiT0_iilPT_l.has_recursion, 0
	.set _ZN9rocsolver6v33100L12subtract_tauIdPdEEviiT0_iilPT_l.has_indirect_call, 0
	.section	.AMDGPU.csdata,"",@progbits
; Kernel info:
; codeLenInByte = 196
; TotalNumSgprs: 20
; NumVgprs: 5
; ScratchSize: 0
; MemoryBound: 0
; FloatMode: 240
; IeeeMode: 1
; LDSByteSize: 0 bytes/workgroup (compile time only)
; SGPRBlocks: 2
; VGPRBlocks: 1
; NumSGPRsForWavesPerEU: 20
; NumVGPRsForWavesPerEU: 5
; Occupancy: 10
; WaveLimiterHint : 0
; COMPUTE_PGM_RSRC2:SCRATCH_EN: 0
; COMPUTE_PGM_RSRC2:USER_SGPR: 6
; COMPUTE_PGM_RSRC2:TRAP_HANDLER: 0
; COMPUTE_PGM_RSRC2:TGID_X_EN: 1
; COMPUTE_PGM_RSRC2:TGID_Y_EN: 0
; COMPUTE_PGM_RSRC2:TGID_Z_EN: 0
; COMPUTE_PGM_RSRC2:TIDIG_COMP_CNT: 0
	.section	.text._ZN9rocsolver6v33100L6restauIdEEviPT_l,"axG",@progbits,_ZN9rocsolver6v33100L6restauIdEEviPT_l,comdat
	.globl	_ZN9rocsolver6v33100L6restauIdEEviPT_l ; -- Begin function _ZN9rocsolver6v33100L6restauIdEEviPT_l
	.p2align	8
	.type	_ZN9rocsolver6v33100L6restauIdEEviPT_l,@function
_ZN9rocsolver6v33100L6restauIdEEviPT_l: ; @_ZN9rocsolver6v33100L6restauIdEEviPT_l
; %bb.0:
	s_load_dword s0, s[4:5], 0x24
	s_load_dword s1, s[4:5], 0x0
	s_waitcnt lgkmcnt(0)
	s_and_b32 s0, s0, 0xffff
	s_mul_i32 s6, s6, s0
	v_add_u32_e32 v0, s6, v0
	v_cmp_gt_u32_e32 vcc, s1, v0
	s_and_saveexec_b64 s[0:1], vcc
	s_cbranch_execz .LBB79_2
; %bb.1:
	s_load_dwordx4 s[0:3], s[4:5], 0x8
	v_mov_b32_e32 v1, 0
	v_lshlrev_b64 v[0:1], 3, v[0:1]
	s_waitcnt lgkmcnt(0)
	s_mul_i32 s3, s3, s7
	s_mul_hi_u32 s4, s2, s7
	s_mul_i32 s2, s2, s7
	s_add_i32 s3, s4, s3
	s_lshl_b64 s[2:3], s[2:3], 3
	s_add_u32 s0, s0, s2
	s_addc_u32 s1, s1, s3
	v_mov_b32_e32 v2, s1
	v_add_co_u32_e32 v0, vcc, s0, v0
	v_addc_co_u32_e32 v1, vcc, v2, v1, vcc
	global_load_dwordx2 v[2:3], v[0:1], off
	s_waitcnt vmcnt(0)
	v_xor_b32_e32 v3, 0x80000000, v3
	global_store_dwordx2 v[0:1], v[2:3], off
.LBB79_2:
	s_endpgm
	.section	.rodata,"a",@progbits
	.p2align	6, 0x0
	.amdhsa_kernel _ZN9rocsolver6v33100L6restauIdEEviPT_l
		.amdhsa_group_segment_fixed_size 0
		.amdhsa_private_segment_fixed_size 0
		.amdhsa_kernarg_size 280
		.amdhsa_user_sgpr_count 6
		.amdhsa_user_sgpr_private_segment_buffer 1
		.amdhsa_user_sgpr_dispatch_ptr 0
		.amdhsa_user_sgpr_queue_ptr 0
		.amdhsa_user_sgpr_kernarg_segment_ptr 1
		.amdhsa_user_sgpr_dispatch_id 0
		.amdhsa_user_sgpr_flat_scratch_init 0
		.amdhsa_user_sgpr_private_segment_size 0
		.amdhsa_uses_dynamic_stack 0
		.amdhsa_system_sgpr_private_segment_wavefront_offset 0
		.amdhsa_system_sgpr_workgroup_id_x 1
		.amdhsa_system_sgpr_workgroup_id_y 1
		.amdhsa_system_sgpr_workgroup_id_z 0
		.amdhsa_system_sgpr_workgroup_info 0
		.amdhsa_system_vgpr_workitem_id 0
		.amdhsa_next_free_vgpr 4
		.amdhsa_next_free_sgpr 8
		.amdhsa_reserve_vcc 1
		.amdhsa_reserve_flat_scratch 0
		.amdhsa_float_round_mode_32 0
		.amdhsa_float_round_mode_16_64 0
		.amdhsa_float_denorm_mode_32 3
		.amdhsa_float_denorm_mode_16_64 3
		.amdhsa_dx10_clamp 1
		.amdhsa_ieee_mode 1
		.amdhsa_fp16_overflow 0
		.amdhsa_exception_fp_ieee_invalid_op 0
		.amdhsa_exception_fp_denorm_src 0
		.amdhsa_exception_fp_ieee_div_zero 0
		.amdhsa_exception_fp_ieee_overflow 0
		.amdhsa_exception_fp_ieee_underflow 0
		.amdhsa_exception_fp_ieee_inexact 0
		.amdhsa_exception_int_div_zero 0
	.end_amdhsa_kernel
	.section	.text._ZN9rocsolver6v33100L6restauIdEEviPT_l,"axG",@progbits,_ZN9rocsolver6v33100L6restauIdEEviPT_l,comdat
.Lfunc_end79:
	.size	_ZN9rocsolver6v33100L6restauIdEEviPT_l, .Lfunc_end79-_ZN9rocsolver6v33100L6restauIdEEviPT_l
                                        ; -- End function
	.set _ZN9rocsolver6v33100L6restauIdEEviPT_l.num_vgpr, 4
	.set _ZN9rocsolver6v33100L6restauIdEEviPT_l.num_agpr, 0
	.set _ZN9rocsolver6v33100L6restauIdEEviPT_l.numbered_sgpr, 8
	.set _ZN9rocsolver6v33100L6restauIdEEviPT_l.num_named_barrier, 0
	.set _ZN9rocsolver6v33100L6restauIdEEviPT_l.private_seg_size, 0
	.set _ZN9rocsolver6v33100L6restauIdEEviPT_l.uses_vcc, 1
	.set _ZN9rocsolver6v33100L6restauIdEEviPT_l.uses_flat_scratch, 0
	.set _ZN9rocsolver6v33100L6restauIdEEviPT_l.has_dyn_sized_stack, 0
	.set _ZN9rocsolver6v33100L6restauIdEEviPT_l.has_recursion, 0
	.set _ZN9rocsolver6v33100L6restauIdEEviPT_l.has_indirect_call, 0
	.section	.AMDGPU.csdata,"",@progbits
; Kernel info:
; codeLenInByte = 144
; TotalNumSgprs: 12
; NumVgprs: 4
; ScratchSize: 0
; MemoryBound: 0
; FloatMode: 240
; IeeeMode: 1
; LDSByteSize: 0 bytes/workgroup (compile time only)
; SGPRBlocks: 1
; VGPRBlocks: 0
; NumSGPRsForWavesPerEU: 12
; NumVGPRsForWavesPerEU: 4
; Occupancy: 10
; WaveLimiterHint : 0
; COMPUTE_PGM_RSRC2:SCRATCH_EN: 0
; COMPUTE_PGM_RSRC2:USER_SGPR: 6
; COMPUTE_PGM_RSRC2:TRAP_HANDLER: 0
; COMPUTE_PGM_RSRC2:TGID_X_EN: 1
; COMPUTE_PGM_RSRC2:TGID_Y_EN: 1
; COMPUTE_PGM_RSRC2:TGID_Z_EN: 0
; COMPUTE_PGM_RSRC2:TIDIG_COMP_CNT: 0
	.section	.text._ZN9rocsolver6v33100L8set_zeroIdPdEEviiT0_iil13rocblas_fill_,"axG",@progbits,_ZN9rocsolver6v33100L8set_zeroIdPdEEviiT0_iil13rocblas_fill_,comdat
	.globl	_ZN9rocsolver6v33100L8set_zeroIdPdEEviiT0_iil13rocblas_fill_ ; -- Begin function _ZN9rocsolver6v33100L8set_zeroIdPdEEviiT0_iil13rocblas_fill_
	.p2align	8
	.type	_ZN9rocsolver6v33100L8set_zeroIdPdEEviiT0_iil13rocblas_fill_,@function
_ZN9rocsolver6v33100L8set_zeroIdPdEEviiT0_iil13rocblas_fill_: ; @_ZN9rocsolver6v33100L8set_zeroIdPdEEviiT0_iil13rocblas_fill_
; %bb.0:
	s_load_dword s2, s[4:5], 0x34
	s_load_dwordx2 s[0:1], s[4:5], 0x0
	s_waitcnt lgkmcnt(0)
	s_lshr_b32 s3, s2, 16
	s_and_b32 s2, s2, 0xffff
	s_mul_i32 s6, s6, s2
	s_mul_i32 s7, s7, s3
	v_add_u32_e32 v0, s6, v0
	v_add_u32_e32 v1, s7, v1
	v_cmp_gt_u32_e32 vcc, s0, v0
	v_cmp_gt_u32_e64 s[0:1], s1, v1
	s_and_b64 s[0:1], vcc, s[0:1]
	s_and_saveexec_b64 s[2:3], s[0:1]
	s_cbranch_execz .LBB80_12
; %bb.1:
	s_load_dword s6, s[4:5], 0x20
	s_waitcnt lgkmcnt(0)
	s_cmpk_lt_i32 s6, 0x7a
	s_cbranch_scc1 .LBB80_4
; %bb.2:
	s_cmpk_gt_i32 s6, 0x7a
	s_cbranch_scc0 .LBB80_5
; %bb.3:
	s_cmpk_eq_i32 s6, 0x7b
	s_cselect_b64 s[0:1], -1, 0
	s_cbranch_execz .LBB80_6
	s_branch .LBB80_7
.LBB80_4:
	s_mov_b64 s[0:1], 0
	s_cbranch_execnz .LBB80_8
	s_branch .LBB80_10
.LBB80_5:
	s_mov_b64 s[0:1], 0
.LBB80_6:
	v_cmp_gt_u32_e32 vcc, v1, v0
	s_andn2_b64 s[0:1], s[0:1], exec
	s_and_b64 s[2:3], vcc, exec
	s_or_b64 s[0:1], s[0:1], s[2:3]
.LBB80_7:
	s_branch .LBB80_10
.LBB80_8:
	s_cmpk_eq_i32 s6, 0x79
	s_cbranch_scc0 .LBB80_10
; %bb.9:
	v_cmp_gt_u32_e32 vcc, v0, v1
	s_andn2_b64 s[0:1], s[0:1], exec
	s_and_b64 s[2:3], vcc, exec
	s_or_b64 s[0:1], s[0:1], s[2:3]
.LBB80_10:
	s_and_b64 exec, exec, s[0:1]
	s_cbranch_execz .LBB80_12
; %bb.11:
	s_load_dwordx4 s[0:3], s[4:5], 0x8
	s_load_dwordx2 s[6:7], s[4:5], 0x18
	s_waitcnt lgkmcnt(0)
	s_ashr_i32 s5, s2, 31
	s_mov_b32 s4, s2
	s_mul_i32 s2, s7, s8
	s_mul_hi_u32 s7, s6, s8
	s_add_i32 s7, s7, s2
	s_mul_i32 s6, s6, s8
	v_mad_u64_u32 v[0:1], s[2:3], v1, s3, v[0:1]
	s_lshl_b64 s[6:7], s[6:7], 3
	s_add_u32 s6, s0, s6
	s_addc_u32 s7, s1, s7
	s_lshl_b64 s[0:1], s[4:5], 3
	v_mov_b32_e32 v1, 0
	s_add_u32 s0, s6, s0
	v_lshlrev_b64 v[2:3], 3, v[0:1]
	s_addc_u32 s1, s7, s1
	v_mov_b32_e32 v0, s1
	v_add_co_u32_e32 v2, vcc, s0, v2
	v_addc_co_u32_e32 v3, vcc, v0, v3, vcc
	v_mov_b32_e32 v0, v1
	global_store_dwordx2 v[2:3], v[0:1], off
.LBB80_12:
	s_endpgm
	.section	.rodata,"a",@progbits
	.p2align	6, 0x0
	.amdhsa_kernel _ZN9rocsolver6v33100L8set_zeroIdPdEEviiT0_iil13rocblas_fill_
		.amdhsa_group_segment_fixed_size 0
		.amdhsa_private_segment_fixed_size 0
		.amdhsa_kernarg_size 296
		.amdhsa_user_sgpr_count 6
		.amdhsa_user_sgpr_private_segment_buffer 1
		.amdhsa_user_sgpr_dispatch_ptr 0
		.amdhsa_user_sgpr_queue_ptr 0
		.amdhsa_user_sgpr_kernarg_segment_ptr 1
		.amdhsa_user_sgpr_dispatch_id 0
		.amdhsa_user_sgpr_flat_scratch_init 0
		.amdhsa_user_sgpr_private_segment_size 0
		.amdhsa_uses_dynamic_stack 0
		.amdhsa_system_sgpr_private_segment_wavefront_offset 0
		.amdhsa_system_sgpr_workgroup_id_x 1
		.amdhsa_system_sgpr_workgroup_id_y 1
		.amdhsa_system_sgpr_workgroup_id_z 1
		.amdhsa_system_sgpr_workgroup_info 0
		.amdhsa_system_vgpr_workitem_id 1
		.amdhsa_next_free_vgpr 4
		.amdhsa_next_free_sgpr 9
		.amdhsa_reserve_vcc 1
		.amdhsa_reserve_flat_scratch 0
		.amdhsa_float_round_mode_32 0
		.amdhsa_float_round_mode_16_64 0
		.amdhsa_float_denorm_mode_32 3
		.amdhsa_float_denorm_mode_16_64 3
		.amdhsa_dx10_clamp 1
		.amdhsa_ieee_mode 1
		.amdhsa_fp16_overflow 0
		.amdhsa_exception_fp_ieee_invalid_op 0
		.amdhsa_exception_fp_denorm_src 0
		.amdhsa_exception_fp_ieee_div_zero 0
		.amdhsa_exception_fp_ieee_overflow 0
		.amdhsa_exception_fp_ieee_underflow 0
		.amdhsa_exception_fp_ieee_inexact 0
		.amdhsa_exception_int_div_zero 0
	.end_amdhsa_kernel
	.section	.text._ZN9rocsolver6v33100L8set_zeroIdPdEEviiT0_iil13rocblas_fill_,"axG",@progbits,_ZN9rocsolver6v33100L8set_zeroIdPdEEviiT0_iil13rocblas_fill_,comdat
.Lfunc_end80:
	.size	_ZN9rocsolver6v33100L8set_zeroIdPdEEviiT0_iil13rocblas_fill_, .Lfunc_end80-_ZN9rocsolver6v33100L8set_zeroIdPdEEviiT0_iil13rocblas_fill_
                                        ; -- End function
	.set _ZN9rocsolver6v33100L8set_zeroIdPdEEviiT0_iil13rocblas_fill_.num_vgpr, 4
	.set _ZN9rocsolver6v33100L8set_zeroIdPdEEviiT0_iil13rocblas_fill_.num_agpr, 0
	.set _ZN9rocsolver6v33100L8set_zeroIdPdEEviiT0_iil13rocblas_fill_.numbered_sgpr, 9
	.set _ZN9rocsolver6v33100L8set_zeroIdPdEEviiT0_iil13rocblas_fill_.num_named_barrier, 0
	.set _ZN9rocsolver6v33100L8set_zeroIdPdEEviiT0_iil13rocblas_fill_.private_seg_size, 0
	.set _ZN9rocsolver6v33100L8set_zeroIdPdEEviiT0_iil13rocblas_fill_.uses_vcc, 1
	.set _ZN9rocsolver6v33100L8set_zeroIdPdEEviiT0_iil13rocblas_fill_.uses_flat_scratch, 0
	.set _ZN9rocsolver6v33100L8set_zeroIdPdEEviiT0_iil13rocblas_fill_.has_dyn_sized_stack, 0
	.set _ZN9rocsolver6v33100L8set_zeroIdPdEEviiT0_iil13rocblas_fill_.has_recursion, 0
	.set _ZN9rocsolver6v33100L8set_zeroIdPdEEviiT0_iil13rocblas_fill_.has_indirect_call, 0
	.section	.AMDGPU.csdata,"",@progbits
; Kernel info:
; codeLenInByte = 300
; TotalNumSgprs: 13
; NumVgprs: 4
; ScratchSize: 0
; MemoryBound: 0
; FloatMode: 240
; IeeeMode: 1
; LDSByteSize: 0 bytes/workgroup (compile time only)
; SGPRBlocks: 1
; VGPRBlocks: 0
; NumSGPRsForWavesPerEU: 13
; NumVGPRsForWavesPerEU: 4
; Occupancy: 10
; WaveLimiterHint : 0
; COMPUTE_PGM_RSRC2:SCRATCH_EN: 0
; COMPUTE_PGM_RSRC2:USER_SGPR: 6
; COMPUTE_PGM_RSRC2:TRAP_HANDLER: 0
; COMPUTE_PGM_RSRC2:TGID_X_EN: 1
; COMPUTE_PGM_RSRC2:TGID_Y_EN: 1
; COMPUTE_PGM_RSRC2:TGID_Z_EN: 1
; COMPUTE_PGM_RSRC2:TIDIG_COMP_CNT: 1
	.section	.text._ZN9rocsolver6v33100L14copy_trans_matIddPdS2_NS0_7no_maskEEEv18rocblas_operation_iiT1_iilT2_iilT3_13rocblas_fill_17rocblas_diagonal_,"axG",@progbits,_ZN9rocsolver6v33100L14copy_trans_matIddPdS2_NS0_7no_maskEEEv18rocblas_operation_iiT1_iilT2_iilT3_13rocblas_fill_17rocblas_diagonal_,comdat
	.globl	_ZN9rocsolver6v33100L14copy_trans_matIddPdS2_NS0_7no_maskEEEv18rocblas_operation_iiT1_iilT2_iilT3_13rocblas_fill_17rocblas_diagonal_ ; -- Begin function _ZN9rocsolver6v33100L14copy_trans_matIddPdS2_NS0_7no_maskEEEv18rocblas_operation_iiT1_iilT2_iilT3_13rocblas_fill_17rocblas_diagonal_
	.p2align	8
	.type	_ZN9rocsolver6v33100L14copy_trans_matIddPdS2_NS0_7no_maskEEEv18rocblas_operation_iiT1_iilT2_iilT3_13rocblas_fill_17rocblas_diagonal_,@function
_ZN9rocsolver6v33100L14copy_trans_matIddPdS2_NS0_7no_maskEEEv18rocblas_operation_iiT1_iilT2_iilT3_13rocblas_fill_17rocblas_diagonal_: ; @_ZN9rocsolver6v33100L14copy_trans_matIddPdS2_NS0_7no_maskEEEv18rocblas_operation_iiT1_iilT2_iilT3_13rocblas_fill_17rocblas_diagonal_
; %bb.0:
	s_load_dword s0, s[4:5], 0x5c
	s_load_dwordx4 s[20:23], s[4:5], 0x0
	s_waitcnt lgkmcnt(0)
	s_lshr_b32 s1, s0, 16
	s_and_b32 s0, s0, 0xffff
	s_mul_i32 s7, s7, s1
	s_mul_i32 s6, s6, s0
	v_add_u32_e32 v1, s7, v1
	v_add_u32_e32 v0, s6, v0
	v_cmp_gt_u32_e32 vcc, s21, v0
	v_cmp_gt_u32_e64 s[0:1], s22, v1
	s_and_b64 s[0:1], s[0:1], vcc
	s_and_saveexec_b64 s[2:3], s[0:1]
	s_cbranch_execz .LBB81_24
; %bb.1:
	s_load_dwordx2 s[2:3], s[4:5], 0x44
	s_waitcnt lgkmcnt(0)
	s_cmpk_lt_i32 s2, 0x7a
	s_cbranch_scc1 .LBB81_4
; %bb.2:
	s_cmpk_gt_i32 s2, 0x7a
	s_cbranch_scc0 .LBB81_5
; %bb.3:
	s_cmpk_lg_i32 s2, 0x7b
	s_mov_b64 s[6:7], -1
	s_cselect_b64 s[10:11], -1, 0
	s_cbranch_execz .LBB81_6
	s_branch .LBB81_7
.LBB81_4:
	s_mov_b64 s[10:11], 0
	s_mov_b64 s[6:7], 0
	s_cbranch_execnz .LBB81_8
	s_branch .LBB81_10
.LBB81_5:
	s_mov_b64 s[6:7], 0
	s_mov_b64 s[10:11], 0
.LBB81_6:
	v_cmp_gt_u32_e32 vcc, v0, v1
	v_cmp_le_u32_e64 s[0:1], v0, v1
	s_andn2_b64 s[6:7], s[6:7], exec
	s_and_b64 s[12:13], vcc, exec
	s_andn2_b64 s[10:11], s[10:11], exec
	s_and_b64 s[0:1], s[0:1], exec
	s_or_b64 s[6:7], s[6:7], s[12:13]
	s_or_b64 s[10:11], s[10:11], s[0:1]
.LBB81_7:
	s_branch .LBB81_10
.LBB81_8:
	s_cmpk_eq_i32 s2, 0x79
	s_mov_b64 s[10:11], -1
	s_cbranch_scc0 .LBB81_10
; %bb.9:
	v_cmp_gt_u32_e32 vcc, v1, v0
	v_cmp_le_u32_e64 s[0:1], v1, v0
	s_andn2_b64 s[6:7], s[6:7], exec
	s_and_b64 s[10:11], vcc, exec
	s_or_b64 s[6:7], s[6:7], s[10:11]
	s_orn2_b64 s[10:11], s[0:1], exec
.LBB81_10:
	s_and_saveexec_b64 s[0:1], s[10:11]
; %bb.11:
	s_cmpk_eq_i32 s3, 0x83
	s_cselect_b64 s[2:3], -1, 0
	v_cmp_eq_u32_e32 vcc, v0, v1
	s_and_b64 s[2:3], s[2:3], vcc
	s_andn2_b64 s[6:7], s[6:7], exec
	s_and_b64 s[2:3], s[2:3], exec
	s_or_b64 s[6:7], s[6:7], s[2:3]
; %bb.12:
	s_or_b64 exec, exec, s[0:1]
	s_and_b64 exec, exec, s[6:7]
	s_cbranch_execz .LBB81_24
; %bb.13:
	s_load_dwordx8 s[12:19], s[4:5], 0x10
	s_waitcnt lgkmcnt(0)
	s_mul_i32 s3, s17, s8
	s_mul_hi_u32 s6, s16, s8
	s_mul_i32 s2, s16, s8
	s_add_i32 s3, s6, s3
	s_ashr_i32 s1, s14, 31
	s_lshl_b64 s[2:3], s[2:3], 3
	s_add_u32 s6, s12, s2
	s_addc_u32 s7, s13, s3
	v_mad_u64_u32 v[2:3], s[2:3], v1, s15, v[0:1]
	s_mov_b32 s0, s14
	s_lshl_b64 s[0:1], s[0:1], 3
	v_mov_b32_e32 v3, 0
	s_add_u32 s0, s6, s0
	v_lshlrev_b64 v[2:3], 3, v[2:3]
	s_addc_u32 s1, s7, s1
	v_mov_b32_e32 v4, s1
	v_add_co_u32_e32 v2, vcc, s0, v2
	v_addc_co_u32_e32 v3, vcc, v4, v3, vcc
	global_load_dwordx2 v[2:3], v[2:3], off
	s_load_dwordx2 s[0:1], s[4:5], 0x30
	s_cmpk_lt_i32 s20, 0x71
	s_mov_b64 s[2:3], 0
	s_cbranch_scc1 .LBB81_16
; %bb.14:
	s_cmpk_eq_i32 s20, 0x71
	s_cbranch_scc0 .LBB81_17
; %bb.15:
	s_waitcnt vmcnt(0) lgkmcnt(0)
	v_mad_u64_u32 v[4:5], s[6:7], v0, s1, v[1:2]
	s_mov_b64 s[6:7], 0
	s_branch .LBB81_18
.LBB81_16:
                                        ; implicit-def: $vgpr4
	s_mov_b64 s[6:7], 0
	s_cbranch_execnz .LBB81_19
	s_branch .LBB81_20
.LBB81_17:
	s_mov_b64 s[6:7], -1
                                        ; implicit-def: $vgpr4
.LBB81_18:
	s_branch .LBB81_20
.LBB81_19:
	s_cmpk_lg_i32 s20, 0x70
	s_mov_b64 s[2:3], -1
	s_cselect_b64 s[6:7], -1, 0
.LBB81_20:
	s_andn2_b64 vcc, exec, s[6:7]
	s_cbranch_vccz .LBB81_25
; %bb.21:
	s_andn2_b64 vcc, exec, s[2:3]
	s_cbranch_vccnz .LBB81_23
.LBB81_22:
	s_waitcnt vmcnt(0) lgkmcnt(0)
	v_mad_u64_u32 v[4:5], s[2:3], v0, s1, v[1:2]
.LBB81_23:
	s_load_dwordx2 s[2:3], s[4:5], 0x38
	s_waitcnt lgkmcnt(0)
	s_ashr_i32 s1, s0, 31
	v_mov_b32_e32 v5, 0
	v_lshlrev_b64 v[0:1], 3, v[4:5]
	s_mul_i32 s3, s3, s8
	s_mul_hi_u32 s4, s2, s8
	s_mul_i32 s2, s2, s8
	s_add_i32 s3, s4, s3
	s_lshl_b64 s[2:3], s[2:3], 3
	s_add_u32 s2, s18, s2
	s_addc_u32 s3, s19, s3
	s_lshl_b64 s[0:1], s[0:1], 3
	s_add_u32 s0, s2, s0
	s_addc_u32 s1, s3, s1
	v_mov_b32_e32 v4, s1
	v_add_co_u32_e32 v0, vcc, s0, v0
	v_addc_co_u32_e32 v1, vcc, v4, v1, vcc
	s_waitcnt vmcnt(0)
	global_store_dwordx2 v[0:1], v[2:3], off
.LBB81_24:
	s_endpgm
.LBB81_25:
	s_waitcnt lgkmcnt(0)
	v_mad_u64_u32 v[4:5], s[2:3], v1, s1, v[0:1]
	s_cbranch_execz .LBB81_22
	s_branch .LBB81_23
	.section	.rodata,"a",@progbits
	.p2align	6, 0x0
	.amdhsa_kernel _ZN9rocsolver6v33100L14copy_trans_matIddPdS2_NS0_7no_maskEEEv18rocblas_operation_iiT1_iilT2_iilT3_13rocblas_fill_17rocblas_diagonal_
		.amdhsa_group_segment_fixed_size 0
		.amdhsa_private_segment_fixed_size 0
		.amdhsa_kernarg_size 336
		.amdhsa_user_sgpr_count 6
		.amdhsa_user_sgpr_private_segment_buffer 1
		.amdhsa_user_sgpr_dispatch_ptr 0
		.amdhsa_user_sgpr_queue_ptr 0
		.amdhsa_user_sgpr_kernarg_segment_ptr 1
		.amdhsa_user_sgpr_dispatch_id 0
		.amdhsa_user_sgpr_flat_scratch_init 0
		.amdhsa_user_sgpr_private_segment_size 0
		.amdhsa_uses_dynamic_stack 0
		.amdhsa_system_sgpr_private_segment_wavefront_offset 0
		.amdhsa_system_sgpr_workgroup_id_x 1
		.amdhsa_system_sgpr_workgroup_id_y 1
		.amdhsa_system_sgpr_workgroup_id_z 1
		.amdhsa_system_sgpr_workgroup_info 0
		.amdhsa_system_vgpr_workitem_id 1
		.amdhsa_next_free_vgpr 6
		.amdhsa_next_free_sgpr 24
		.amdhsa_reserve_vcc 1
		.amdhsa_reserve_flat_scratch 0
		.amdhsa_float_round_mode_32 0
		.amdhsa_float_round_mode_16_64 0
		.amdhsa_float_denorm_mode_32 3
		.amdhsa_float_denorm_mode_16_64 3
		.amdhsa_dx10_clamp 1
		.amdhsa_ieee_mode 1
		.amdhsa_fp16_overflow 0
		.amdhsa_exception_fp_ieee_invalid_op 0
		.amdhsa_exception_fp_denorm_src 0
		.amdhsa_exception_fp_ieee_div_zero 0
		.amdhsa_exception_fp_ieee_overflow 0
		.amdhsa_exception_fp_ieee_underflow 0
		.amdhsa_exception_fp_ieee_inexact 0
		.amdhsa_exception_int_div_zero 0
	.end_amdhsa_kernel
	.section	.text._ZN9rocsolver6v33100L14copy_trans_matIddPdS2_NS0_7no_maskEEEv18rocblas_operation_iiT1_iilT2_iilT3_13rocblas_fill_17rocblas_diagonal_,"axG",@progbits,_ZN9rocsolver6v33100L14copy_trans_matIddPdS2_NS0_7no_maskEEEv18rocblas_operation_iiT1_iilT2_iilT3_13rocblas_fill_17rocblas_diagonal_,comdat
.Lfunc_end81:
	.size	_ZN9rocsolver6v33100L14copy_trans_matIddPdS2_NS0_7no_maskEEEv18rocblas_operation_iiT1_iilT2_iilT3_13rocblas_fill_17rocblas_diagonal_, .Lfunc_end81-_ZN9rocsolver6v33100L14copy_trans_matIddPdS2_NS0_7no_maskEEEv18rocblas_operation_iiT1_iilT2_iilT3_13rocblas_fill_17rocblas_diagonal_
                                        ; -- End function
	.set _ZN9rocsolver6v33100L14copy_trans_matIddPdS2_NS0_7no_maskEEEv18rocblas_operation_iiT1_iilT2_iilT3_13rocblas_fill_17rocblas_diagonal_.num_vgpr, 6
	.set _ZN9rocsolver6v33100L14copy_trans_matIddPdS2_NS0_7no_maskEEEv18rocblas_operation_iiT1_iilT2_iilT3_13rocblas_fill_17rocblas_diagonal_.num_agpr, 0
	.set _ZN9rocsolver6v33100L14copy_trans_matIddPdS2_NS0_7no_maskEEEv18rocblas_operation_iiT1_iilT2_iilT3_13rocblas_fill_17rocblas_diagonal_.numbered_sgpr, 24
	.set _ZN9rocsolver6v33100L14copy_trans_matIddPdS2_NS0_7no_maskEEEv18rocblas_operation_iiT1_iilT2_iilT3_13rocblas_fill_17rocblas_diagonal_.num_named_barrier, 0
	.set _ZN9rocsolver6v33100L14copy_trans_matIddPdS2_NS0_7no_maskEEEv18rocblas_operation_iiT1_iilT2_iilT3_13rocblas_fill_17rocblas_diagonal_.private_seg_size, 0
	.set _ZN9rocsolver6v33100L14copy_trans_matIddPdS2_NS0_7no_maskEEEv18rocblas_operation_iiT1_iilT2_iilT3_13rocblas_fill_17rocblas_diagonal_.uses_vcc, 1
	.set _ZN9rocsolver6v33100L14copy_trans_matIddPdS2_NS0_7no_maskEEEv18rocblas_operation_iiT1_iilT2_iilT3_13rocblas_fill_17rocblas_diagonal_.uses_flat_scratch, 0
	.set _ZN9rocsolver6v33100L14copy_trans_matIddPdS2_NS0_7no_maskEEEv18rocblas_operation_iiT1_iilT2_iilT3_13rocblas_fill_17rocblas_diagonal_.has_dyn_sized_stack, 0
	.set _ZN9rocsolver6v33100L14copy_trans_matIddPdS2_NS0_7no_maskEEEv18rocblas_operation_iiT1_iilT2_iilT3_13rocblas_fill_17rocblas_diagonal_.has_recursion, 0
	.set _ZN9rocsolver6v33100L14copy_trans_matIddPdS2_NS0_7no_maskEEEv18rocblas_operation_iiT1_iilT2_iilT3_13rocblas_fill_17rocblas_diagonal_.has_indirect_call, 0
	.section	.AMDGPU.csdata,"",@progbits
; Kernel info:
; codeLenInByte = 592
; TotalNumSgprs: 28
; NumVgprs: 6
; ScratchSize: 0
; MemoryBound: 0
; FloatMode: 240
; IeeeMode: 1
; LDSByteSize: 0 bytes/workgroup (compile time only)
; SGPRBlocks: 3
; VGPRBlocks: 1
; NumSGPRsForWavesPerEU: 28
; NumVGPRsForWavesPerEU: 6
; Occupancy: 10
; WaveLimiterHint : 0
; COMPUTE_PGM_RSRC2:SCRATCH_EN: 0
; COMPUTE_PGM_RSRC2:USER_SGPR: 6
; COMPUTE_PGM_RSRC2:TRAP_HANDLER: 0
; COMPUTE_PGM_RSRC2:TGID_X_EN: 1
; COMPUTE_PGM_RSRC2:TGID_Y_EN: 1
; COMPUTE_PGM_RSRC2:TGID_Z_EN: 1
; COMPUTE_PGM_RSRC2:TIDIG_COMP_CNT: 1
	.section	.text._ZN9rocsolver6v33100L16orgl2_init_identIdPdEEviiiT0_iil,"axG",@progbits,_ZN9rocsolver6v33100L16orgl2_init_identIdPdEEviiiT0_iil,comdat
	.globl	_ZN9rocsolver6v33100L16orgl2_init_identIdPdEEviiiT0_iil ; -- Begin function _ZN9rocsolver6v33100L16orgl2_init_identIdPdEEviiiT0_iil
	.p2align	8
	.type	_ZN9rocsolver6v33100L16orgl2_init_identIdPdEEviiiT0_iil,@function
_ZN9rocsolver6v33100L16orgl2_init_identIdPdEEviiiT0_iil: ; @_ZN9rocsolver6v33100L16orgl2_init_identIdPdEEviiiT0_iil
; %bb.0:
	s_load_dword s9, s[4:5], 0x34
	s_load_dwordx4 s[0:3], s[4:5], 0x0
	s_waitcnt lgkmcnt(0)
	s_lshr_b32 s3, s9, 16
	s_and_b32 s9, s9, 0xffff
	s_mul_i32 s7, s7, s3
	s_mul_i32 s6, s6, s9
	v_add_u32_e32 v1, s7, v1
	v_add_u32_e32 v2, s6, v0
	v_cmp_gt_u32_e32 vcc, s0, v2
	v_cmp_gt_u32_e64 s[0:1], s1, v1
	s_and_b64 s[0:1], vcc, s[0:1]
	s_and_saveexec_b64 s[6:7], s[0:1]
	s_cbranch_execz .LBB82_13
; %bb.1:
	s_load_dwordx2 s[0:1], s[4:5], 0x18
	v_cmp_ne_u32_e32 vcc, v2, v1
	s_mov_b64 s[10:11], 0
                                        ; implicit-def: $vgpr0
	s_and_saveexec_b64 s[6:7], vcc
	s_xor_b64 s[6:7], exec, s[6:7]
	s_cbranch_execz .LBB82_9
; %bb.2:
	v_cmp_ge_u32_e32 vcc, v1, v2
                                        ; implicit-def: $vgpr0
	s_and_saveexec_b64 s[12:13], vcc
	s_xor_b64 s[12:13], exec, s[12:13]
	s_cbranch_execz .LBB82_6
; %bb.3:
	v_cmp_le_u32_e32 vcc, s2, v2
	s_mov_b64 s[2:3], 0
                                        ; implicit-def: $vgpr0
	s_and_saveexec_b64 s[10:11], vcc
	s_xor_b64 s[10:11], exec, s[10:11]
	s_cbranch_execz .LBB82_5
; %bb.4:
	s_waitcnt lgkmcnt(0)
	v_mad_u64_u32 v[0:1], s[14:15], v1, s1, v[2:3]
	s_mov_b64 s[2:3], exec
.LBB82_5:
	s_or_b64 exec, exec, s[10:11]
	s_and_b64 s[10:11], s[2:3], exec
                                        ; implicit-def: $vgpr2
                                        ; implicit-def: $vgpr1
.LBB82_6:
	s_andn2_saveexec_b64 s[2:3], s[12:13]
	s_cbranch_execz .LBB82_8
; %bb.7:
	s_waitcnt lgkmcnt(0)
	v_mad_u64_u32 v[0:1], s[12:13], v1, s1, v[2:3]
	s_or_b64 s[10:11], s[10:11], exec
.LBB82_8:
	s_or_b64 exec, exec, s[2:3]
	s_and_b64 s[10:11], s[10:11], exec
                                        ; implicit-def: $vgpr1
.LBB82_9:
	s_or_saveexec_b64 s[2:3], s[6:7]
	v_mov_b32_e32 v2, 0
	v_mov_b32_e32 v3, 0
	s_xor_b64 exec, exec, s[2:3]
	s_cbranch_execz .LBB82_11
; %bb.10:
	s_waitcnt lgkmcnt(0)
	v_mad_u64_u32 v[0:1], s[6:7], v1, s1, v[1:2]
	v_mov_b32_e32 v2, 0
	v_mov_b32_e32 v3, 0x3ff00000
	s_or_b64 s[10:11], s[10:11], exec
.LBB82_11:
	s_or_b64 exec, exec, s[2:3]
	s_and_b64 exec, exec, s[10:11]
	s_cbranch_execz .LBB82_13
; %bb.12:
	s_load_dwordx2 s[2:3], s[4:5], 0x20
	s_load_dwordx2 s[6:7], s[4:5], 0x10
	s_waitcnt lgkmcnt(0)
	s_ashr_i32 s1, s0, 31
	v_mov_b32_e32 v1, 0
	v_lshlrev_b64 v[0:1], 3, v[0:1]
	s_mul_i32 s3, s3, s8
	s_mul_hi_u32 s4, s2, s8
	s_mul_i32 s2, s2, s8
	s_add_i32 s3, s4, s3
	s_lshl_b64 s[2:3], s[2:3], 3
	s_add_u32 s2, s6, s2
	s_addc_u32 s3, s7, s3
	s_lshl_b64 s[0:1], s[0:1], 3
	s_add_u32 s0, s2, s0
	s_addc_u32 s1, s3, s1
	v_mov_b32_e32 v4, s1
	v_add_co_u32_e32 v0, vcc, s0, v0
	v_addc_co_u32_e32 v1, vcc, v4, v1, vcc
	global_store_dwordx2 v[0:1], v[2:3], off
.LBB82_13:
	s_endpgm
	.section	.rodata,"a",@progbits
	.p2align	6, 0x0
	.amdhsa_kernel _ZN9rocsolver6v33100L16orgl2_init_identIdPdEEviiiT0_iil
		.amdhsa_group_segment_fixed_size 0
		.amdhsa_private_segment_fixed_size 0
		.amdhsa_kernarg_size 296
		.amdhsa_user_sgpr_count 6
		.amdhsa_user_sgpr_private_segment_buffer 1
		.amdhsa_user_sgpr_dispatch_ptr 0
		.amdhsa_user_sgpr_queue_ptr 0
		.amdhsa_user_sgpr_kernarg_segment_ptr 1
		.amdhsa_user_sgpr_dispatch_id 0
		.amdhsa_user_sgpr_flat_scratch_init 0
		.amdhsa_user_sgpr_private_segment_size 0
		.amdhsa_uses_dynamic_stack 0
		.amdhsa_system_sgpr_private_segment_wavefront_offset 0
		.amdhsa_system_sgpr_workgroup_id_x 1
		.amdhsa_system_sgpr_workgroup_id_y 1
		.amdhsa_system_sgpr_workgroup_id_z 1
		.amdhsa_system_sgpr_workgroup_info 0
		.amdhsa_system_vgpr_workitem_id 1
		.amdhsa_next_free_vgpr 5
		.amdhsa_next_free_sgpr 16
		.amdhsa_reserve_vcc 1
		.amdhsa_reserve_flat_scratch 0
		.amdhsa_float_round_mode_32 0
		.amdhsa_float_round_mode_16_64 0
		.amdhsa_float_denorm_mode_32 3
		.amdhsa_float_denorm_mode_16_64 3
		.amdhsa_dx10_clamp 1
		.amdhsa_ieee_mode 1
		.amdhsa_fp16_overflow 0
		.amdhsa_exception_fp_ieee_invalid_op 0
		.amdhsa_exception_fp_denorm_src 0
		.amdhsa_exception_fp_ieee_div_zero 0
		.amdhsa_exception_fp_ieee_overflow 0
		.amdhsa_exception_fp_ieee_underflow 0
		.amdhsa_exception_fp_ieee_inexact 0
		.amdhsa_exception_int_div_zero 0
	.end_amdhsa_kernel
	.section	.text._ZN9rocsolver6v33100L16orgl2_init_identIdPdEEviiiT0_iil,"axG",@progbits,_ZN9rocsolver6v33100L16orgl2_init_identIdPdEEviiiT0_iil,comdat
.Lfunc_end82:
	.size	_ZN9rocsolver6v33100L16orgl2_init_identIdPdEEviiiT0_iil, .Lfunc_end82-_ZN9rocsolver6v33100L16orgl2_init_identIdPdEEviiiT0_iil
                                        ; -- End function
	.set _ZN9rocsolver6v33100L16orgl2_init_identIdPdEEviiiT0_iil.num_vgpr, 5
	.set _ZN9rocsolver6v33100L16orgl2_init_identIdPdEEviiiT0_iil.num_agpr, 0
	.set _ZN9rocsolver6v33100L16orgl2_init_identIdPdEEviiiT0_iil.numbered_sgpr, 16
	.set _ZN9rocsolver6v33100L16orgl2_init_identIdPdEEviiiT0_iil.num_named_barrier, 0
	.set _ZN9rocsolver6v33100L16orgl2_init_identIdPdEEviiiT0_iil.private_seg_size, 0
	.set _ZN9rocsolver6v33100L16orgl2_init_identIdPdEEviiiT0_iil.uses_vcc, 1
	.set _ZN9rocsolver6v33100L16orgl2_init_identIdPdEEviiiT0_iil.uses_flat_scratch, 0
	.set _ZN9rocsolver6v33100L16orgl2_init_identIdPdEEviiiT0_iil.has_dyn_sized_stack, 0
	.set _ZN9rocsolver6v33100L16orgl2_init_identIdPdEEviiiT0_iil.has_recursion, 0
	.set _ZN9rocsolver6v33100L16orgl2_init_identIdPdEEviiiT0_iil.has_indirect_call, 0
	.section	.AMDGPU.csdata,"",@progbits
; Kernel info:
; codeLenInByte = 352
; TotalNumSgprs: 20
; NumVgprs: 5
; ScratchSize: 0
; MemoryBound: 0
; FloatMode: 240
; IeeeMode: 1
; LDSByteSize: 0 bytes/workgroup (compile time only)
; SGPRBlocks: 2
; VGPRBlocks: 1
; NumSGPRsForWavesPerEU: 20
; NumVGPRsForWavesPerEU: 5
; Occupancy: 10
; WaveLimiterHint : 0
; COMPUTE_PGM_RSRC2:SCRATCH_EN: 0
; COMPUTE_PGM_RSRC2:USER_SGPR: 6
; COMPUTE_PGM_RSRC2:TRAP_HANDLER: 0
; COMPUTE_PGM_RSRC2:TGID_X_EN: 1
; COMPUTE_PGM_RSRC2:TGID_Y_EN: 1
; COMPUTE_PGM_RSRC2:TGID_Z_EN: 1
; COMPUTE_PGM_RSRC2:TIDIG_COMP_CNT: 1
	.section	.text._ZN9rocsolver6v33100L6iota_nI19rocblas_complex_numIfEEEvPT_jS4_,"axG",@progbits,_ZN9rocsolver6v33100L6iota_nI19rocblas_complex_numIfEEEvPT_jS4_,comdat
	.globl	_ZN9rocsolver6v33100L6iota_nI19rocblas_complex_numIfEEEvPT_jS4_ ; -- Begin function _ZN9rocsolver6v33100L6iota_nI19rocblas_complex_numIfEEEvPT_jS4_
	.p2align	8
	.type	_ZN9rocsolver6v33100L6iota_nI19rocblas_complex_numIfEEEvPT_jS4_,@function
_ZN9rocsolver6v33100L6iota_nI19rocblas_complex_numIfEEEvPT_jS4_: ; @_ZN9rocsolver6v33100L6iota_nI19rocblas_complex_numIfEEEvPT_jS4_
; %bb.0:
	s_load_dword s0, s[4:5], 0x8
	s_waitcnt lgkmcnt(0)
	v_cmp_gt_u32_e32 vcc, s0, v0
	s_and_saveexec_b64 s[0:1], vcc
	s_cbranch_execz .LBB83_2
; %bb.1:
	s_load_dwordx2 s[0:1], s[4:5], 0xc
	s_load_dwordx2 s[2:3], s[4:5], 0x0
	v_cvt_f32_ubyte0_e32 v1, v0
	v_lshlrev_b32_e32 v0, 3, v0
	s_waitcnt lgkmcnt(0)
	v_add_f32_e32 v1, s0, v1
	v_add_f32_e64 v2, s1, 0
	global_store_dwordx2 v0, v[1:2], s[2:3]
.LBB83_2:
	s_endpgm
	.section	.rodata,"a",@progbits
	.p2align	6, 0x0
	.amdhsa_kernel _ZN9rocsolver6v33100L6iota_nI19rocblas_complex_numIfEEEvPT_jS4_
		.amdhsa_group_segment_fixed_size 0
		.amdhsa_private_segment_fixed_size 0
		.amdhsa_kernarg_size 20
		.amdhsa_user_sgpr_count 6
		.amdhsa_user_sgpr_private_segment_buffer 1
		.amdhsa_user_sgpr_dispatch_ptr 0
		.amdhsa_user_sgpr_queue_ptr 0
		.amdhsa_user_sgpr_kernarg_segment_ptr 1
		.amdhsa_user_sgpr_dispatch_id 0
		.amdhsa_user_sgpr_flat_scratch_init 0
		.amdhsa_user_sgpr_private_segment_size 0
		.amdhsa_uses_dynamic_stack 0
		.amdhsa_system_sgpr_private_segment_wavefront_offset 0
		.amdhsa_system_sgpr_workgroup_id_x 1
		.amdhsa_system_sgpr_workgroup_id_y 0
		.amdhsa_system_sgpr_workgroup_id_z 0
		.amdhsa_system_sgpr_workgroup_info 0
		.amdhsa_system_vgpr_workitem_id 0
		.amdhsa_next_free_vgpr 3
		.amdhsa_next_free_sgpr 6
		.amdhsa_reserve_vcc 1
		.amdhsa_reserve_flat_scratch 0
		.amdhsa_float_round_mode_32 0
		.amdhsa_float_round_mode_16_64 0
		.amdhsa_float_denorm_mode_32 3
		.amdhsa_float_denorm_mode_16_64 3
		.amdhsa_dx10_clamp 1
		.amdhsa_ieee_mode 1
		.amdhsa_fp16_overflow 0
		.amdhsa_exception_fp_ieee_invalid_op 0
		.amdhsa_exception_fp_denorm_src 0
		.amdhsa_exception_fp_ieee_div_zero 0
		.amdhsa_exception_fp_ieee_overflow 0
		.amdhsa_exception_fp_ieee_underflow 0
		.amdhsa_exception_fp_ieee_inexact 0
		.amdhsa_exception_int_div_zero 0
	.end_amdhsa_kernel
	.section	.text._ZN9rocsolver6v33100L6iota_nI19rocblas_complex_numIfEEEvPT_jS4_,"axG",@progbits,_ZN9rocsolver6v33100L6iota_nI19rocblas_complex_numIfEEEvPT_jS4_,comdat
.Lfunc_end83:
	.size	_ZN9rocsolver6v33100L6iota_nI19rocblas_complex_numIfEEEvPT_jS4_, .Lfunc_end83-_ZN9rocsolver6v33100L6iota_nI19rocblas_complex_numIfEEEvPT_jS4_
                                        ; -- End function
	.set _ZN9rocsolver6v33100L6iota_nI19rocblas_complex_numIfEEEvPT_jS4_.num_vgpr, 3
	.set _ZN9rocsolver6v33100L6iota_nI19rocblas_complex_numIfEEEvPT_jS4_.num_agpr, 0
	.set _ZN9rocsolver6v33100L6iota_nI19rocblas_complex_numIfEEEvPT_jS4_.numbered_sgpr, 6
	.set _ZN9rocsolver6v33100L6iota_nI19rocblas_complex_numIfEEEvPT_jS4_.num_named_barrier, 0
	.set _ZN9rocsolver6v33100L6iota_nI19rocblas_complex_numIfEEEvPT_jS4_.private_seg_size, 0
	.set _ZN9rocsolver6v33100L6iota_nI19rocblas_complex_numIfEEEvPT_jS4_.uses_vcc, 1
	.set _ZN9rocsolver6v33100L6iota_nI19rocblas_complex_numIfEEEvPT_jS4_.uses_flat_scratch, 0
	.set _ZN9rocsolver6v33100L6iota_nI19rocblas_complex_numIfEEEvPT_jS4_.has_dyn_sized_stack, 0
	.set _ZN9rocsolver6v33100L6iota_nI19rocblas_complex_numIfEEEvPT_jS4_.has_recursion, 0
	.set _ZN9rocsolver6v33100L6iota_nI19rocblas_complex_numIfEEEvPT_jS4_.has_indirect_call, 0
	.section	.AMDGPU.csdata,"",@progbits
; Kernel info:
; codeLenInByte = 76
; TotalNumSgprs: 10
; NumVgprs: 3
; ScratchSize: 0
; MemoryBound: 0
; FloatMode: 240
; IeeeMode: 1
; LDSByteSize: 0 bytes/workgroup (compile time only)
; SGPRBlocks: 1
; VGPRBlocks: 0
; NumSGPRsForWavesPerEU: 10
; NumVGPRsForWavesPerEU: 3
; Occupancy: 10
; WaveLimiterHint : 0
; COMPUTE_PGM_RSRC2:SCRATCH_EN: 0
; COMPUTE_PGM_RSRC2:USER_SGPR: 6
; COMPUTE_PGM_RSRC2:TRAP_HANDLER: 0
; COMPUTE_PGM_RSRC2:TGID_X_EN: 1
; COMPUTE_PGM_RSRC2:TGID_Y_EN: 0
; COMPUTE_PGM_RSRC2:TGID_Z_EN: 0
; COMPUTE_PGM_RSRC2:TIDIG_COMP_CNT: 0
	.section	.text._ZN9rocsolver6v33100L16syev_scalar_caseI19rocblas_complex_numIfEfPS3_TnNSt9enable_ifIX18rocblas_is_complexIT_EEiE4typeELi0EEEv14rocblas_evect_T1_lPT0_li,"axG",@progbits,_ZN9rocsolver6v33100L16syev_scalar_caseI19rocblas_complex_numIfEfPS3_TnNSt9enable_ifIX18rocblas_is_complexIT_EEiE4typeELi0EEEv14rocblas_evect_T1_lPT0_li,comdat
	.globl	_ZN9rocsolver6v33100L16syev_scalar_caseI19rocblas_complex_numIfEfPS3_TnNSt9enable_ifIX18rocblas_is_complexIT_EEiE4typeELi0EEEv14rocblas_evect_T1_lPT0_li ; -- Begin function _ZN9rocsolver6v33100L16syev_scalar_caseI19rocblas_complex_numIfEfPS3_TnNSt9enable_ifIX18rocblas_is_complexIT_EEiE4typeELi0EEEv14rocblas_evect_T1_lPT0_li
	.p2align	8
	.type	_ZN9rocsolver6v33100L16syev_scalar_caseI19rocblas_complex_numIfEfPS3_TnNSt9enable_ifIX18rocblas_is_complexIT_EEiE4typeELi0EEEv14rocblas_evect_T1_lPT0_li,@function
_ZN9rocsolver6v33100L16syev_scalar_caseI19rocblas_complex_numIfEfPS3_TnNSt9enable_ifIX18rocblas_is_complexIT_EEiE4typeELi0EEEv14rocblas_evect_T1_lPT0_li: ; @_ZN9rocsolver6v33100L16syev_scalar_caseI19rocblas_complex_numIfEfPS3_TnNSt9enable_ifIX18rocblas_is_complexIT_EEiE4typeELi0EEEv14rocblas_evect_T1_lPT0_li
; %bb.0:
	s_load_dword s0, s[4:5], 0x3c
	s_load_dword s1, s[4:5], 0x28
	s_waitcnt lgkmcnt(0)
	s_and_b32 s0, s0, 0xffff
	s_mul_i32 s6, s6, s0
	v_add_u32_e32 v2, s6, v0
	v_cmp_gt_i32_e32 vcc, s1, v2
	s_and_saveexec_b64 s[0:1], vcc
	s_cbranch_execz .LBB84_3
; %bb.1:
	s_load_dwordx8 s[8:15], s[4:5], 0x8
	v_ashrrev_i32_e32 v3, 31, v2
	s_waitcnt lgkmcnt(0)
	v_mul_lo_u32 v4, s11, v2
	v_mul_lo_u32 v5, s10, v3
	v_mad_u64_u32 v[0:1], s[0:1], s10, v2, 0
	v_mov_b32_e32 v6, s9
	v_add3_u32 v1, v1, v5, v4
	v_lshlrev_b64 v[0:1], 3, v[0:1]
	v_mul_lo_u32 v5, s15, v2
	v_add_co_u32_e32 v0, vcc, s8, v0
	v_addc_co_u32_e32 v1, vcc, v6, v1, vcc
	global_load_dword v4, v[0:1], off
	v_mul_lo_u32 v6, s14, v3
	v_mad_u64_u32 v[2:3], s[0:1], s14, v2, 0
	s_load_dword s0, s[4:5], 0x0
	v_add3_u32 v3, v3, v6, v5
	v_lshlrev_b64 v[2:3], 2, v[2:3]
	v_mov_b32_e32 v5, s13
	v_add_co_u32_e32 v2, vcc, s12, v2
	v_addc_co_u32_e32 v3, vcc, v5, v3, vcc
	s_waitcnt lgkmcnt(0)
	s_cmpk_lg_i32 s0, 0xd3
	s_waitcnt vmcnt(0)
	global_store_dword v[2:3], v4, off
	s_cbranch_scc1 .LBB84_3
; %bb.2:
	v_mov_b32_e32 v2, 1.0
	v_mov_b32_e32 v3, 0
	global_store_dwordx2 v[0:1], v[2:3], off
.LBB84_3:
	s_endpgm
	.section	.rodata,"a",@progbits
	.p2align	6, 0x0
	.amdhsa_kernel _ZN9rocsolver6v33100L16syev_scalar_caseI19rocblas_complex_numIfEfPS3_TnNSt9enable_ifIX18rocblas_is_complexIT_EEiE4typeELi0EEEv14rocblas_evect_T1_lPT0_li
		.amdhsa_group_segment_fixed_size 0
		.amdhsa_private_segment_fixed_size 0
		.amdhsa_kernarg_size 304
		.amdhsa_user_sgpr_count 6
		.amdhsa_user_sgpr_private_segment_buffer 1
		.amdhsa_user_sgpr_dispatch_ptr 0
		.amdhsa_user_sgpr_queue_ptr 0
		.amdhsa_user_sgpr_kernarg_segment_ptr 1
		.amdhsa_user_sgpr_dispatch_id 0
		.amdhsa_user_sgpr_flat_scratch_init 0
		.amdhsa_user_sgpr_private_segment_size 0
		.amdhsa_uses_dynamic_stack 0
		.amdhsa_system_sgpr_private_segment_wavefront_offset 0
		.amdhsa_system_sgpr_workgroup_id_x 1
		.amdhsa_system_sgpr_workgroup_id_y 0
		.amdhsa_system_sgpr_workgroup_id_z 0
		.amdhsa_system_sgpr_workgroup_info 0
		.amdhsa_system_vgpr_workitem_id 0
		.amdhsa_next_free_vgpr 7
		.amdhsa_next_free_sgpr 16
		.amdhsa_reserve_vcc 1
		.amdhsa_reserve_flat_scratch 0
		.amdhsa_float_round_mode_32 0
		.amdhsa_float_round_mode_16_64 0
		.amdhsa_float_denorm_mode_32 3
		.amdhsa_float_denorm_mode_16_64 3
		.amdhsa_dx10_clamp 1
		.amdhsa_ieee_mode 1
		.amdhsa_fp16_overflow 0
		.amdhsa_exception_fp_ieee_invalid_op 0
		.amdhsa_exception_fp_denorm_src 0
		.amdhsa_exception_fp_ieee_div_zero 0
		.amdhsa_exception_fp_ieee_overflow 0
		.amdhsa_exception_fp_ieee_underflow 0
		.amdhsa_exception_fp_ieee_inexact 0
		.amdhsa_exception_int_div_zero 0
	.end_amdhsa_kernel
	.section	.text._ZN9rocsolver6v33100L16syev_scalar_caseI19rocblas_complex_numIfEfPS3_TnNSt9enable_ifIX18rocblas_is_complexIT_EEiE4typeELi0EEEv14rocblas_evect_T1_lPT0_li,"axG",@progbits,_ZN9rocsolver6v33100L16syev_scalar_caseI19rocblas_complex_numIfEfPS3_TnNSt9enable_ifIX18rocblas_is_complexIT_EEiE4typeELi0EEEv14rocblas_evect_T1_lPT0_li,comdat
.Lfunc_end84:
	.size	_ZN9rocsolver6v33100L16syev_scalar_caseI19rocblas_complex_numIfEfPS3_TnNSt9enable_ifIX18rocblas_is_complexIT_EEiE4typeELi0EEEv14rocblas_evect_T1_lPT0_li, .Lfunc_end84-_ZN9rocsolver6v33100L16syev_scalar_caseI19rocblas_complex_numIfEfPS3_TnNSt9enable_ifIX18rocblas_is_complexIT_EEiE4typeELi0EEEv14rocblas_evect_T1_lPT0_li
                                        ; -- End function
	.set _ZN9rocsolver6v33100L16syev_scalar_caseI19rocblas_complex_numIfEfPS3_TnNSt9enable_ifIX18rocblas_is_complexIT_EEiE4typeELi0EEEv14rocblas_evect_T1_lPT0_li.num_vgpr, 7
	.set _ZN9rocsolver6v33100L16syev_scalar_caseI19rocblas_complex_numIfEfPS3_TnNSt9enable_ifIX18rocblas_is_complexIT_EEiE4typeELi0EEEv14rocblas_evect_T1_lPT0_li.num_agpr, 0
	.set _ZN9rocsolver6v33100L16syev_scalar_caseI19rocblas_complex_numIfEfPS3_TnNSt9enable_ifIX18rocblas_is_complexIT_EEiE4typeELi0EEEv14rocblas_evect_T1_lPT0_li.numbered_sgpr, 16
	.set _ZN9rocsolver6v33100L16syev_scalar_caseI19rocblas_complex_numIfEfPS3_TnNSt9enable_ifIX18rocblas_is_complexIT_EEiE4typeELi0EEEv14rocblas_evect_T1_lPT0_li.num_named_barrier, 0
	.set _ZN9rocsolver6v33100L16syev_scalar_caseI19rocblas_complex_numIfEfPS3_TnNSt9enable_ifIX18rocblas_is_complexIT_EEiE4typeELi0EEEv14rocblas_evect_T1_lPT0_li.private_seg_size, 0
	.set _ZN9rocsolver6v33100L16syev_scalar_caseI19rocblas_complex_numIfEfPS3_TnNSt9enable_ifIX18rocblas_is_complexIT_EEiE4typeELi0EEEv14rocblas_evect_T1_lPT0_li.uses_vcc, 1
	.set _ZN9rocsolver6v33100L16syev_scalar_caseI19rocblas_complex_numIfEfPS3_TnNSt9enable_ifIX18rocblas_is_complexIT_EEiE4typeELi0EEEv14rocblas_evect_T1_lPT0_li.uses_flat_scratch, 0
	.set _ZN9rocsolver6v33100L16syev_scalar_caseI19rocblas_complex_numIfEfPS3_TnNSt9enable_ifIX18rocblas_is_complexIT_EEiE4typeELi0EEEv14rocblas_evect_T1_lPT0_li.has_dyn_sized_stack, 0
	.set _ZN9rocsolver6v33100L16syev_scalar_caseI19rocblas_complex_numIfEfPS3_TnNSt9enable_ifIX18rocblas_is_complexIT_EEiE4typeELi0EEEv14rocblas_evect_T1_lPT0_li.has_recursion, 0
	.set _ZN9rocsolver6v33100L16syev_scalar_caseI19rocblas_complex_numIfEfPS3_TnNSt9enable_ifIX18rocblas_is_complexIT_EEiE4typeELi0EEEv14rocblas_evect_T1_lPT0_li.has_indirect_call, 0
	.section	.AMDGPU.csdata,"",@progbits
; Kernel info:
; codeLenInByte = 228
; TotalNumSgprs: 20
; NumVgprs: 7
; ScratchSize: 0
; MemoryBound: 0
; FloatMode: 240
; IeeeMode: 1
; LDSByteSize: 0 bytes/workgroup (compile time only)
; SGPRBlocks: 2
; VGPRBlocks: 1
; NumSGPRsForWavesPerEU: 20
; NumVGPRsForWavesPerEU: 7
; Occupancy: 10
; WaveLimiterHint : 0
; COMPUTE_PGM_RSRC2:SCRATCH_EN: 0
; COMPUTE_PGM_RSRC2:USER_SGPR: 6
; COMPUTE_PGM_RSRC2:TRAP_HANDLER: 0
; COMPUTE_PGM_RSRC2:TGID_X_EN: 1
; COMPUTE_PGM_RSRC2:TGID_Y_EN: 0
; COMPUTE_PGM_RSRC2:TGID_Z_EN: 0
; COMPUTE_PGM_RSRC2:TIDIG_COMP_CNT: 0
	.section	.text._ZN9rocsolver6v33100L18syevj_small_kernelI19rocblas_complex_numIfEfPS3_EEv14rocblas_esort_14rocblas_evect_13rocblas_fill_iT1_iilT0_S9_PS9_iPiSA_lSB_PT_,"axG",@progbits,_ZN9rocsolver6v33100L18syevj_small_kernelI19rocblas_complex_numIfEfPS3_EEv14rocblas_esort_14rocblas_evect_13rocblas_fill_iT1_iilT0_S9_PS9_iPiSA_lSB_PT_,comdat
	.globl	_ZN9rocsolver6v33100L18syevj_small_kernelI19rocblas_complex_numIfEfPS3_EEv14rocblas_esort_14rocblas_evect_13rocblas_fill_iT1_iilT0_S9_PS9_iPiSA_lSB_PT_ ; -- Begin function _ZN9rocsolver6v33100L18syevj_small_kernelI19rocblas_complex_numIfEfPS3_EEv14rocblas_esort_14rocblas_evect_13rocblas_fill_iT1_iilT0_S9_PS9_iPiSA_lSB_PT_
	.p2align	8
	.type	_ZN9rocsolver6v33100L18syevj_small_kernelI19rocblas_complex_numIfEfPS3_EEv14rocblas_esort_14rocblas_evect_13rocblas_fill_iT1_iilT0_S9_PS9_iPiSA_lSB_PT_,@function
_ZN9rocsolver6v33100L18syevj_small_kernelI19rocblas_complex_numIfEfPS3_EEv14rocblas_esort_14rocblas_evect_13rocblas_fill_iT1_iilT0_S9_PS9_iPiSA_lSB_PT_: ; @_ZN9rocsolver6v33100L18syevj_small_kernelI19rocblas_complex_numIfEfPS3_EEv14rocblas_esort_14rocblas_evect_13rocblas_fill_iT1_iilT0_S9_PS9_iPiSA_lSB_PT_
; %bb.0:
	s_load_dwordx8 s[20:27], s[4:5], 0x0
	s_load_dwordx2 s[0:1], s[4:5], 0x20
	s_load_dwordx2 s[8:9], s[4:5], 0x60
	s_ashr_i32 s45, s7, 31
	s_mov_b32 s44, s7
	s_waitcnt lgkmcnt(0)
	s_lshr_b32 s2, s23, 31
	s_add_i32 s2, s23, s2
	s_and_b32 s2, s2, -2
	s_sub_i32 s56, s23, s2
	s_add_i32 s56, s56, s23
	s_mul_hi_u32 s6, s0, s7
	s_mul_i32 s7, s0, s45
	s_lshr_b32 s2, s56, 31
	s_add_i32 s6, s6, s7
	s_mul_i32 s1, s1, s44
	s_add_i32 s2, s56, s2
	s_add_i32 s1, s6, s1
	s_mul_i32 s0, s0, s44
	s_ashr_i32 s28, s2, 1
	s_ashr_i32 s3, s26, 31
	s_lshl_b64 s[6:7], s[0:1], 3
	s_mov_b32 s2, s26
	s_add_u32 s0, s24, s6
	s_addc_u32 s1, s25, s7
	s_lshl_b64 s[16:17], s[2:3], 3
	s_add_u32 s18, s0, s16
	s_mul_i32 s0, s23, s44
	s_mul_i32 s0, s0, s23
	s_addc_u32 s19, s1, s17
	s_ashr_i32 s1, s0, 31
	s_lshl_b64 s[10:11], s[0:1], 3
	s_add_u32 s34, s8, s10
	s_addc_u32 s35, s9, s11
	s_min_i32 s33, s28, 0x100
	s_abs_i32 s0, s33
	v_cvt_f32_u32_e32 v1, s0
	s_sub_i32 s1, 0, s0
	s_ashr_i32 s57, s33, 31
	s_load_dwordx8 s[36:43], s[4:5], 0x40
	v_rcp_iflag_f32_e32 v1, v1
	v_mul_f32_e32 v1, 0x4f7ffffe, v1
	v_cvt_u32_f32_e32 v1, v1
	v_readfirstlane_b32 s2, v1
	s_mul_i32 s1, s1, s2
	s_mul_hi_u32 s1, s2, s1
	s_add_i32 s2, s2, s1
	v_mul_hi_u32 v1, v0, s2
	s_lshr_b32 s1, s2, 22
	s_mul_i32 s3, s1, s0
	s_sub_i32 s3, 0x400, s3
	v_mul_lo_u32 v2, v1, s0
	v_add_u32_e32 v3, 1, v1
	s_add_i32 s12, s1, 1
	s_sub_i32 s13, s3, s0
	v_sub_u32_e32 v2, v0, v2
	v_cmp_le_u32_e32 vcc, s0, v2
	v_cndmask_b32_e32 v1, v1, v3, vcc
	v_subrev_u32_e32 v3, s0, v2
	v_cndmask_b32_e32 v2, v2, v3, vcc
	s_cmp_ge_u32 s3, s0
	v_add_u32_e32 v3, 1, v1
	v_cmp_le_u32_e32 vcc, s0, v2
	s_cselect_b32 s1, s12, s1
	v_cndmask_b32_e32 v1, v1, v3, vcc
	s_cselect_b32 s2, s13, s3
	s_add_i32 s3, s1, 1
	v_xor_b32_e32 v22, s57, v1
	s_cmp_ge_u32 s2, s0
	v_subrev_u32_e32 v1, s57, v22
	s_cselect_b32 s1, s3, s1
	v_mul_lo_u32 v21, v1, s33
	s_xor_b32 s1, s1, s57
	s_sub_i32 s30, s1, s57
	s_min_i32 s26, s28, s30
	s_lshl_b32 s59, s26, 2
	v_sub_u32_e32 v23, v0, v21
	s_add_i32 s58, s59, 0
	v_cmp_eq_u32_e64 s[0:1], 0, v23
	s_and_saveexec_b64 s[12:13], s[0:1]
	s_cbranch_execz .LBB85_32
; %bb.1:
	s_cmpk_eq_i32 s22, 0x79
	v_cmp_gt_i32_e64 s[2:3], s23, v1
	s_cbranch_scc1 .LBB85_13
; %bb.2:
	v_mov_b32_e32 v24, 0
	v_mov_b32_e32 v25, 0
	s_and_saveexec_b64 s[14:15], s[2:3]
	s_cbranch_execz .LBB85_15
; %bb.3:
	s_cmpk_lg_i32 s21, 0xd5
	s_cselect_b64 s[50:51], -1, 0
	s_add_u32 s46, s8, s10
	s_addc_u32 s47, s9, s11
	s_add_u32 s60, s46, 4
	s_addc_u32 s61, s47, 0
	;; [unrolled: 2-line block ×3, first 2 shown]
	v_ashrrev_i32_e32 v2, 31, v1
	v_lshlrev_b64 v[7:8], 3, v[1:2]
	s_add_u32 s6, s24, s6
	s_addc_u32 s7, s25, s7
	v_mov_b32_e32 v2, s7
	v_add_co_u32_e32 v6, vcc, s6, v7
	s_ashr_i32 s31, s30, 31
	v_mov_b32_e32 v4, s30
	v_addc_co_u32_e32 v2, vcc, v2, v8, vcc
	s_ashr_i32 s29, s28, 31
	v_mov_b32_e32 v5, s31
	v_cmp_lt_i64_e32 vcc, s[28:29], v[4:5]
	v_add_co_u32_e64 v5, s[6:7], 4, v6
	v_addc_co_u32_e64 v6, s[6:7], 0, v2, s[6:7]
	s_and_b64 s[6:7], vcc, exec
	v_mov_b32_e32 v2, s47
	v_add_co_u32_e32 v4, vcc, s46, v7
	v_mul_lo_u32 v26, s27, v1
	v_mul_lo_u32 v3, s23, v1
	s_cselect_b32 s7, s29, s31
	s_cselect_b32 s6, s28, s30
	v_addc_co_u32_e32 v2, vcc, v2, v8, vcc
	s_lshl_b64 s[16:17], s[6:7], 3
	s_ashr_i32 s7, s27, 31
	s_mov_b32 s6, s27
	v_add_co_u32_e32 v7, vcc, 4, v4
	s_lshl_b64 s[24:25], s[6:7], 3
	v_addc_co_u32_e32 v8, vcc, 0, v2, vcc
	s_ashr_i32 s7, s23, 31
	s_mov_b32 s6, s23
	v_mov_b32_e32 v10, 0
	v_cndmask_b32_e64 v2, 0, 1, s[50:51]
	s_mul_i32 s22, s27, s26
	s_mul_i32 s62, s23, s26
	s_lshl_b64 s[46:47], s[6:7], 3
	s_mov_b64 s[48:49], 0
	v_mov_b32_e32 v27, s19
	v_mov_b32_e32 v28, s35
	v_cmp_ne_u32_e64 s[6:7], 1, v2
	s_mov_b32 s50, 0
	v_mov_b32_e32 v9, 1.0
	v_mov_b32_e32 v2, v1
	v_mov_b32_e32 v24, v10
	;; [unrolled: 1-line block ×3, first 2 shown]
	s_branch .LBB85_6
.LBB85_4:                               ;   in Loop: Header=BB85_6 Depth=1
	s_or_b64 exec, exec, s[54:55]
.LBB85_5:                               ;   in Loop: Header=BB85_6 Depth=1
	s_or_b64 exec, exec, s[52:53]
	v_mul_f32_e32 v4, v12, v12
	v_fmac_f32_e32 v4, v11, v11
	v_add_f32_e32 v25, v25, v4
	v_mov_b32_e32 v4, s17
	v_add_co_u32_e32 v5, vcc, s16, v5
	v_add_u32_e32 v2, s26, v2
	v_addc_co_u32_e32 v6, vcc, v6, v4, vcc
	v_cmp_le_i32_e32 vcc, s23, v2
	s_or_b64 s[48:49], vcc, s[48:49]
	v_add_co_u32_e32 v7, vcc, s16, v7
	v_add_u32_e32 v26, s22, v26
	v_add_u32_e32 v3, s62, v3
	v_addc_co_u32_e32 v8, vcc, v8, v4, vcc
	s_andn2_b64 exec, exec, s[48:49]
	s_cbranch_execz .LBB85_14
.LBB85_6:                               ; =>This Loop Header: Depth=1
                                        ;     Child Loop BB85_11 Depth 2
	v_mad_u64_u32 v[11:12], s[52:53], v2, s27, v[2:3]
	v_mad_u64_u32 v[15:16], s[52:53], v2, s23, v[2:3]
	v_ashrrev_i32_e32 v12, 31, v11
	v_lshlrev_b64 v[11:12], 3, v[11:12]
	v_ashrrev_i32_e32 v16, 31, v15
	v_add_co_u32_e32 v13, vcc, s18, v11
	v_addc_co_u32_e32 v14, vcc, v27, v12, vcc
	global_load_dwordx2 v[11:12], v[13:14], off
	v_lshlrev_b64 v[15:16], 3, v[15:16]
	v_add_co_u32_e32 v15, vcc, s34, v15
	v_addc_co_u32_e32 v16, vcc, v28, v16, vcc
	s_and_b64 vcc, exec, s[6:7]
	s_waitcnt vmcnt(0)
	global_store_dwordx2 v[15:16], v[11:12], off
	s_cbranch_vccnz .LBB85_8
; %bb.7:                                ;   in Loop: Header=BB85_6 Depth=1
	global_store_dwordx2 v[13:14], v[9:10], off
.LBB85_8:                               ;   in Loop: Header=BB85_6 Depth=1
	v_cmp_lt_i32_e32 vcc, 0, v2
	s_and_saveexec_b64 s[52:53], vcc
	s_cbranch_execz .LBB85_5
; %bb.9:                                ;   in Loop: Header=BB85_6 Depth=1
	v_ashrrev_i32_e32 v4, 31, v3
	v_lshlrev_b64 v[13:14], 3, v[3:4]
	v_mov_b32_e32 v4, s61
	v_add_co_u32_e32 v13, vcc, s60, v13
	v_mov_b32_e32 v16, v8
	v_mov_b32_e32 v18, v6
	v_addc_co_u32_e32 v14, vcc, v4, v14, vcc
	s_mov_b32 s29, 0
	s_mov_b64 s[54:55], 0
	v_mov_b32_e32 v15, v7
	v_mov_b32_e32 v17, v5
	s_branch .LBB85_11
.LBB85_10:                              ;   in Loop: Header=BB85_11 Depth=2
	v_mul_f32_e32 v4, v20, v20
	v_add_co_u32_e32 v13, vcc, 8, v13
	v_fmac_f32_e32 v4, v19, v19
	v_addc_co_u32_e32 v14, vcc, 0, v14, vcc
	v_fmac_f32_e32 v24, 2.0, v4
	v_mov_b32_e32 v4, s25
	v_add_co_u32_e32 v17, vcc, s24, v17
	s_add_i32 s29, s29, 1
	v_addc_co_u32_e32 v18, vcc, v18, v4, vcc
	v_cmp_eq_u32_e32 vcc, s29, v2
	v_mov_b32_e32 v4, s47
	s_or_b64 s[54:55], vcc, s[54:55]
	v_add_co_u32_e32 v15, vcc, s46, v15
	v_addc_co_u32_e32 v16, vcc, v16, v4, vcc
	s_andn2_b64 exec, exec, s[54:55]
	s_cbranch_execz .LBB85_4
.LBB85_11:                              ;   Parent Loop BB85_6 Depth=1
                                        ; =>  This Inner Loop Header: Depth=2
	global_load_dwordx2 v[19:20], v[17:18], off offset:-4
	s_and_b64 vcc, exec, s[6:7]
	s_waitcnt vmcnt(0)
	v_xor_b32_e32 v30, 0x80000000, v20
	v_mov_b32_e32 v29, v19
	global_store_dwordx2 v[15:16], v[19:20], off offset:-4
	global_store_dwordx2 v[13:14], v[29:30], off offset:-4
	s_cbranch_vccnz .LBB85_10
; %bb.12:                               ;   in Loop: Header=BB85_11 Depth=2
	v_add_u32_e32 v29, s29, v26
	v_ashrrev_i32_e32 v30, 31, v29
	v_lshlrev_b64 v[29:30], 3, v[29:30]
	s_mov_b32 s51, s50
	v_mov_b32_e32 v31, s50
	v_mov_b32_e32 v4, s19
	v_add_co_u32_e32 v29, vcc, s18, v29
	v_mov_b32_e32 v32, s51
	v_addc_co_u32_e32 v30, vcc, v4, v30, vcc
	global_store_dwordx2 v[17:18], v[31:32], off offset:-4
	global_store_dwordx2 v[29:30], v[31:32], off
	s_branch .LBB85_10
.LBB85_13:
                                        ; implicit-def: $vgpr24
                                        ; implicit-def: $vgpr25
	s_branch .LBB85_16
.LBB85_14:
	s_or_b64 exec, exec, s[48:49]
.LBB85_15:
	s_or_b64 exec, exec, s[14:15]
	s_cbranch_execnz .LBB85_29
.LBB85_16:
	v_mov_b32_e32 v24, 0
	v_mov_b32_e32 v25, 0
	s_and_saveexec_b64 s[6:7], s[2:3]
	s_cbranch_execz .LBB85_28
; %bb.17:
	s_cmpk_lg_i32 s21, 0xd5
	s_cselect_b64 s[2:3], -1, 0
	s_add_i32 s22, s23, -1
	s_add_u32 s14, s8, s10
	s_addc_u32 s15, s9, s11
	v_mul_lo_u32 v2, s23, v1
	s_add_u32 s31, s14, 4
	s_mul_i32 s14, s23, s22
	v_mul_lo_u32 v19, s27, v1
	v_add_u32_e32 v3, s14, v22
	s_mul_i32 s14, s27, s22
	v_subrev_u32_e32 v20, s57, v3
	v_add_u32_e32 v3, s14, v22
	v_subrev_u32_e32 v26, s57, v3
	v_mov_b32_e32 v5, 0
	v_cndmask_b32_e64 v3, 0, 1, s[2:3]
	s_mul_i32 s29, s27, s26
	s_addc_u32 s48, s15, 0
	v_add_u32_e32 v2, s22, v2
	s_mul_i32 s49, s23, s26
	s_mov_b64 s[14:15], 0
	v_mov_b32_e32 v27, s19
	v_mov_b32_e32 v28, s35
	v_cmp_ne_u32_e64 s[2:3], 1, v3
	s_mov_b32 s16, 0
	v_mov_b32_e32 v4, 1.0
	v_mov_b32_e32 v6, v1
	v_mov_b32_e32 v24, v5
	;; [unrolled: 1-line block ×3, first 2 shown]
	s_branch .LBB85_20
.LBB85_18:                              ;   in Loop: Header=BB85_20 Depth=1
	s_or_b64 exec, exec, s[46:47]
.LBB85_19:                              ;   in Loop: Header=BB85_20 Depth=1
	s_or_b64 exec, exec, s[24:25]
	v_mul_f32_e32 v3, v8, v8
	v_add_u32_e32 v6, s26, v6
	v_fmac_f32_e32 v3, v7, v7
	v_cmp_le_i32_e32 vcc, s23, v6
	v_add_f32_e32 v25, v25, v3
	v_add_u32_e32 v19, s29, v19
	v_add_u32_e32 v2, s49, v2
	;; [unrolled: 1-line block ×3, first 2 shown]
	s_or_b64 s[14:15], vcc, s[14:15]
	v_add_u32_e32 v26, s26, v26
	s_andn2_b64 exec, exec, s[14:15]
	s_cbranch_execz .LBB85_27
.LBB85_20:                              ; =>This Loop Header: Depth=1
                                        ;     Child Loop BB85_25 Depth 2
	v_mad_u64_u32 v[7:8], s[24:25], v6, s27, v[6:7]
	v_ashrrev_i32_e32 v8, 31, v7
	v_lshlrev_b64 v[7:8], 3, v[7:8]
	v_add_co_u32_e32 v9, vcc, s18, v7
	v_addc_co_u32_e32 v10, vcc, v27, v8, vcc
	global_load_dwordx2 v[7:8], v[9:10], off
	s_waitcnt vmcnt(0)
	v_mad_u64_u32 v[11:12], s[24:25], v6, s23, v[6:7]
	v_ashrrev_i32_e32 v12, 31, v11
	v_lshlrev_b64 v[11:12], 3, v[11:12]
	v_add_co_u32_e32 v11, vcc, s34, v11
	v_addc_co_u32_e32 v12, vcc, v28, v12, vcc
	s_and_b64 vcc, exec, s[2:3]
	global_store_dwordx2 v[11:12], v[7:8], off
	s_cbranch_vccnz .LBB85_22
; %bb.21:                               ;   in Loop: Header=BB85_20 Depth=1
	global_store_dwordx2 v[9:10], v[4:5], off
.LBB85_22:                              ;   in Loop: Header=BB85_20 Depth=1
	v_cmp_gt_i32_e32 vcc, s22, v6
	s_and_saveexec_b64 s[24:25], vcc
	s_cbranch_execz .LBB85_19
; %bb.23:                               ;   in Loop: Header=BB85_20 Depth=1
	v_ashrrev_i32_e32 v3, 31, v2
	v_lshlrev_b64 v[9:10], 3, v[2:3]
	v_mov_b32_e32 v3, s48
	v_add_co_u32_e32 v9, vcc, s31, v9
	v_addc_co_u32_e32 v10, vcc, v3, v10, vcc
	s_mov_b64 s[46:47], 0
	v_mov_b32_e32 v11, v26
	v_mov_b32_e32 v13, v20
	s_mov_b32 s50, s22
	s_branch .LBB85_25
.LBB85_24:                              ;   in Loop: Header=BB85_25 Depth=2
	v_add_co_u32_e32 v9, vcc, -8, v9
	v_mul_f32_e32 v3, v16, v16
	s_add_i32 s50, s50, -1
	v_addc_co_u32_e32 v10, vcc, -1, v10, vcc
	v_fmac_f32_e32 v3, v15, v15
	v_cmp_le_i32_e32 vcc, s50, v6
	v_fmac_f32_e32 v24, 2.0, v3
	v_subrev_u32_e32 v13, s23, v13
	s_or_b64 s[46:47], vcc, s[46:47]
	v_subrev_u32_e32 v11, s27, v11
	s_andn2_b64 exec, exec, s[46:47]
	s_cbranch_execz .LBB85_18
.LBB85_25:                              ;   Parent Loop BB85_20 Depth=1
                                        ; =>  This Inner Loop Header: Depth=2
	v_ashrrev_i32_e32 v12, 31, v11
	v_lshlrev_b64 v[14:15], 3, v[11:12]
	v_mov_b32_e32 v3, s19
	v_add_co_u32_e32 v17, vcc, s18, v14
	v_addc_co_u32_e32 v18, vcc, v3, v15, vcc
	global_load_dwordx2 v[15:16], v[17:18], off
	v_ashrrev_i32_e32 v14, 31, v13
	v_lshlrev_b64 v[29:30], 3, v[13:14]
	v_mov_b32_e32 v3, s35
	v_add_co_u32_e32 v29, vcc, s34, v29
	v_addc_co_u32_e32 v30, vcc, v3, v30, vcc
	s_and_b64 vcc, exec, s[2:3]
	s_waitcnt vmcnt(0)
	global_store_dwordx2 v[29:30], v[15:16], off
	v_xor_b32_e32 v30, 0x80000000, v16
	v_mov_b32_e32 v29, v15
	global_store_dwordx2 v[9:10], v[29:30], off offset:-4
	s_cbranch_vccnz .LBB85_24
; %bb.26:                               ;   in Loop: Header=BB85_25 Depth=2
	v_add_u32_e32 v29, s50, v19
	v_ashrrev_i32_e32 v30, 31, v29
	v_lshlrev_b64 v[29:30], 3, v[29:30]
	s_mov_b32 s17, s16
	v_mov_b32_e32 v32, s17
	v_mov_b32_e32 v3, s19
	v_add_co_u32_e32 v29, vcc, s18, v29
	v_mov_b32_e32 v31, s16
	v_addc_co_u32_e32 v30, vcc, v3, v30, vcc
	global_store_dwordx2 v[17:18], v[31:32], off
	global_store_dwordx2 v[29:30], v[31:32], off
	s_branch .LBB85_24
.LBB85_27:
	s_or_b64 exec, exec, s[14:15]
.LBB85_28:
	s_or_b64 exec, exec, s[6:7]
.LBB85_29:
	v_lshl_add_u32 v2, v1, 2, 0
	ds_write_b32 v2, v24
	v_lshl_add_u32 v2, v1, 3, s58
	v_mov_b32_e32 v3, 0
	v_cmp_gt_i32_e32 vcc, s28, v1
	ds_write2_b32 v2, v25, v3 offset1:1
	s_and_b64 exec, exec, vcc
	s_cbranch_execz .LBB85_32
; %bb.30:
	s_mul_i32 s2, s26, 12
	v_lshl_add_u32 v2, v22, 2, s2
	s_lshl_b32 s2, s57, 2
	v_subrev_u32_e32 v2, s2, v2
	v_lshlrev_b32_e32 v3, 1, v22
	s_lshl_b32 s2, s57, 1
	s_lshl_b32 s6, s28, 2
	v_add_u32_e32 v2, 0, v2
	v_subrev_u32_e32 v3, s2, v3
	s_lshl_b32 s7, s26, 1
	s_mov_b64 s[2:3], 0
	v_mov_b32_e32 v4, v1
.LBB85_31:                              ; =>This Inner Loop Header: Depth=1
	v_add_u32_e32 v4, s26, v4
	v_cmp_le_i32_e32 vcc, s28, v4
	ds_write_b32 v2, v3
	v_add_u32_e32 v5, 1, v3
	v_add_u32_e32 v6, s6, v2
	;; [unrolled: 1-line block ×4, first 2 shown]
	s_or_b64 s[2:3], vcc, s[2:3]
	ds_write_b32 v6, v5
	s_andn2_b64 exec, exec, s[2:3]
	s_cbranch_execnz .LBB85_31
.LBB85_32:
	s_or_b64 exec, exec, s[12:13]
	s_cmp_gt_i32 s26, 0
	s_cselect_b64 s[24:25], -1, 0
	s_cmp_lt_i32 s26, 1
	s_mov_b32 s2, 0
	s_waitcnt vmcnt(0) lgkmcnt(0)
	s_barrier
	s_cbranch_scc1 .LBB85_37
; %bb.33:
	s_cmp_lt_u32 s26, 8
	s_cbranch_scc1 .LBB85_38
; %bb.34:
	s_and_b32 s2, s26, 0x7ffffff8
	s_mov_b32 s3, 0
	s_mov_b32 s6, 0
	v_mov_b32_e32 v3, 0
	v_mov_b32_e32 v2, 0
	s_mov_b32 s7, s58
.LBB85_35:                              ; =>This Inner Loop Header: Depth=1
	v_mov_b32_e32 v8, s6
	v_mov_b32_e32 v9, s7
	ds_read2_b64 v[4:7], v8 offset1:1
	ds_read2_b32 v[12:13], v9 offset1:2
	ds_read2_b32 v[14:15], v9 offset0:4 offset1:6
	ds_read2_b32 v[16:17], v9 offset0:8 offset1:10
	;; [unrolled: 1-line block ×3, first 2 shown]
	ds_read2_b64 v[8:11], v8 offset0:2 offset1:3
	s_waitcnt lgkmcnt(5)
	v_add_f32_e32 v2, v2, v4
	s_waitcnt lgkmcnt(4)
	v_add_f32_e32 v3, v3, v12
	v_add_f32_e32 v2, v2, v5
	;; [unrolled: 1-line block ×4, first 2 shown]
	s_waitcnt lgkmcnt(3)
	v_add_f32_e32 v3, v3, v14
	v_add_f32_e32 v2, v2, v7
	;; [unrolled: 1-line block ×3, first 2 shown]
	s_waitcnt lgkmcnt(0)
	v_add_f32_e32 v2, v2, v8
	v_add_f32_e32 v3, v3, v16
	;; [unrolled: 1-line block ×4, first 2 shown]
	s_add_i32 s3, s3, 8
	s_add_i32 s7, s7, 64
	;; [unrolled: 1-line block ×3, first 2 shown]
	v_add_f32_e32 v2, v2, v10
	v_add_f32_e32 v3, v3, v18
	s_cmp_lg_u32 s2, s3
	v_add_f32_e32 v2, v2, v11
	v_add_f32_e32 v3, v3, v19
	s_cbranch_scc1 .LBB85_35
; %bb.36:
	s_and_b32 s3, s26, 7
	s_cmp_eq_u32 s3, 0
	s_cbranch_scc0 .LBB85_39
	s_branch .LBB85_41
.LBB85_37:
	v_mov_b32_e32 v3, 0
	v_mov_b32_e32 v2, 0
	s_branch .LBB85_41
.LBB85_38:
	v_mov_b32_e32 v3, 0
	v_mov_b32_e32 v2, 0
	s_and_b32 s3, s26, 7
	s_cmp_eq_u32 s3, 0
	s_cbranch_scc1 .LBB85_41
.LBB85_39:
	s_lshl_b32 s6, s2, 3
	s_add_i32 s6, s6, s59
	s_lshl_b32 s2, s2, 2
	s_add_i32 s6, s6, 0
	s_add_i32 s2, s2, 0
.LBB85_40:                              ; =>This Inner Loop Header: Depth=1
	v_mov_b32_e32 v4, s2
	v_mov_b32_e32 v5, s6
	ds_read_b32 v4, v4
	ds_read_b32 v5, v5
	s_add_i32 s6, s6, 8
	s_add_i32 s2, s2, 4
	s_add_i32 s3, s3, -1
	s_cmp_lg_u32 s3, 0
	s_waitcnt lgkmcnt(1)
	v_add_f32_e32 v2, v2, v4
	s_waitcnt lgkmcnt(0)
	v_add_f32_e32 v3, v3, v5
	s_cbranch_scc1 .LBB85_40
.LBB85_41:
	s_load_dwordx2 s[2:3], s[4:5], 0x28
	s_load_dword s22, s[4:5], 0x38
	v_add_f32_e32 v3, v3, v2
	s_mov_b32 s29, 0
	s_waitcnt lgkmcnt(0)
	v_mul_f32_e32 v3, s2, v3
	s_cmp_gt_i32 s22, 0
	v_mul_f32_e32 v17, s2, v3
	s_cselect_b64 s[6:7], -1, 0
	v_cmp_gt_f32_e32 vcc, v2, v17
	s_and_b64 s[6:7], s[6:7], vcc
	s_andn2_b64 vcc, exec, s[6:7]
	s_cbranch_vccnz .LBB85_131
; %bb.42:
	v_mov_b32_e32 v2, 0x800000
	v_div_scale_f32 v3, s[6:7], s3, s3, v2
	s_mov_b32 s2, 0x800000
	v_mov_b32_e32 v4, s3
	v_div_scale_f32 v4, vcc, s2, v4, s2
	s_abs_i32 s7, s26
	v_cvt_f32_u32_e32 v5, s7
	s_lshl_b32 s2, s26, 3
	s_lshl_b32 s6, s28, 2
	s_add_i32 s76, s58, s2
	v_rcp_iflag_f32_e32 v5, v5
	s_sub_i32 s13, 0, s7
	s_add_i32 s77, s76, s6
	s_add_i32 s12, s28, -1
	v_mul_f32_e32 v5, 0x4f7ffffe, v5
	v_rcp_f32_e32 v6, v3
	v_cvt_u32_f32_e32 v5, v5
	s_xor_b32 s2, s12, s26
	s_abs_i32 s12, s12
	v_fma_f32 v7, -v3, v6, 1.0
	v_fmac_f32_e32 v6, v7, v6
	v_mul_f32_e32 v7, v4, v6
	v_fma_f32 v8, -v3, v7, v4
	v_fmac_f32_e32 v7, v8, v6
	v_fma_f32 v3, -v3, v7, v4
	v_div_fmas_f32 v3, v3, v6, v7
	v_readfirstlane_b32 s6, v5
	s_mul_i32 s13, s13, s6
	s_mul_hi_u32 s13, s6, s13
	s_add_i32 s6, s6, s13
	s_mul_hi_u32 s6, s12, s6
	s_mul_i32 s13, s6, s7
	s_sub_i32 s12, s12, s13
	s_ashr_i32 s2, s2, 31
	s_add_i32 s14, s6, 1
	s_sub_i32 s13, s12, s7
	s_cmp_ge_u32 s12, s7
	s_cselect_b32 s6, s14, s6
	s_cselect_b32 s12, s13, s12
	v_lshl_add_u32 v20, v1, 3, s58
	s_mov_b32 s46, 0
	v_div_fixup_f32 v18, v3, s3, v2
	s_add_i32 s3, s6, 1
	s_cmp_ge_u32 s12, s7
	s_cselect_b32 s3, s3, s6
	s_xor_b32 s3, s3, s2
	s_sub_i32 s78, s3, s2
	s_add_i32 s79, s56, -1
	s_cmp_gt_i32 s56, 1
	s_cselect_b64 s[12:13], -1, 0
	s_cmp_gt_i32 s78, -1
	s_cselect_b64 s[48:49], -1, 0
	s_add_i32 s80, s23, 1
	s_cmpk_lg_i32 s21, 0xd5
	s_cselect_b64 s[50:51], -1, 0
	s_and_b32 s81, s26, 7
	s_cmp_gt_u32 s26, 7
	s_cselect_b64 s[52:53], -1, 0
	s_and_b32 s82, s26, 0x7ffffff8
	s_cmp_lg_u32 s81, 0
	v_sub_u32_e32 v2, s57, v22
	s_cselect_b64 s[54:55], -1, 0
	v_mad_u64_u32 v[3:4], s[14:15], s33, v2, v[0:1]
	s_lshl_b32 s56, s33, 1
	v_lshlrev_b32_e32 v0, 1, v0
	v_lshlrev_b32_e32 v2, 1, v21
	s_ashr_i32 s57, s56, 31
	s_mul_i32 s14, s23, s33
	v_sub_u32_e32 v0, v0, v2
	s_lshl_b64 s[58:59], s[56:57], 3
	s_lshl_b32 s57, s14, 1
	v_ashrrev_i32_e32 v2, 31, v1
	v_lshlrev_b64 v[4:5], 3, v[1:2]
	s_add_u32 s8, s8, s10
	s_addc_u32 s9, s9, s11
	v_mov_b32_e32 v2, s9
	v_add_co_u32_e32 v6, vcc, s8, v4
	v_addc_co_u32_e32 v2, vcc, v2, v5, vcc
	s_ashr_i32 s31, s30, 31
	v_mov_b32_e32 v4, s30
	s_ashr_i32 s29, s28, 31
	v_mov_b32_e32 v5, s31
	v_cmp_lt_i64_e32 vcc, s[28:29], v[4:5]
	v_or_b32_e32 v21, 1, v0
	v_add_co_u32_e64 v4, s[8:9], 4, v6
	v_cmp_gt_i32_e64 s[2:3], s28, v23
	v_mul_lo_u32 v22, s23, v21
	v_mul_lo_u32 v23, s23, v0
	v_addc_co_u32_e64 v5, s[8:9], 0, v2, s[8:9]
	s_and_b64 s[8:9], vcc, exec
	s_cselect_b32 s9, s29, s31
	s_cselect_b32 s8, s28, s30
	s_lshl_b64 s[60:61], s[8:9], 3
	s_ashr_i32 s9, s23, 31
	s_mov_b32 s8, s23
	v_cndmask_b32_e64 v2, 0, 1, s[12:13]
	v_lshl_add_u32 v19, v1, 2, 0
	v_cmp_gt_i32_e64 s[6:7], s23, v1
	s_lshl_b64 s[62:63], s[8:9], 3
	s_mov_b32 s31, 0xf800000
	v_mov_b32_e32 v24, 0x260
	s_mov_b32 s83, 0x7f800000
	v_cmp_ne_u32_e64 s[8:9], 1, v2
	s_mov_b32 s29, 0
                                        ; implicit-def: $vgpr25
                                        ; implicit-def: $vgpr7
                                        ; implicit-def: $vgpr13
                                        ; implicit-def: $vgpr12
	s_branch .LBB85_45
.LBB85_43:                              ;   in Loop: Header=BB85_45 Depth=1
	v_mov_b32_e32 v2, 0
.LBB85_44:                              ;   in Loop: Header=BB85_45 Depth=1
	s_add_i32 s29, s29, 1
	s_cmp_lt_i32 s29, s22
	s_cselect_b64 s[10:11], -1, 0
	v_cmp_gt_f32_e32 vcc, v2, v17
	s_and_b64 s[10:11], s[10:11], vcc
	s_and_b64 vcc, exec, s[10:11]
	s_cbranch_vccz .LBB85_131
.LBB85_45:                              ; =>This Loop Header: Depth=1
                                        ;     Child Loop BB85_48 Depth 2
                                        ;       Child Loop BB85_50 Depth 3
                                        ;         Child Loop BB85_85 Depth 4
                                        ;         Child Loop BB85_95 Depth 4
                                        ;     Child Loop BB85_117 Depth 2
                                        ;       Child Loop BB85_119 Depth 3
                                        ;     Child Loop BB85_126 Depth 2
                                        ;     Child Loop BB85_130 Depth 2
	s_and_b64 vcc, exec, s[8:9]
	s_cbranch_vccnz .LBB85_113
; %bb.46:                               ;   in Loop: Header=BB85_45 Depth=1
	s_mov_b32 s84, 0
	s_branch .LBB85_48
.LBB85_47:                              ;   in Loop: Header=BB85_48 Depth=2
	s_add_i32 s84, s84, 1
	s_cmp_eq_u32 s84, s79
	s_cbranch_scc1 .LBB85_113
.LBB85_48:                              ;   Parent Loop BB85_45 Depth=1
                                        ; =>  This Loop Header: Depth=2
                                        ;       Child Loop BB85_50 Depth 3
                                        ;         Child Loop BB85_85 Depth 4
                                        ;         Child Loop BB85_95 Depth 4
	s_andn2_b64 vcc, exec, s[48:49]
	s_cbranch_vccnz .LBB85_47
; %bb.49:                               ;   in Loop: Header=BB85_48 Depth=2
	s_mov_b32 s85, 0
.LBB85_50:                              ;   Parent Loop BB85_45 Depth=1
                                        ;     Parent Loop BB85_48 Depth=2
                                        ; =>    This Loop Header: Depth=3
                                        ;         Child Loop BB85_85 Depth 4
                                        ;         Child Loop BB85_95 Depth 4
	s_mul_i32 s10, s85, s26
	v_add_u32_e32 v27, s10, v1
	v_cmp_gt_i32_e64 s[10:11], s28, v27
	v_mov_b32_e32 v8, s23
	s_and_saveexec_b64 s[12:13], s[10:11]
; %bb.51:                               ;   in Loop: Header=BB85_50 Depth=3
	v_lshl_add_u32 v2, v27, 2, s76
	ds_read_b32 v8, v2
; %bb.52:                               ;   in Loop: Header=BB85_50 Depth=3
	s_or_b64 exec, exec, s[12:13]
	v_mov_b32_e32 v2, s23
	v_lshl_add_u32 v26, v27, 2, s77
	s_and_saveexec_b64 s[12:13], s[10:11]
; %bb.53:                               ;   in Loop: Header=BB85_50 Depth=3
	ds_read_b32 v2, v26
; %bb.54:                               ;   in Loop: Header=BB85_50 Depth=3
	s_or_b64 exec, exec, s[12:13]
	s_waitcnt lgkmcnt(0)
	v_cmp_gt_i32_e64 s[12:13], s23, v8
	s_and_b64 s[16:17], s[0:1], s[12:13]
	v_cmp_gt_i32_e64 s[14:15], s23, v2
	s_and_b64 s[64:65], s[16:17], s[14:15]
	s_and_saveexec_b64 s[66:67], s[64:65]
	s_cbranch_execz .LBB85_80
; %bb.55:                               ;   in Loop: Header=BB85_50 Depth=3
	v_mul_lo_u32 v14, v2, s23
	v_mov_b32_e32 v7, s35
                                        ; implicit-def: $vgpr11
	v_add_u32_e32 v9, v14, v8
	v_ashrrev_i32_e32 v10, 31, v9
	v_lshlrev_b64 v[9:10], 3, v[9:10]
	v_add_co_u32_e32 v9, vcc, s34, v9
	v_addc_co_u32_e32 v10, vcc, v7, v10, vcc
	global_load_dwordx2 v[9:10], v[9:10], off
	s_waitcnt vmcnt(0)
	v_cmp_gt_f32_e32 vcc, 0, v9
	v_cndmask_b32_e64 v7, v9, -v9, vcc
	v_cmp_gt_f32_e32 vcc, 0, v10
	v_cndmask_b32_e64 v13, v10, -v10, vcc
	v_cmp_ngt_f32_e32 vcc, v7, v13
	s_and_saveexec_b64 s[16:17], vcc
	s_xor_b64 s[68:69], exec, s[16:17]
	s_cbranch_execz .LBB85_59
; %bb.56:                               ;   in Loop: Header=BB85_50 Depth=3
	v_mov_b32_e32 v11, 0
	v_cmp_neq_f32_e32 vcc, 0, v10
	s_and_saveexec_b64 s[70:71], vcc
	s_cbranch_execz .LBB85_58
; %bb.57:                               ;   in Loop: Header=BB85_50 Depth=3
	v_div_scale_f32 v11, s[16:17], v13, v13, v7
	v_div_scale_f32 v15, vcc, v7, v13, v7
	v_rcp_f32_e32 v16, v11
	v_fma_f32 v25, -v11, v16, 1.0
	v_fmac_f32_e32 v16, v25, v16
	v_mul_f32_e32 v25, v15, v16
	v_fma_f32 v28, -v11, v25, v15
	v_fmac_f32_e32 v25, v28, v16
	v_fma_f32 v11, -v11, v25, v15
	v_div_fmas_f32 v11, v11, v16, v25
	v_div_fixup_f32 v7, v11, v13, v7
	v_fma_f32 v7, v7, v7, 1.0
	v_mul_f32_e32 v11, 0x4f800000, v7
	v_cmp_gt_f32_e32 vcc, s31, v7
	v_cndmask_b32_e32 v7, v7, v11, vcc
	v_sqrt_f32_e32 v11, v7
	v_add_u32_e32 v15, -1, v11
	v_add_u32_e32 v16, 1, v11
	v_fma_f32 v25, -v15, v11, v7
	v_fma_f32 v28, -v16, v11, v7
	v_cmp_ge_f32_e64 s[16:17], 0, v25
	v_cndmask_b32_e64 v11, v11, v15, s[16:17]
	v_cmp_lt_f32_e64 s[16:17], 0, v28
	v_cndmask_b32_e64 v11, v11, v16, s[16:17]
	v_mul_f32_e32 v15, 0x37800000, v11
	v_cndmask_b32_e32 v11, v11, v15, vcc
	v_cmp_class_f32_e32 vcc, v7, v24
	v_cndmask_b32_e32 v7, v11, v7, vcc
	v_mul_f32_e32 v11, v13, v7
.LBB85_58:                              ;   in Loop: Header=BB85_50 Depth=3
	s_or_b64 exec, exec, s[70:71]
                                        ; implicit-def: $vgpr7
                                        ; implicit-def: $vgpr13
.LBB85_59:                              ;   in Loop: Header=BB85_50 Depth=3
	s_andn2_saveexec_b64 s[68:69], s[68:69]
	s_cbranch_execz .LBB85_61
; %bb.60:                               ;   in Loop: Header=BB85_50 Depth=3
	v_div_scale_f32 v11, s[16:17], v7, v7, v13
	v_div_scale_f32 v15, vcc, v13, v7, v13
	v_rcp_f32_e32 v16, v11
	v_fma_f32 v25, -v11, v16, 1.0
	v_fmac_f32_e32 v16, v25, v16
	v_mul_f32_e32 v25, v15, v16
	v_fma_f32 v28, -v11, v25, v15
	v_fmac_f32_e32 v25, v28, v16
	v_fma_f32 v11, -v11, v25, v15
	v_div_fmas_f32 v11, v11, v16, v25
	v_div_fixup_f32 v11, v11, v7, v13
	v_fma_f32 v11, v11, v11, 1.0
	v_mul_f32_e32 v13, 0x4f800000, v11
	v_cmp_gt_f32_e32 vcc, s31, v11
	v_cndmask_b32_e32 v11, v11, v13, vcc
	v_sqrt_f32_e32 v13, v11
	v_add_u32_e32 v15, -1, v13
	v_add_u32_e32 v16, 1, v13
	v_fma_f32 v25, -v15, v13, v11
	v_fma_f32 v28, -v16, v13, v11
	v_cmp_ge_f32_e64 s[16:17], 0, v25
	v_cndmask_b32_e64 v13, v13, v15, s[16:17]
	v_cmp_lt_f32_e64 s[16:17], 0, v28
	v_cndmask_b32_e64 v13, v13, v16, s[16:17]
	v_mul_f32_e32 v15, 0x37800000, v13
	v_cndmask_b32_e32 v13, v13, v15, vcc
	v_cmp_class_f32_e32 vcc, v11, v24
	v_cndmask_b32_e32 v11, v13, v11, vcc
	v_mul_f32_e32 v11, v7, v11
.LBB85_61:                              ;   in Loop: Header=BB85_50 Depth=3
	s_or_b64 exec, exec, s[68:69]
	v_mul_f32_e32 v7, v11, v11
	v_cmp_nlt_f32_e32 vcc, v7, v18
	v_mov_b32_e32 v7, 0
	v_mov_b32_e32 v25, 1.0
	v_mov_b32_e32 v13, v7
	s_and_saveexec_b64 s[68:69], vcc
	s_cbranch_execz .LBB85_79
; %bb.62:                               ;   in Loop: Header=BB85_50 Depth=3
	v_mul_lo_u32 v15, v8, s80
	v_add_u32_e32 v13, v14, v2
	v_ashrrev_i32_e32 v14, 31, v13
	v_lshlrev_b64 v[13:14], 3, v[13:14]
	v_ashrrev_i32_e32 v16, 31, v15
	v_mov_b32_e32 v7, s35
	v_add_co_u32_e32 v13, vcc, s34, v13
	v_lshlrev_b64 v[15:16], 3, v[15:16]
	v_addc_co_u32_e32 v14, vcc, v7, v14, vcc
	v_add_co_u32_e32 v15, vcc, s34, v15
	v_addc_co_u32_e32 v16, vcc, v7, v16, vcc
	global_load_dword v13, v[13:14], off
	s_nop 0
	global_load_dword v14, v[15:16], off
	v_add_f32_e32 v7, v11, v11
	s_waitcnt vmcnt(0)
	v_sub_f32_e32 v13, v13, v14
	v_max_f32_e64 v14, |v13|, |v7|
	v_cvt_f64_f32_e32 v[15:16], v14
	v_cmp_ngt_f32_e32 vcc, 0, v13
	v_frexp_exp_i32_f64_e32 v16, v[15:16]
	v_sub_u32_e32 v15, 0, v16
	v_ldexp_f32 v25, |v13|, v15
	v_ldexp_f32 v15, |v7|, v15
	v_mul_f32_e32 v15, v15, v15
	v_fmac_f32_e32 v15, v25, v25
	v_sqrt_f32_e32 v25, v15
                                        ; implicit-def: $vgpr15
	s_and_saveexec_b64 s[16:17], vcc
	s_xor_b64 s[16:17], exec, s[16:17]
; %bb.63:                               ;   in Loop: Header=BB85_50 Depth=3
	v_ldexp_f32 v15, v25, v16
	v_mov_b32_e32 v16, 0x7f800000
	v_cmp_neq_f32_e32 vcc, s83, v14
	v_cndmask_b32_e32 v15, v16, v15, vcc
                                        ; implicit-def: $vgpr25
                                        ; implicit-def: $vgpr16
                                        ; implicit-def: $vgpr14
; %bb.64:                               ;   in Loop: Header=BB85_50 Depth=3
	s_andn2_saveexec_b64 s[16:17], s[16:17]
; %bb.65:                               ;   in Loop: Header=BB85_50 Depth=3
	v_ldexp_f32 v15, -v25, v16
	v_mov_b32_e32 v16, 0xff800000
	v_cmp_neq_f32_e32 vcc, s83, v14
	v_cndmask_b32_e32 v15, v16, v15, vcc
; %bb.66:                               ;   in Loop: Header=BB85_50 Depth=3
	s_or_b64 exec, exec, s[16:17]
	v_mov_b32_e32 v14, 0
	v_cmp_neq_f32_e32 vcc, 0, v7
	v_mov_b32_e32 v25, 1.0
	s_and_saveexec_b64 s[70:71], vcc
	s_cbranch_execz .LBB85_74
; %bb.67:                               ;   in Loop: Header=BB85_50 Depth=3
	v_add_f32_e32 v13, v13, v15
	v_mov_b32_e32 v25, 0
	v_cmp_neq_f32_e32 vcc, 0, v13
	v_mov_b32_e32 v14, 1.0
	s_and_saveexec_b64 s[72:73], vcc
	s_cbranch_execz .LBB85_73
; %bb.68:                               ;   in Loop: Header=BB85_50 Depth=3
	v_cmp_ngt_f32_e64 s[16:17], |v7|, |v13|
                                        ; implicit-def: $vgpr25
                                        ; implicit-def: $vgpr14
	s_and_saveexec_b64 s[74:75], s[16:17]
	s_xor_b64 s[74:75], exec, s[74:75]
	s_cbranch_execz .LBB85_70
; %bb.69:                               ;   in Loop: Header=BB85_50 Depth=3
	v_div_scale_f32 v14, s[16:17], v13, v13, -v7
	v_div_scale_f32 v15, vcc, -v7, v13, -v7
	v_rcp_f32_e32 v16, v14
	v_fma_f32 v25, -v14, v16, 1.0
	v_fmac_f32_e32 v16, v25, v16
	v_mul_f32_e32 v25, v15, v16
	v_fma_f32 v28, -v14, v25, v15
	v_fmac_f32_e32 v25, v28, v16
	v_fma_f32 v14, -v14, v25, v15
	v_div_fmas_f32 v14, v14, v16, v25
	v_div_fixup_f32 v7, v14, v13, -v7
	v_fma_f32 v13, v7, v7, 1.0
	v_mul_f32_e32 v14, 0x4f800000, v13
	v_cmp_gt_f32_e32 vcc, s31, v13
	v_cndmask_b32_e32 v13, v13, v14, vcc
	v_sqrt_f32_e32 v14, v13
	v_add_u32_e32 v15, -1, v14
	v_add_u32_e32 v16, 1, v14
	v_fma_f32 v25, -v15, v14, v13
	v_fma_f32 v28, -v16, v14, v13
	v_cmp_ge_f32_e64 s[16:17], 0, v25
	v_cndmask_b32_e64 v14, v14, v15, s[16:17]
	v_cmp_lt_f32_e64 s[16:17], 0, v28
	v_cndmask_b32_e64 v14, v14, v16, s[16:17]
	v_mul_f32_e32 v15, 0x37800000, v14
	v_cndmask_b32_e32 v14, v14, v15, vcc
	v_cmp_class_f32_e32 vcc, v13, v24
	v_cndmask_b32_e32 v13, v14, v13, vcc
	v_div_scale_f32 v14, s[16:17], v13, v13, 1.0
	v_div_scale_f32 v15, vcc, 1.0, v13, 1.0
	v_rcp_f32_e32 v16, v14
	v_fma_f32 v25, -v14, v16, 1.0
	v_fmac_f32_e32 v16, v25, v16
	v_mul_f32_e32 v25, v15, v16
	v_fma_f32 v28, -v14, v25, v15
	v_fmac_f32_e32 v25, v28, v16
	v_fma_f32 v14, -v14, v25, v15
	v_div_fmas_f32 v14, v14, v16, v25
	v_div_fixup_f32 v25, v14, v13, 1.0
	v_mul_f32_e32 v14, v7, v25
                                        ; implicit-def: $vgpr7
                                        ; implicit-def: $vgpr13
.LBB85_70:                              ;   in Loop: Header=BB85_50 Depth=3
	s_andn2_saveexec_b64 s[74:75], s[74:75]
	s_cbranch_execz .LBB85_72
; %bb.71:                               ;   in Loop: Header=BB85_50 Depth=3
	v_div_scale_f32 v14, s[16:17], v7, v7, -v13
	v_div_scale_f32 v15, vcc, -v13, v7, -v13
	v_rcp_f32_e32 v16, v14
	v_fma_f32 v25, -v14, v16, 1.0
	v_fmac_f32_e32 v16, v25, v16
	v_mul_f32_e32 v25, v15, v16
	v_fma_f32 v28, -v14, v25, v15
	v_fmac_f32_e32 v25, v28, v16
	v_fma_f32 v14, -v14, v25, v15
	v_div_fmas_f32 v14, v14, v16, v25
	v_div_fixup_f32 v7, v14, v7, -v13
	v_fma_f32 v13, v7, v7, 1.0
	v_mul_f32_e32 v14, 0x4f800000, v13
	v_cmp_gt_f32_e32 vcc, s31, v13
	v_cndmask_b32_e32 v13, v13, v14, vcc
	v_sqrt_f32_e32 v14, v13
	v_add_u32_e32 v15, -1, v14
	v_add_u32_e32 v16, 1, v14
	v_fma_f32 v25, -v15, v14, v13
	v_fma_f32 v28, -v16, v14, v13
	v_cmp_ge_f32_e64 s[16:17], 0, v25
	v_cndmask_b32_e64 v14, v14, v15, s[16:17]
	v_cmp_lt_f32_e64 s[16:17], 0, v28
	v_cndmask_b32_e64 v14, v14, v16, s[16:17]
	v_mul_f32_e32 v15, 0x37800000, v14
	v_cndmask_b32_e32 v14, v14, v15, vcc
	v_cmp_class_f32_e32 vcc, v13, v24
	v_cndmask_b32_e32 v13, v14, v13, vcc
	v_div_scale_f32 v14, s[16:17], v13, v13, 1.0
	v_div_scale_f32 v15, vcc, 1.0, v13, 1.0
	v_rcp_f32_e32 v16, v14
	v_fma_f32 v25, -v14, v16, 1.0
	v_fmac_f32_e32 v16, v25, v16
	v_mul_f32_e32 v25, v15, v16
	v_fma_f32 v28, -v14, v25, v15
	v_fmac_f32_e32 v25, v28, v16
	v_fma_f32 v14, -v14, v25, v15
	v_div_fmas_f32 v14, v14, v16, v25
	v_div_fixup_f32 v14, v14, v13, 1.0
	v_mul_f32_e32 v25, v7, v14
.LBB85_72:                              ;   in Loop: Header=BB85_50 Depth=3
	s_or_b64 exec, exec, s[74:75]
.LBB85_73:                              ;   in Loop: Header=BB85_50 Depth=3
	s_or_b64 exec, exec, s[72:73]
.LBB85_74:                              ;   in Loop: Header=BB85_50 Depth=3
	s_or_b64 exec, exec, s[70:71]
	v_mul_f32_e32 v9, v9, v14
	v_mul_f32_e32 v10, v10, v14
	v_cmp_lg_f32_e32 vcc, 0, v11
                                        ; implicit-def: $vgpr13
	s_and_saveexec_b64 s[16:17], vcc
	s_xor_b64 s[16:17], exec, s[16:17]
	s_cbranch_execz .LBB85_76
; %bb.75:                               ;   in Loop: Header=BB85_50 Depth=3
	v_div_scale_f32 v7, s[70:71], v11, v11, 0
	v_div_scale_f32 v13, vcc, 0, v11, 0
	v_rcp_f32_e32 v14, v7
	v_fma_f32 v15, -v7, v14, 1.0
	v_fmac_f32_e32 v14, v15, v14
	v_mul_f32_e32 v15, v13, v14
	v_fma_f32 v16, -v7, v15, v13
	v_fmac_f32_e32 v15, v16, v14
	v_fma_f32 v7, -v7, v15, v13
	v_div_fmas_f32 v7, v7, v14, v15
	v_div_fixup_f32 v7, v7, v11, 0
	v_fmac_f32_e32 v11, 0, v7
	v_div_scale_f32 v13, s[70:71], v11, v11, 1.0
	v_div_scale_f32 v14, vcc, 1.0, v11, 1.0
	v_rcp_f32_e32 v15, v13
	v_fma_f32 v16, -v13, v15, 1.0
	v_fmac_f32_e32 v15, v16, v15
	v_mul_f32_e32 v16, v14, v15
	v_fma_f32 v28, -v13, v16, v14
	v_fmac_f32_e32 v16, v28, v15
	v_fma_f32 v13, -v13, v16, v14
	v_div_fmas_f32 v13, v13, v15, v16
	v_fma_f32 v14, v7, v10, v9
	v_fma_f32 v7, -v7, v9, v10
                                        ; implicit-def: $vgpr10
	v_div_fixup_f32 v9, v13, v11, 1.0
	v_mul_f32_e32 v13, v9, v14
	v_mul_f32_e32 v7, v9, v7
                                        ; implicit-def: $vgpr11
                                        ; implicit-def: $vgpr9
.LBB85_76:                              ;   in Loop: Header=BB85_50 Depth=3
	s_andn2_saveexec_b64 s[16:17], s[16:17]
	s_cbranch_execz .LBB85_78
; %bb.77:                               ;   in Loop: Header=BB85_50 Depth=3
	v_div_scale_f32 v7, s[70:71], 0, 0, v11
	v_div_scale_f32 v13, vcc, v11, 0, v11
	v_rcp_f32_e32 v14, v7
	v_fma_f32 v15, -v7, v14, 1.0
	v_fmac_f32_e32 v14, v15, v14
	v_mul_f32_e32 v15, v13, v14
	v_fma_f32 v16, -v7, v15, v13
	v_fmac_f32_e32 v15, v16, v14
	v_fma_f32 v7, -v7, v15, v13
	v_div_fmas_f32 v7, v7, v14, v15
	v_div_fixup_f32 v7, v7, 0, v11
	v_fma_f32 v11, v11, v7, 0
	v_div_scale_f32 v13, s[70:71], v11, v11, 1.0
	v_div_scale_f32 v14, vcc, 1.0, v11, 1.0
	v_rcp_f32_e32 v15, v13
	v_fma_f32 v16, -v13, v15, 1.0
	v_fmac_f32_e32 v15, v16, v15
	v_mul_f32_e32 v16, v14, v15
	v_fma_f32 v28, -v13, v16, v14
	v_fmac_f32_e32 v16, v28, v15
	v_fma_f32 v13, -v13, v16, v14
	v_div_fmas_f32 v13, v13, v15, v16
	v_fma_f32 v14, v7, v9, v10
	v_fma_f32 v7, v7, v10, -v9
	v_div_fixup_f32 v9, v13, v11, 1.0
	v_mul_f32_e32 v13, v9, v14
	v_mul_f32_e32 v7, v9, v7
.LBB85_78:                              ;   in Loop: Header=BB85_50 Depth=3
	s_or_b64 exec, exec, s[16:17]
.LBB85_79:                              ;   in Loop: Header=BB85_50 Depth=3
	s_or_b64 exec, exec, s[68:69]
	ds_write_b32 v19, v25
	ds_write2_b32 v20, v13, v7 offset1:1
.LBB85_80:                              ;   in Loop: Header=BB85_50 Depth=3
	s_or_b64 exec, exec, s[66:67]
	s_and_b64 s[12:13], s[12:13], s[14:15]
	s_mov_b64 s[16:17], 0
	s_waitcnt lgkmcnt(0)
	s_barrier
	s_and_saveexec_b64 s[14:15], s[12:13]
	s_cbranch_execz .LBB85_92
; %bb.81:                               ;   in Loop: Header=BB85_50 Depth=3
	ds_read_b32 v25, v19
	ds_read2_b32 v[6:7], v20 offset1:1
	s_mov_b64 s[12:13], 0
	s_and_saveexec_b64 s[16:17], s[2:3]
	s_cbranch_execz .LBB85_91
; %bb.82:                               ;   in Loop: Header=BB85_50 Depth=3
	v_mad_u64_u32 v[9:10], s[12:13], v8, s23, v[0:1]
	v_mad_u64_u32 v[11:12], s[12:13], v2, s23, v[0:1]
	v_mul_lo_u32 v28, v2, s27
	v_ashrrev_i32_e32 v10, 31, v9
	v_ashrrev_i32_e32 v12, 31, v11
	v_lshlrev_b64 v[9:10], 3, v[9:10]
	v_lshlrev_b64 v[11:12], 3, v[11:12]
	s_mov_b64 s[66:67], 0
	s_mov_b64 s[68:69], s[34:35]
	v_mov_b32_e32 v29, v21
	v_mov_b32_e32 v30, v3
	s_branch .LBB85_85
.LBB85_83:                              ;   in Loop: Header=BB85_85 Depth=4
	s_or_b64 exec, exec, s[70:71]
.LBB85_84:                              ;   in Loop: Header=BB85_85 Depth=4
	v_add_u32_e32 v30, s33, v30
	s_add_u32 s68, s68, s58
	s_addc_u32 s69, s69, s59
	v_cmp_le_i32_e32 vcc, s28, v30
	s_or_b64 s[66:67], vcc, s[66:67]
	v_add_u32_e32 v29, s56, v29
	s_andn2_b64 exec, exec, s[66:67]
	s_cbranch_execz .LBB85_90
.LBB85_85:                              ;   Parent Loop BB85_45 Depth=1
                                        ;     Parent Loop BB85_48 Depth=2
                                        ;       Parent Loop BB85_50 Depth=3
                                        ; =>      This Inner Loop Header: Depth=4
	v_mov_b32_e32 v16, s69
	v_add_co_u32_e32 v13, vcc, s68, v11
	v_addc_co_u32_e32 v14, vcc, v16, v12, vcc
	v_add_co_u32_e32 v15, vcc, s68, v9
	global_load_dwordx2 v[31:32], v[13:14], off
	v_addc_co_u32_e32 v16, vcc, v16, v10, vcc
	global_load_dwordx2 v[33:34], v[15:16], off
	v_cmp_gt_i32_e64 s[12:13], s23, v29
	s_waitcnt vmcnt(1) lgkmcnt(0)
	v_mul_f32_e32 v35, v7, v32
	v_mul_f32_e32 v36, v7, v31
	v_fmac_f32_e32 v35, v6, v31
	s_waitcnt vmcnt(0)
	v_mul_f32_e32 v37, v6, v33
	v_mul_f32_e32 v38, v6, v34
	v_fma_f32 v36, v6, v32, -v36
	v_fma_f32 v37, v7, v34, -v37
	v_fma_f32 v38, v33, -v7, -v38
	v_fmac_f32_e32 v35, v25, v33
	v_fmac_f32_e32 v36, v25, v34
	;; [unrolled: 1-line block ×4, first 2 shown]
	global_store_dwordx2 v[15:16], v[35:36], off
	global_store_dwordx2 v[13:14], v[37:38], off
	s_and_saveexec_b64 s[70:71], s[12:13]
	s_cbranch_execz .LBB85_87
; %bb.86:                               ;   in Loop: Header=BB85_85 Depth=4
	global_load_dwordx2 v[31:32], v[13:14], off offset:8
	global_load_dwordx2 v[33:34], v[15:16], off offset:8
	s_waitcnt vmcnt(1)
	v_mul_f32_e32 v35, v7, v32
	v_mul_f32_e32 v36, v7, v31
	s_waitcnt vmcnt(0)
	v_mul_f32_e32 v37, v6, v33
	v_mul_f32_e32 v38, v6, v34
	v_fmac_f32_e32 v35, v6, v31
	v_fma_f32 v36, v6, v32, -v36
	v_fma_f32 v37, v7, v34, -v37
	v_fma_f32 v38, v33, -v7, -v38
	v_fmac_f32_e32 v35, v25, v33
	v_fmac_f32_e32 v36, v25, v34
	;; [unrolled: 1-line block ×4, first 2 shown]
	global_store_dwordx2 v[15:16], v[35:36], off offset:8
	global_store_dwordx2 v[13:14], v[37:38], off offset:8
.LBB85_87:                              ;   in Loop: Header=BB85_85 Depth=4
	s_or_b64 exec, exec, s[70:71]
	s_andn2_b64 vcc, exec, s[50:51]
	s_cbranch_vccnz .LBB85_84
; %bb.88:                               ;   in Loop: Header=BB85_85 Depth=4
	v_mul_lo_u32 v15, v8, s27
	v_add3_u32 v13, v28, v29, -1
	v_ashrrev_i32_e32 v14, 31, v13
	v_lshlrev_b64 v[13:14], 3, v[13:14]
	v_add3_u32 v15, v15, v29, -1
	v_ashrrev_i32_e32 v16, 31, v15
	v_lshlrev_b64 v[15:16], 3, v[15:16]
	v_mov_b32_e32 v31, s19
	v_add_co_u32_e32 v13, vcc, s18, v13
	v_addc_co_u32_e32 v14, vcc, v31, v14, vcc
	v_mov_b32_e32 v33, s19
	v_add_co_u32_e32 v15, vcc, s18, v15
	global_load_dwordx2 v[31:32], v[13:14], off
	v_addc_co_u32_e32 v16, vcc, v33, v16, vcc
	global_load_dwordx2 v[33:34], v[15:16], off
	s_waitcnt vmcnt(1)
	v_mul_f32_e32 v35, v7, v32
	v_mul_f32_e32 v36, v7, v31
	v_fmac_f32_e32 v35, v6, v31
	v_fma_f32 v36, v6, v32, -v36
	s_waitcnt vmcnt(0)
	v_mul_f32_e32 v37, v6, v33
	v_mul_f32_e32 v38, v6, v34
	v_fmac_f32_e32 v35, v25, v33
	v_fmac_f32_e32 v36, v25, v34
	v_fma_f32 v37, v7, v34, -v37
	v_fma_f32 v38, v33, -v7, -v38
	v_fmac_f32_e32 v37, v25, v31
	v_fmac_f32_e32 v38, v25, v32
	global_store_dwordx2 v[15:16], v[35:36], off
	global_store_dwordx2 v[13:14], v[37:38], off
	s_and_saveexec_b64 s[70:71], s[12:13]
	s_cbranch_execz .LBB85_83
; %bb.89:                               ;   in Loop: Header=BB85_85 Depth=4
	global_load_dwordx2 v[31:32], v[13:14], off offset:8
	global_load_dwordx2 v[33:34], v[15:16], off offset:8
	s_waitcnt vmcnt(1)
	v_mul_f32_e32 v35, v7, v32
	v_mul_f32_e32 v36, v7, v31
	s_waitcnt vmcnt(0)
	v_mul_f32_e32 v37, v6, v33
	v_mul_f32_e32 v38, v6, v34
	v_fmac_f32_e32 v35, v6, v31
	v_fma_f32 v36, v6, v32, -v36
	v_fma_f32 v37, v7, v34, -v37
	v_fma_f32 v38, v33, -v7, -v38
	v_fmac_f32_e32 v35, v25, v33
	v_fmac_f32_e32 v36, v25, v34
	;; [unrolled: 1-line block ×4, first 2 shown]
	global_store_dwordx2 v[15:16], v[35:36], off offset:8
	global_store_dwordx2 v[13:14], v[37:38], off offset:8
	s_branch .LBB85_83
.LBB85_90:                              ;   in Loop: Header=BB85_50 Depth=3
	s_or_b64 exec, exec, s[66:67]
	s_mov_b64 s[12:13], exec
.LBB85_91:                              ;   in Loop: Header=BB85_50 Depth=3
	s_or_b64 exec, exec, s[16:17]
	s_waitcnt lgkmcnt(0)
	v_xor_b32_e32 v12, 0x80000000, v7
	s_and_b64 s[16:17], s[12:13], exec
	v_mov_b32_e32 v13, v6
.LBB85_92:                              ;   in Loop: Header=BB85_50 Depth=3
	s_or_b64 exec, exec, s[14:15]
	s_waitcnt vmcnt(0)
	s_barrier
	s_and_saveexec_b64 s[12:13], s[16:17]
	s_cbranch_execz .LBB85_97
; %bb.93:                               ;   in Loop: Header=BB85_50 Depth=3
	v_add_u32_e32 v9, v22, v2
	v_add_u32_e32 v10, v23, v2
	;; [unrolled: 1-line block ×3, first 2 shown]
	s_mov_b32 s47, 0
	s_mov_b64 s[14:15], 0
	v_mov_b32_e32 v14, v21
	v_mov_b32_e32 v15, v3
	s_branch .LBB85_95
.LBB85_94:                              ;   in Loop: Header=BB85_95 Depth=4
	s_or_b64 exec, exec, s[16:17]
	v_add_u32_e32 v15, s33, v15
	s_add_i32 s47, s47, s57
	v_cmp_le_i32_e32 vcc, s28, v15
	s_or_b64 s[14:15], vcc, s[14:15]
	v_add_u32_e32 v14, s56, v14
	s_andn2_b64 exec, exec, s[14:15]
	s_cbranch_execz .LBB85_97
.LBB85_95:                              ;   Parent Loop BB85_45 Depth=1
                                        ;     Parent Loop BB85_48 Depth=2
                                        ;       Parent Loop BB85_50 Depth=3
                                        ; =>      This Inner Loop Header: Depth=4
	v_add_u32_e32 v30, s47, v10
	v_ashrrev_i32_e32 v31, 31, v30
	v_add_u32_e32 v28, s47, v11
	v_lshlrev_b64 v[30:31], 3, v[30:31]
	v_ashrrev_i32_e32 v29, 31, v28
	v_lshlrev_b64 v[28:29], 3, v[28:29]
	v_mov_b32_e32 v32, s35
	v_add_co_u32_e32 v30, vcc, s34, v30
	v_addc_co_u32_e32 v31, vcc, v32, v31, vcc
	v_mov_b32_e32 v16, s35
	v_add_co_u32_e32 v28, vcc, s34, v28
	global_load_dwordx2 v[32:33], v[30:31], off
	v_addc_co_u32_e32 v29, vcc, v16, v29, vcc
	global_load_dwordx2 v[34:35], v[28:29], off
	v_cmp_gt_i32_e32 vcc, s23, v14
	s_waitcnt vmcnt(1)
	v_mul_f32_e32 v16, v7, v33
	v_mul_f32_e32 v37, v13, v33
	v_fma_f32 v36, v13, v32, -v16
	s_waitcnt vmcnt(0)
	v_mul_f32_e32 v38, v6, v34
	v_mul_f32_e32 v39, v6, v35
	v_fmac_f32_e32 v37, v7, v32
	v_fma_f32 v38, v12, v35, -v38
	v_fma_f32 v39, v34, -v12, -v39
	v_fmac_f32_e32 v36, v25, v34
	v_fmac_f32_e32 v37, v25, v35
	;; [unrolled: 1-line block ×4, first 2 shown]
	global_store_dwordx2 v[28:29], v[36:37], off
	global_store_dwordx2 v[30:31], v[38:39], off
	s_and_saveexec_b64 s[16:17], vcc
	s_cbranch_execz .LBB85_94
; %bb.96:                               ;   in Loop: Header=BB85_95 Depth=4
	v_add_u32_e32 v30, s47, v9
	v_add_u32_e32 v16, v22, v8
	v_ashrrev_i32_e32 v31, 31, v30
	v_add_u32_e32 v28, s47, v16
	v_lshlrev_b64 v[30:31], 3, v[30:31]
	v_ashrrev_i32_e32 v29, 31, v28
	v_lshlrev_b64 v[28:29], 3, v[28:29]
	v_mov_b32_e32 v32, s35
	v_add_co_u32_e32 v30, vcc, s34, v30
	v_addc_co_u32_e32 v31, vcc, v32, v31, vcc
	v_mov_b32_e32 v16, s35
	v_add_co_u32_e32 v28, vcc, s34, v28
	global_load_dwordx2 v[32:33], v[30:31], off
	v_addc_co_u32_e32 v29, vcc, v16, v29, vcc
	global_load_dwordx2 v[34:35], v[28:29], off
	s_waitcnt vmcnt(1)
	v_mul_f32_e32 v16, v7, v33
	v_mul_f32_e32 v37, v13, v33
	v_fma_f32 v36, v13, v32, -v16
	s_waitcnt vmcnt(0)
	v_mul_f32_e32 v38, v6, v34
	v_mul_f32_e32 v39, v6, v35
	v_fmac_f32_e32 v37, v7, v32
	v_fma_f32 v38, v12, v35, -v38
	v_fma_f32 v39, v34, -v12, -v39
	v_fmac_f32_e32 v36, v25, v34
	v_fmac_f32_e32 v37, v25, v35
	v_fmac_f32_e32 v38, v25, v32
	v_fmac_f32_e32 v39, v25, v33
	global_store_dwordx2 v[28:29], v[36:37], off
	global_store_dwordx2 v[30:31], v[38:39], off
	s_branch .LBB85_94
.LBB85_97:                              ;   in Loop: Header=BB85_50 Depth=3
	s_or_b64 exec, exec, s[12:13]
	s_waitcnt vmcnt(0)
	s_barrier
	s_and_saveexec_b64 s[12:13], s[64:65]
	s_cbranch_execz .LBB85_99
; %bb.98:                               ;   in Loop: Header=BB85_50 Depth=3
	v_mad_u64_u32 v[9:10], s[14:15], v2, s23, v[8:9]
	v_mad_u64_u32 v[14:15], s[14:15], v8, s23, v[2:3]
	v_ashrrev_i32_e32 v10, 31, v9
	v_lshlrev_b64 v[9:10], 3, v[9:10]
	v_mov_b32_e32 v11, s35
	v_add_co_u32_e32 v9, vcc, s34, v9
	s_mov_b32 s47, s46
	v_mov_b32_e32 v28, s46
	v_addc_co_u32_e32 v10, vcc, v11, v10, vcc
	v_mov_b32_e32 v29, s47
	v_ashrrev_i32_e32 v15, 31, v14
	global_store_dwordx2 v[9:10], v[28:29], off
	v_lshlrev_b64 v[9:10], 3, v[14:15]
	v_add_co_u32_e32 v9, vcc, s34, v9
	v_addc_co_u32_e32 v10, vcc, v11, v10, vcc
	global_store_dwordx2 v[9:10], v[28:29], off
.LBB85_99:                              ;   in Loop: Header=BB85_50 Depth=3
	s_or_b64 exec, exec, s[12:13]
	s_and_b64 s[10:11], s[0:1], s[10:11]
	s_waitcnt vmcnt(0)
	s_barrier
	s_and_saveexec_b64 s[12:13], s[10:11]
	s_cbranch_execz .LBB85_111
; %bb.100:                              ;   in Loop: Header=BB85_50 Depth=3
	v_cmp_lt_i32_e32 vcc, 0, v8
	s_and_saveexec_b64 s[14:15], vcc
	s_cbranch_execz .LBB85_106
; %bb.101:                              ;   in Loop: Header=BB85_50 Depth=3
	v_cmp_ne_u32_e32 vcc, 2, v8
	v_cmp_ne_u32_e64 s[10:11], s79, v8
	s_and_b64 s[10:11], vcc, s[10:11]
                                        ; implicit-def: $vgpr9
	s_and_saveexec_b64 s[16:17], s[10:11]
	s_xor_b64 s[10:11], exec, s[16:17]
; %bb.102:                              ;   in Loop: Header=BB85_50 Depth=3
	v_and_b32_e32 v9, 1, v8
	v_cmp_eq_u32_e32 vcc, 0, v9
	v_cndmask_b32_e64 v9, 2, -2, vcc
	v_add_u32_e32 v9, v9, v8
                                        ; implicit-def: $vgpr8
; %bb.103:                              ;   in Loop: Header=BB85_50 Depth=3
	s_andn2_saveexec_b64 s[10:11], s[10:11]
; %bb.104:                              ;   in Loop: Header=BB85_50 Depth=3
	v_add_u32_e32 v9, -1, v8
; %bb.105:                              ;   in Loop: Header=BB85_50 Depth=3
	s_or_b64 exec, exec, s[10:11]
	v_lshl_add_u32 v8, v27, 2, s76
	ds_write_b32 v8, v9
.LBB85_106:                             ;   in Loop: Header=BB85_50 Depth=3
	s_or_b64 exec, exec, s[14:15]
	v_cmp_ne_u32_e32 vcc, 2, v2
	v_cmp_ne_u32_e64 s[10:11], s79, v2
	s_and_b64 s[10:11], vcc, s[10:11]
                                        ; implicit-def: $vgpr8
	s_and_saveexec_b64 s[14:15], s[10:11]
	s_xor_b64 s[10:11], exec, s[14:15]
; %bb.107:                              ;   in Loop: Header=BB85_50 Depth=3
	v_and_b32_e32 v8, 1, v2
	v_cmp_eq_u32_e32 vcc, 0, v8
	v_cndmask_b32_e64 v8, 2, -2, vcc
	v_add_u32_e32 v8, v8, v2
                                        ; implicit-def: $vgpr2
; %bb.108:                              ;   in Loop: Header=BB85_50 Depth=3
	s_andn2_saveexec_b64 s[10:11], s[10:11]
; %bb.109:                              ;   in Loop: Header=BB85_50 Depth=3
	v_add_u32_e32 v8, -1, v2
; %bb.110:                              ;   in Loop: Header=BB85_50 Depth=3
	s_or_b64 exec, exec, s[10:11]
	ds_write_b32 v26, v8
.LBB85_111:                             ;   in Loop: Header=BB85_50 Depth=3
	s_or_b64 exec, exec, s[12:13]
	s_add_i32 s10, s85, 1
	s_cmp_eq_u32 s85, s78
	s_waitcnt lgkmcnt(0)
	s_barrier
	s_cbranch_scc1 .LBB85_47
; %bb.112:                              ;   in Loop: Header=BB85_50 Depth=3
	s_mov_b32 s85, s10
	s_branch .LBB85_50
.LBB85_113:                             ;   in Loop: Header=BB85_45 Depth=1
	s_and_saveexec_b64 s[10:11], s[0:1]
	s_cbranch_execz .LBB85_123
; %bb.114:                              ;   in Loop: Header=BB85_45 Depth=1
	v_mov_b32_e32 v2, 0
	s_and_saveexec_b64 s[12:13], s[6:7]
	s_cbranch_execz .LBB85_122
; %bb.115:                              ;   in Loop: Header=BB85_45 Depth=1
	v_mov_b32_e32 v9, v5
	v_mov_b32_e32 v2, 0
	s_mov_b64 s[14:15], 0
	v_mov_b32_e32 v8, v4
	v_mov_b32_e32 v14, v1
	s_branch .LBB85_117
.LBB85_116:                             ;   in Loop: Header=BB85_117 Depth=2
	s_or_b64 exec, exec, s[16:17]
	v_add_u32_e32 v14, s26, v14
	v_cmp_le_i32_e32 vcc, s23, v14
	v_mov_b32_e32 v10, s61
	s_or_b64 s[14:15], vcc, s[14:15]
	v_add_co_u32_e32 v8, vcc, s60, v8
	v_addc_co_u32_e32 v9, vcc, v9, v10, vcc
	s_andn2_b64 exec, exec, s[14:15]
	s_cbranch_execz .LBB85_121
.LBB85_117:                             ;   Parent Loop BB85_45 Depth=1
                                        ; =>  This Loop Header: Depth=2
                                        ;       Child Loop BB85_119 Depth 3
	v_cmp_lt_i32_e32 vcc, 0, v14
	s_and_saveexec_b64 s[16:17], vcc
	s_cbranch_execz .LBB85_116
; %bb.118:                              ;   in Loop: Header=BB85_117 Depth=2
	v_mov_b32_e32 v11, v9
	s_mov_b32 s47, 0
	s_mov_b64 s[64:65], 0
	v_mov_b32_e32 v10, v8
.LBB85_119:                             ;   Parent Loop BB85_45 Depth=1
                                        ;     Parent Loop BB85_117 Depth=2
                                        ; =>    This Inner Loop Header: Depth=3
	global_load_dwordx2 v[15:16], v[10:11], off offset:-4
	v_mov_b32_e32 v26, s63
	v_add_co_u32_e32 v10, vcc, s62, v10
	s_add_i32 s47, s47, 1
	v_addc_co_u32_e32 v11, vcc, v11, v26, vcc
	v_cmp_eq_u32_e32 vcc, s47, v14
	s_or_b64 s[64:65], vcc, s[64:65]
	s_waitcnt vmcnt(0)
	v_mul_f32_e32 v16, v16, v16
	v_fmac_f32_e32 v16, v15, v15
	v_fmac_f32_e32 v2, 2.0, v16
	s_andn2_b64 exec, exec, s[64:65]
	s_cbranch_execnz .LBB85_119
; %bb.120:                              ;   in Loop: Header=BB85_117 Depth=2
	s_or_b64 exec, exec, s[64:65]
	s_branch .LBB85_116
.LBB85_121:                             ;   in Loop: Header=BB85_45 Depth=1
	s_or_b64 exec, exec, s[14:15]
.LBB85_122:                             ;   in Loop: Header=BB85_45 Depth=1
	s_or_b64 exec, exec, s[12:13]
	ds_write_b32 v19, v2
.LBB85_123:                             ;   in Loop: Header=BB85_45 Depth=1
	s_or_b64 exec, exec, s[10:11]
	s_andn2_b64 vcc, exec, s[24:25]
	s_waitcnt lgkmcnt(0)
	s_barrier
	s_cbranch_vccnz .LBB85_43
; %bb.124:                              ;   in Loop: Header=BB85_45 Depth=1
	s_mov_b32 s10, 0
	s_andn2_b64 vcc, exec, s[52:53]
	s_cbranch_vccnz .LBB85_128
; %bb.125:                              ;   in Loop: Header=BB85_45 Depth=1
	s_mov_b32 s11, 0
	v_mov_b32_e32 v2, 0
.LBB85_126:                             ;   Parent Loop BB85_45 Depth=1
                                        ; =>  This Inner Loop Header: Depth=2
	v_mov_b32_e32 v14, s11
	ds_read2_b64 v[8:11], v14 offset1:1
	ds_read2_b64 v[26:29], v14 offset0:2 offset1:3
	s_add_i32 s10, s10, 8
	s_add_i32 s11, s11, 32
	s_cmp_lg_u32 s82, s10
	s_waitcnt lgkmcnt(1)
	v_add_f32_e32 v2, v2, v8
	v_add_f32_e32 v2, v2, v9
	;; [unrolled: 1-line block ×4, first 2 shown]
	s_waitcnt lgkmcnt(0)
	v_add_f32_e32 v2, v2, v26
	v_add_f32_e32 v2, v2, v27
	;; [unrolled: 1-line block ×4, first 2 shown]
	s_cbranch_scc1 .LBB85_126
; %bb.127:                              ;   in Loop: Header=BB85_45 Depth=1
	s_mov_b32 s10, s82
	s_andn2_b64 vcc, exec, s[54:55]
	s_cbranch_vccz .LBB85_129
	s_branch .LBB85_44
.LBB85_128:                             ;   in Loop: Header=BB85_45 Depth=1
	v_mov_b32_e32 v2, 0
	s_andn2_b64 vcc, exec, s[54:55]
	s_cbranch_vccnz .LBB85_44
.LBB85_129:                             ;   in Loop: Header=BB85_45 Depth=1
	s_lshl_b32 s10, s10, 2
	s_add_i32 s10, s10, 0
	s_mov_b32 s11, s81
.LBB85_130:                             ;   Parent Loop BB85_45 Depth=1
                                        ; =>  This Inner Loop Header: Depth=2
	v_mov_b32_e32 v8, s10
	ds_read_b32 v8, v8
	s_add_i32 s10, s10, 4
	s_add_i32 s11, s11, -1
	s_cmp_lg_u32 s11, 0
	s_waitcnt lgkmcnt(0)
	v_add_f32_e32 v2, v2, v8
	s_cbranch_scc1 .LBB85_130
	s_branch .LBB85_44
.LBB85_131:
	s_mul_i32 s2, s40, s45
	s_mul_hi_u32 s3, s40, s44
	s_add_i32 s2, s3, s2
	s_mul_i32 s3, s41, s44
	s_add_i32 s7, s2, s3
	s_mul_i32 s6, s40, s44
	s_and_saveexec_b64 s[8:9], s[0:1]
	s_cbranch_execz .LBB85_137
; %bb.132:
	v_cmp_eq_u32_e32 vcc, 0, v1
	s_and_saveexec_b64 s[10:11], vcc
	s_cbranch_execz .LBB85_134
; %bb.133:
	s_load_dwordx2 s[2:3], s[4:5], 0x30
	s_lshl_b64 s[4:5], s[44:45], 2
	s_mov_b32 s16, 0xf800000
	v_mul_f32_e32 v3, 0x4f800000, v2
	v_cmp_gt_f32_e32 vcc, s16, v2
	s_waitcnt lgkmcnt(0)
	s_add_u32 s12, s2, s4
	s_addc_u32 s13, s3, s5
	v_cndmask_b32_e32 v2, v2, v3, vcc
	s_add_u32 s14, s36, s4
	v_sqrt_f32_e32 v3, v2
	s_addc_u32 s15, s37, s5
	s_add_u32 s4, s42, s4
	s_addc_u32 s5, s43, s5
	s_cmp_gt_i32 s29, s22
	v_add_u32_e32 v5, -1, v3
	s_cselect_b64 s[2:3], -1, 0
	v_fma_f32 v6, -v5, v3, v2
	v_cndmask_b32_e64 v4, 0, 1, s[2:3]
	v_cmp_ge_f32_e64 s[2:3], 0, v6
	v_add_u32_e32 v6, 1, v3
	v_cndmask_b32_e64 v5, v3, v5, s[2:3]
	v_fma_f32 v3, -v6, v3, v2
	v_cmp_lt_f32_e64 s[2:3], 0, v3
	v_cndmask_b32_e64 v3, v5, v6, s[2:3]
	v_mul_f32_e32 v5, 0x37800000, v3
	v_cndmask_b32_e32 v3, v3, v5, vcc
	v_mov_b32_e32 v5, 0x260
	v_cmp_class_f32_e32 vcc, v2, v5
	v_mov_b32_e32 v0, 0
	s_min_i32 s16, s29, s22
	v_cndmask_b32_e32 v2, v3, v2, vcc
	global_store_dword v0, v2, s[12:13]
	v_mov_b32_e32 v2, s16
	global_store_dword v0, v2, s[14:15]
	global_store_dword v0, v4, s[4:5]
.LBB85_134:
	s_or_b64 exec, exec, s[10:11]
	v_cmp_gt_i32_e32 vcc, s23, v1
	s_and_b64 exec, exec, vcc
	s_cbranch_execz .LBB85_137
; %bb.135:
	s_add_i32 s10, s23, 1
	s_lshl_b64 s[2:3], s[6:7], 2
	s_add_u32 s2, s38, s2
	v_ashrrev_i32_e32 v2, 31, v1
	s_addc_u32 s3, s39, s3
	s_ashr_i32 s31, s30, 31
	v_mov_b32_e32 v4, s30
	v_lshlrev_b64 v[2:3], 2, v[1:2]
	s_ashr_i32 s29, s28, 31
	v_mov_b32_e32 v5, s31
	v_cmp_lt_i64_e32 vcc, s[28:29], v[4:5]
	v_mov_b32_e32 v0, s3
	v_add_co_u32_e64 v2, s[2:3], s2, v2
	v_addc_co_u32_e64 v3, s[2:3], v0, v3, s[2:3]
	s_and_b64 s[2:3], vcc, exec
	v_mad_u64_u32 v[4:5], s[4:5], v1, s23, v[1:2]
	s_cselect_b32 s3, s29, s31
	s_cselect_b32 s2, s28, s30
	s_lshl_b64 s[2:3], s[2:3], 2
	s_mul_i32 s10, s26, s10
	s_mov_b64 s[4:5], 0
	v_mov_b32_e32 v0, s35
	v_mov_b32_e32 v6, s3
	v_mov_b32_e32 v7, v1
.LBB85_136:                             ; =>This Inner Loop Header: Depth=1
	v_ashrrev_i32_e32 v5, 31, v4
	v_lshlrev_b64 v[8:9], 3, v[4:5]
	v_add_u32_e32 v7, s26, v7
	v_add_co_u32_e32 v8, vcc, s34, v8
	v_addc_co_u32_e32 v9, vcc, v0, v9, vcc
	global_load_dword v5, v[8:9], off
	v_cmp_le_i32_e32 vcc, s23, v7
	s_or_b64 s[4:5], vcc, s[4:5]
	v_add_u32_e32 v4, s10, v4
	s_waitcnt vmcnt(0)
	global_store_dword v[2:3], v5, off
	v_add_co_u32_e32 v2, vcc, s2, v2
	v_addc_co_u32_e32 v3, vcc, v3, v6, vcc
	s_andn2_b64 exec, exec, s[4:5]
	s_cbranch_execnz .LBB85_136
.LBB85_137:
	s_or_b64 exec, exec, s[8:9]
	s_cmpk_eq_i32 s20, 0xfb
	s_cselect_b64 s[2:3], -1, 0
	s_cmp_lt_i32 s23, 2
	s_cselect_b64 s[4:5], -1, 0
	s_or_b64 s[2:3], s[2:3], s[4:5]
	s_and_b64 vcc, exec, s[2:3]
	s_waitcnt vmcnt(0)
	s_barrier
	s_cbranch_vccnz .LBB85_148
; %bb.138:
	s_lshl_b64 s[2:3], s[6:7], 2
	s_add_u32 s22, s38, s2
	s_addc_u32 s24, s39, s3
	s_cmpk_lg_i32 s21, 0xd5
	s_cselect_b64 s[2:3], -1, 0
	v_cmp_gt_i32_e32 vcc, s23, v1
	s_and_b64 s[8:9], s[2:3], vcc
	s_add_i32 s25, s23, -2
	s_add_u32 s10, s22, 4
	s_addc_u32 s11, s24, 0
	s_ashr_i32 s31, s30, 31
	v_mov_b32_e32 v2, s30
	s_ashr_i32 s29, s28, 31
	v_mov_b32_e32 v3, s31
	v_cmp_lt_i64_e64 s[2:3], s[28:29], v[2:3]
	s_mov_b32 s7, 0
	s_and_b64 s[2:3], s[2:3], exec
	s_cselect_b32 s3, s29, s31
	s_cselect_b32 s2, s28, s30
	v_cmp_eq_u32_e32 vcc, 0, v1
	s_lshl_b64 s[12:13], s[2:3], 3
	v_mov_b32_e32 v0, 0
	v_mov_b32_e32 v2, v1
	s_mov_b32 s6, s7
	s_branch .LBB85_140
.LBB85_139:                             ;   in Loop: Header=BB85_140 Depth=1
	s_or_b64 exec, exec, s[14:15]
	s_add_u32 s10, s10, 4
	s_addc_u32 s11, s11, 0
	v_add_u32_e32 v2, s27, v2
	s_cmp_lg_u32 s6, s25
	s_mov_b32 s6, s28
	s_waitcnt vmcnt(0)
	s_barrier
	s_cbranch_scc0 .LBB85_148
.LBB85_140:                             ; =>This Loop Header: Depth=1
                                        ;     Child Loop BB85_141 Depth 2
                                        ;     Child Loop BB85_147 Depth 2
	s_lshl_b64 s[2:3], s[6:7], 2
	s_add_u32 s16, s22, s2
	s_addc_u32 s17, s24, s3
	global_load_dword v3, v0, s[16:17]
	s_add_i32 s28, s6, 1
	s_mov_b64 s[14:15], s[10:11]
	s_mov_b32 s4, s6
	s_mov_b32 s5, s28
.LBB85_141:                             ;   Parent Loop BB85_140 Depth=1
                                        ; =>  This Inner Loop Header: Depth=2
	global_load_dword v4, v0, s[14:15]
	s_waitcnt vmcnt(0)
	v_cmp_lt_f32_e64 s[2:3], v4, v3
	v_cndmask_b32_e64 v3, v3, v4, s[2:3]
	s_and_b64 s[2:3], s[2:3], exec
	s_cselect_b32 s4, s5, s4
	s_add_i32 s5, s5, 1
	s_add_u32 s14, s14, 4
	s_addc_u32 s15, s15, 0
	s_cmp_lg_u32 s23, s5
	s_cbranch_scc1 .LBB85_141
; %bb.142:                              ;   in Loop: Header=BB85_140 Depth=1
	s_cmp_lg_u32 s4, s6
	s_cselect_b64 s[2:3], -1, 0
	s_and_b64 s[2:3], s[0:1], s[2:3]
	s_barrier
	s_and_saveexec_b64 s[14:15], s[2:3]
	s_cbranch_execz .LBB85_139
; %bb.143:                              ;   in Loop: Header=BB85_140 Depth=1
	s_and_saveexec_b64 s[2:3], vcc
	s_cbranch_execz .LBB85_145
; %bb.144:                              ;   in Loop: Header=BB85_140 Depth=1
	global_load_dword v4, v0, s[16:17]
	s_ashr_i32 s5, s4, 31
	s_lshl_b64 s[20:21], s[4:5], 2
	s_add_u32 s20, s22, s20
	s_addc_u32 s21, s24, s21
	s_waitcnt vmcnt(0)
	global_store_dword v0, v4, s[20:21]
	global_store_dword v0, v3, s[16:17]
.LBB85_145:                             ;   in Loop: Header=BB85_140 Depth=1
	s_or_b64 exec, exec, s[2:3]
	s_and_b64 exec, exec, s[8:9]
	s_cbranch_execz .LBB85_139
; %bb.146:                              ;   in Loop: Header=BB85_140 Depth=1
	s_mul_i32 s2, s4, s27
	v_add_u32_e32 v5, s2, v1
	v_ashrrev_i32_e32 v3, 31, v2
	v_ashrrev_i32_e32 v6, 31, v5
	v_lshlrev_b64 v[3:4], 3, v[2:3]
	v_lshlrev_b64 v[5:6], 3, v[5:6]
	s_mov_b64 s[16:17], 0
	s_mov_b64 s[20:21], s[18:19]
	v_mov_b32_e32 v7, v1
.LBB85_147:                             ;   Parent Loop BB85_140 Depth=1
                                        ; =>  This Inner Loop Header: Depth=2
	v_mov_b32_e32 v9, s21
	v_add_co_u32_e64 v8, s[2:3], s20, v3
	v_add_co_u32_e64 v10, s[4:5], s20, v5
	v_addc_co_u32_e64 v11, s[4:5], v9, v6, s[4:5]
	v_addc_co_u32_e64 v9, s[2:3], v9, v4, s[2:3]
	global_load_dwordx2 v[12:13], v[8:9], off
	global_load_dwordx2 v[14:15], v[10:11], off
	v_add_u32_e32 v7, s26, v7
	s_add_u32 s20, s20, s12
	s_addc_u32 s21, s21, s13
	v_cmp_le_i32_e64 s[2:3], s23, v7
	s_or_b64 s[16:17], s[2:3], s[16:17]
	s_waitcnt vmcnt(1)
	global_store_dwordx2 v[10:11], v[12:13], off
	s_waitcnt vmcnt(1)
	global_store_dwordx2 v[8:9], v[14:15], off
	s_andn2_b64 exec, exec, s[16:17]
	s_cbranch_execnz .LBB85_147
	s_branch .LBB85_139
.LBB85_148:
	s_endpgm
	.section	.rodata,"a",@progbits
	.p2align	6, 0x0
	.amdhsa_kernel _ZN9rocsolver6v33100L18syevj_small_kernelI19rocblas_complex_numIfEfPS3_EEv14rocblas_esort_14rocblas_evect_13rocblas_fill_iT1_iilT0_S9_PS9_iPiSA_lSB_PT_
		.amdhsa_group_segment_fixed_size 0
		.amdhsa_private_segment_fixed_size 0
		.amdhsa_kernarg_size 104
		.amdhsa_user_sgpr_count 6
		.amdhsa_user_sgpr_private_segment_buffer 1
		.amdhsa_user_sgpr_dispatch_ptr 0
		.amdhsa_user_sgpr_queue_ptr 0
		.amdhsa_user_sgpr_kernarg_segment_ptr 1
		.amdhsa_user_sgpr_dispatch_id 0
		.amdhsa_user_sgpr_flat_scratch_init 0
		.amdhsa_user_sgpr_private_segment_size 0
		.amdhsa_uses_dynamic_stack 0
		.amdhsa_system_sgpr_private_segment_wavefront_offset 0
		.amdhsa_system_sgpr_workgroup_id_x 1
		.amdhsa_system_sgpr_workgroup_id_y 0
		.amdhsa_system_sgpr_workgroup_id_z 1
		.amdhsa_system_sgpr_workgroup_info 0
		.amdhsa_system_vgpr_workitem_id 0
		.amdhsa_next_free_vgpr 40
		.amdhsa_next_free_sgpr 86
		.amdhsa_reserve_vcc 1
		.amdhsa_reserve_flat_scratch 0
		.amdhsa_float_round_mode_32 0
		.amdhsa_float_round_mode_16_64 0
		.amdhsa_float_denorm_mode_32 3
		.amdhsa_float_denorm_mode_16_64 3
		.amdhsa_dx10_clamp 1
		.amdhsa_ieee_mode 1
		.amdhsa_fp16_overflow 0
		.amdhsa_exception_fp_ieee_invalid_op 0
		.amdhsa_exception_fp_denorm_src 0
		.amdhsa_exception_fp_ieee_div_zero 0
		.amdhsa_exception_fp_ieee_overflow 0
		.amdhsa_exception_fp_ieee_underflow 0
		.amdhsa_exception_fp_ieee_inexact 0
		.amdhsa_exception_int_div_zero 0
	.end_amdhsa_kernel
	.section	.text._ZN9rocsolver6v33100L18syevj_small_kernelI19rocblas_complex_numIfEfPS3_EEv14rocblas_esort_14rocblas_evect_13rocblas_fill_iT1_iilT0_S9_PS9_iPiSA_lSB_PT_,"axG",@progbits,_ZN9rocsolver6v33100L18syevj_small_kernelI19rocblas_complex_numIfEfPS3_EEv14rocblas_esort_14rocblas_evect_13rocblas_fill_iT1_iilT0_S9_PS9_iPiSA_lSB_PT_,comdat
.Lfunc_end85:
	.size	_ZN9rocsolver6v33100L18syevj_small_kernelI19rocblas_complex_numIfEfPS3_EEv14rocblas_esort_14rocblas_evect_13rocblas_fill_iT1_iilT0_S9_PS9_iPiSA_lSB_PT_, .Lfunc_end85-_ZN9rocsolver6v33100L18syevj_small_kernelI19rocblas_complex_numIfEfPS3_EEv14rocblas_esort_14rocblas_evect_13rocblas_fill_iT1_iilT0_S9_PS9_iPiSA_lSB_PT_
                                        ; -- End function
	.set _ZN9rocsolver6v33100L18syevj_small_kernelI19rocblas_complex_numIfEfPS3_EEv14rocblas_esort_14rocblas_evect_13rocblas_fill_iT1_iilT0_S9_PS9_iPiSA_lSB_PT_.num_vgpr, 40
	.set _ZN9rocsolver6v33100L18syevj_small_kernelI19rocblas_complex_numIfEfPS3_EEv14rocblas_esort_14rocblas_evect_13rocblas_fill_iT1_iilT0_S9_PS9_iPiSA_lSB_PT_.num_agpr, 0
	.set _ZN9rocsolver6v33100L18syevj_small_kernelI19rocblas_complex_numIfEfPS3_EEv14rocblas_esort_14rocblas_evect_13rocblas_fill_iT1_iilT0_S9_PS9_iPiSA_lSB_PT_.numbered_sgpr, 86
	.set _ZN9rocsolver6v33100L18syevj_small_kernelI19rocblas_complex_numIfEfPS3_EEv14rocblas_esort_14rocblas_evect_13rocblas_fill_iT1_iilT0_S9_PS9_iPiSA_lSB_PT_.num_named_barrier, 0
	.set _ZN9rocsolver6v33100L18syevj_small_kernelI19rocblas_complex_numIfEfPS3_EEv14rocblas_esort_14rocblas_evect_13rocblas_fill_iT1_iilT0_S9_PS9_iPiSA_lSB_PT_.private_seg_size, 0
	.set _ZN9rocsolver6v33100L18syevj_small_kernelI19rocblas_complex_numIfEfPS3_EEv14rocblas_esort_14rocblas_evect_13rocblas_fill_iT1_iilT0_S9_PS9_iPiSA_lSB_PT_.uses_vcc, 1
	.set _ZN9rocsolver6v33100L18syevj_small_kernelI19rocblas_complex_numIfEfPS3_EEv14rocblas_esort_14rocblas_evect_13rocblas_fill_iT1_iilT0_S9_PS9_iPiSA_lSB_PT_.uses_flat_scratch, 0
	.set _ZN9rocsolver6v33100L18syevj_small_kernelI19rocblas_complex_numIfEfPS3_EEv14rocblas_esort_14rocblas_evect_13rocblas_fill_iT1_iilT0_S9_PS9_iPiSA_lSB_PT_.has_dyn_sized_stack, 0
	.set _ZN9rocsolver6v33100L18syevj_small_kernelI19rocblas_complex_numIfEfPS3_EEv14rocblas_esort_14rocblas_evect_13rocblas_fill_iT1_iilT0_S9_PS9_iPiSA_lSB_PT_.has_recursion, 0
	.set _ZN9rocsolver6v33100L18syevj_small_kernelI19rocblas_complex_numIfEfPS3_EEv14rocblas_esort_14rocblas_evect_13rocblas_fill_iT1_iilT0_S9_PS9_iPiSA_lSB_PT_.has_indirect_call, 0
	.section	.AMDGPU.csdata,"",@progbits
; Kernel info:
; codeLenInByte = 7400
; TotalNumSgprs: 90
; NumVgprs: 40
; ScratchSize: 0
; MemoryBound: 0
; FloatMode: 240
; IeeeMode: 1
; LDSByteSize: 0 bytes/workgroup (compile time only)
; SGPRBlocks: 11
; VGPRBlocks: 9
; NumSGPRsForWavesPerEU: 90
; NumVGPRsForWavesPerEU: 40
; Occupancy: 6
; WaveLimiterHint : 0
; COMPUTE_PGM_RSRC2:SCRATCH_EN: 0
; COMPUTE_PGM_RSRC2:USER_SGPR: 6
; COMPUTE_PGM_RSRC2:TRAP_HANDLER: 0
; COMPUTE_PGM_RSRC2:TGID_X_EN: 1
; COMPUTE_PGM_RSRC2:TGID_Y_EN: 0
; COMPUTE_PGM_RSRC2:TGID_Z_EN: 1
; COMPUTE_PGM_RSRC2:TIDIG_COMP_CNT: 0
	.section	.text._ZN9rocsolver6v33100L10syevj_initI19rocblas_complex_numIfEfPS3_EEv14rocblas_evect_13rocblas_fill_iiT1_iilT0_PS8_PT_S9_PiSC_SC_,"axG",@progbits,_ZN9rocsolver6v33100L10syevj_initI19rocblas_complex_numIfEfPS3_EEv14rocblas_evect_13rocblas_fill_iiT1_iilT0_PS8_PT_S9_PiSC_SC_,comdat
	.globl	_ZN9rocsolver6v33100L10syevj_initI19rocblas_complex_numIfEfPS3_EEv14rocblas_evect_13rocblas_fill_iiT1_iilT0_PS8_PT_S9_PiSC_SC_ ; -- Begin function _ZN9rocsolver6v33100L10syevj_initI19rocblas_complex_numIfEfPS3_EEv14rocblas_evect_13rocblas_fill_iiT1_iilT0_PS8_PT_S9_PiSC_SC_
	.p2align	8
	.type	_ZN9rocsolver6v33100L10syevj_initI19rocblas_complex_numIfEfPS3_EEv14rocblas_evect_13rocblas_fill_iiT1_iilT0_PS8_PT_S9_PiSC_SC_,@function
_ZN9rocsolver6v33100L10syevj_initI19rocblas_complex_numIfEfPS3_EEv14rocblas_evect_13rocblas_fill_iiT1_iilT0_PS8_PT_S9_PiSC_SC_: ; @_ZN9rocsolver6v33100L10syevj_initI19rocblas_complex_numIfEfPS3_EEv14rocblas_evect_13rocblas_fill_iiT1_iilT0_PS8_PT_S9_PiSC_SC_
; %bb.0:
	s_load_dword s2, s[4:5], 0x6c
	s_load_dwordx8 s[8:15], s[4:5], 0x0
	s_load_dwordx4 s[24:27], s[4:5], 0x50
	s_load_dwordx2 s[0:1], s[4:5], 0x20
	s_load_dwordx8 s[16:23], s[4:5], 0x30
	s_mov_b32 s6, s7
	s_ashr_i32 s7, s7, 31
	s_waitcnt lgkmcnt(0)
	s_and_b32 s33, s2, 0xffff
	s_mul_hi_u32 s2, s0, s6
	s_mul_i32 s3, s0, s7
	s_add_i32 s2, s2, s3
	s_mul_i32 s1, s1, s6
	s_add_i32 s1, s2, s1
	s_mul_i32 s0, s0, s6
	s_ashr_i32 s29, s14, 31
	s_lshl_b64 s[2:3], s[0:1], 3
	s_mov_b32 s28, s14
	s_add_u32 s0, s12, s2
	s_addc_u32 s1, s13, s3
	s_lshl_b64 s[34:35], s[28:29], 3
	s_add_u32 s14, s0, s34
	s_mul_i32 s0, s11, s6
	s_mul_i32 s0, s0, s11
	s_addc_u32 s44, s1, s35
	s_ashr_i32 s1, s0, 31
	s_lshl_b64 s[28:29], s[0:1], 3
	s_add_u32 s45, s18, s28
	s_addc_u32 s46, s19, s29
	s_cmpk_eq_i32 s9, 0x79
	v_cmp_gt_i32_e64 s[0:1], s11, v0
	s_cbranch_scc1 .LBB86_12
; %bb.1:
	v_mov_b32_e32 v20, 0
	v_mov_b32_e32 v21, 0
	s_and_saveexec_b64 s[30:31], s[0:1]
	s_cbranch_execz .LBB86_14
; %bb.2:
	s_add_i32 s9, s11, 1
	s_cmpk_lg_i32 s8, 0xd5
	s_cselect_b64 s[40:41], -1, 0
	s_add_u32 s36, s18, s28
	s_addc_u32 s37, s19, s29
	s_add_u32 s48, s36, 4
	s_addc_u32 s49, s37, 0
	;; [unrolled: 2-line block ×3, first 2 shown]
	s_add_u32 s2, s12, s2
	v_lshlrev_b32_e32 v2, 3, v0
	s_addc_u32 s3, s13, s3
	v_mov_b32_e32 v3, s3
	v_add_co_u32_e32 v5, vcc, s2, v2
	v_addc_co_u32_e32 v3, vcc, 0, v3, vcc
	v_add_co_u32_e32 v5, vcc, 4, v5
	v_addc_co_u32_e32 v6, vcc, 0, v3, vcc
	v_mul_lo_u32 v22, v0, s15
	v_mul_lo_u32 v1, v0, s11
	v_mov_b32_e32 v3, s37
	v_add_co_u32_e32 v2, vcc, s36, v2
	s_ashr_i32 s3, s15, 31
	s_mov_b32 s2, s15
	v_addc_co_u32_e32 v3, vcc, 0, v3, vcc
	v_mov_b32_e32 v4, 0
	s_lshl_b64 s[12:13], s[2:3], 3
	v_add_co_u32_e32 v7, vcc, 4, v2
	s_ashr_i32 s3, s11, 31
	s_mov_b32 s2, s11
	v_cndmask_b32_e64 v2, 0, 1, s[40:41]
	s_mul_i32 s47, s15, s33
	s_mul_i32 s50, s11, s33
	s_mov_b32 s34, 0
	s_lshl_b32 s51, s33, 3
	v_addc_co_u32_e32 v8, vcc, 0, v3, vcc
	s_lshl_b64 s[38:39], s[2:3], 3
	s_mov_b64 s[36:37], 0
	v_mov_b32_e32 v23, s44
	v_mov_b32_e32 v24, s46
	v_cmp_ne_u32_e64 s[2:3], 1, v2
	v_mov_b32_e32 v3, 1.0
	v_mov_b32_e32 v9, v0
	v_mov_b32_e32 v20, v4
	;; [unrolled: 1-line block ×3, first 2 shown]
	s_branch .LBB86_5
.LBB86_3:                               ;   in Loop: Header=BB86_5 Depth=1
	s_or_b64 exec, exec, s[42:43]
.LBB86_4:                               ;   in Loop: Header=BB86_5 Depth=1
	s_or_b64 exec, exec, s[40:41]
	v_add_co_u32_e32 v5, vcc, s51, v5
	v_add_u32_e32 v9, s33, v9
	v_addc_co_u32_e32 v6, vcc, 0, v6, vcc
	v_mul_f32_e32 v2, v11, v11
	v_cmp_le_i32_e32 vcc, s11, v9
	v_fmac_f32_e32 v2, v10, v10
	s_or_b64 s[36:37], vcc, s[36:37]
	v_add_co_u32_e32 v7, vcc, s51, v7
	v_add_f32_e32 v21, v21, v2
	v_add_u32_e32 v22, s47, v22
	v_add_u32_e32 v1, s50, v1
	v_addc_co_u32_e32 v8, vcc, 0, v8, vcc
	s_andn2_b64 exec, exec, s[36:37]
	s_cbranch_execz .LBB86_13
.LBB86_5:                               ; =>This Loop Header: Depth=1
                                        ;     Child Loop BB86_10 Depth 2
	v_mad_u64_u32 v[10:11], s[40:41], v9, s15, v[9:10]
	v_mul_lo_u32 v14, v9, s9
	v_ashrrev_i32_e32 v11, 31, v10
	v_lshlrev_b64 v[10:11], 3, v[10:11]
	v_ashrrev_i32_e32 v15, 31, v14
	v_add_co_u32_e32 v12, vcc, s14, v10
	v_addc_co_u32_e32 v13, vcc, v23, v11, vcc
	global_load_dwordx2 v[10:11], v[12:13], off
	v_lshlrev_b64 v[14:15], 3, v[14:15]
	v_add_co_u32_e32 v14, vcc, s45, v14
	v_addc_co_u32_e32 v15, vcc, v24, v15, vcc
	s_and_b64 vcc, exec, s[2:3]
	s_waitcnt vmcnt(0)
	global_store_dwordx2 v[14:15], v[10:11], off
	s_cbranch_vccnz .LBB86_7
; %bb.6:                                ;   in Loop: Header=BB86_5 Depth=1
	global_store_dwordx2 v[12:13], v[3:4], off
.LBB86_7:                               ;   in Loop: Header=BB86_5 Depth=1
	v_cmp_ne_u32_e32 vcc, 0, v9
	s_and_saveexec_b64 s[40:41], vcc
	s_cbranch_execz .LBB86_4
; %bb.8:                                ;   in Loop: Header=BB86_5 Depth=1
	v_ashrrev_i32_e32 v2, 31, v1
	v_lshlrev_b64 v[12:13], 3, v[1:2]
	v_mov_b32_e32 v2, s49
	v_add_co_u32_e32 v12, vcc, s48, v12
	v_mov_b32_e32 v15, v8
	v_mov_b32_e32 v17, v6
	v_addc_co_u32_e32 v13, vcc, v2, v13, vcc
	s_mov_b32 s52, 0
	s_mov_b64 s[42:43], 0
	v_mov_b32_e32 v14, v7
	v_mov_b32_e32 v16, v5
	s_branch .LBB86_10
.LBB86_9:                               ;   in Loop: Header=BB86_10 Depth=2
	v_mul_f32_e32 v2, v19, v19
	v_add_co_u32_e32 v12, vcc, 8, v12
	v_fmac_f32_e32 v2, v18, v18
	v_addc_co_u32_e32 v13, vcc, 0, v13, vcc
	v_fmac_f32_e32 v20, 2.0, v2
	v_mov_b32_e32 v2, s13
	v_add_co_u32_e32 v16, vcc, s12, v16
	s_add_i32 s52, s52, 1
	v_addc_co_u32_e32 v17, vcc, v17, v2, vcc
	v_cmp_eq_u32_e32 vcc, s52, v9
	v_mov_b32_e32 v2, s39
	s_or_b64 s[42:43], vcc, s[42:43]
	v_add_co_u32_e32 v14, vcc, s38, v14
	v_addc_co_u32_e32 v15, vcc, v15, v2, vcc
	s_andn2_b64 exec, exec, s[42:43]
	s_cbranch_execz .LBB86_3
.LBB86_10:                              ;   Parent Loop BB86_5 Depth=1
                                        ; =>  This Inner Loop Header: Depth=2
	global_load_dwordx2 v[18:19], v[16:17], off offset:-4
	s_and_b64 vcc, exec, s[2:3]
	s_waitcnt vmcnt(0)
	v_xor_b32_e32 v26, 0x80000000, v19
	v_mov_b32_e32 v25, v18
	global_store_dwordx2 v[14:15], v[18:19], off offset:-4
	global_store_dwordx2 v[12:13], v[25:26], off offset:-4
	s_cbranch_vccnz .LBB86_9
; %bb.11:                               ;   in Loop: Header=BB86_10 Depth=2
	v_add_u32_e32 v25, s52, v22
	v_ashrrev_i32_e32 v26, 31, v25
	v_lshlrev_b64 v[25:26], 3, v[25:26]
	s_mov_b32 s35, s34
	v_mov_b32_e32 v27, s34
	v_mov_b32_e32 v2, s44
	v_add_co_u32_e32 v25, vcc, s14, v25
	v_mov_b32_e32 v28, s35
	v_addc_co_u32_e32 v26, vcc, v2, v26, vcc
	global_store_dwordx2 v[16:17], v[27:28], off offset:-4
	global_store_dwordx2 v[25:26], v[27:28], off
	s_branch .LBB86_9
.LBB86_12:
                                        ; implicit-def: $vgpr20
                                        ; implicit-def: $vgpr21
	s_branch .LBB86_15
.LBB86_13:
	s_or_b64 exec, exec, s[36:37]
.LBB86_14:
	s_or_b64 exec, exec, s[30:31]
	s_cbranch_execnz .LBB86_28
.LBB86_15:
	v_mov_b32_e32 v20, 0
	v_mov_b32_e32 v21, 0
	s_and_saveexec_b64 s[2:3], s[0:1]
	s_cbranch_execz .LBB86_27
; %bb.16:
	s_add_i32 s30, s11, 1
	s_cmpk_lg_i32 s8, 0xd5
	s_cselect_b64 s[0:1], -1, 0
	s_add_i32 s31, s11, -1
	s_mul_i32 s8, s15, s31
	v_add_u32_e32 v17, s8, v0
	s_mul_i32 s8, s11, s31
	v_mul_lo_u32 v1, s11, v0
	v_add_u32_e32 v18, s8, v0
	s_add_u32 s8, s18, s28
	v_mul_lo_u32 v19, v0, s15
	s_addc_u32 s9, s19, s29
	s_add_u32 s34, s8, 4
	v_mov_b32_e32 v4, 0
	v_cndmask_b32_e64 v2, 0, 1, s[0:1]
	s_addc_u32 s35, s9, 0
	v_add_u32_e32 v1, s31, v1
	s_mul_i32 s36, s11, s33
	s_mul_i32 s37, s15, s33
	s_mov_b64 s[8:9], 0
	v_mov_b32_e32 v22, s44
	v_mov_b32_e32 v23, s46
	v_cmp_ne_u32_e64 s[0:1], 1, v2
	s_mov_b32 s12, 0
	v_mov_b32_e32 v3, 1.0
	v_mov_b32_e32 v5, v0
	v_mov_b32_e32 v20, v4
	;; [unrolled: 1-line block ×3, first 2 shown]
	s_branch .LBB86_19
.LBB86_17:                              ;   in Loop: Header=BB86_19 Depth=1
	s_or_b64 exec, exec, s[28:29]
.LBB86_18:                              ;   in Loop: Header=BB86_19 Depth=1
	s_or_b64 exec, exec, s[18:19]
	v_mul_f32_e32 v2, v7, v7
	v_add_u32_e32 v5, s33, v5
	v_fmac_f32_e32 v2, v6, v6
	v_cmp_le_i32_e32 vcc, s11, v5
	v_add_f32_e32 v21, v21, v2
	v_add_u32_e32 v17, s33, v17
	v_add_u32_e32 v18, s33, v18
	;; [unrolled: 1-line block ×3, first 2 shown]
	s_or_b64 s[8:9], vcc, s[8:9]
	v_add_u32_e32 v19, s37, v19
	s_andn2_b64 exec, exec, s[8:9]
	s_cbranch_execz .LBB86_26
.LBB86_19:                              ; =>This Loop Header: Depth=1
                                        ;     Child Loop BB86_24 Depth 2
	v_mad_u64_u32 v[6:7], s[18:19], v5, s15, v[5:6]
	v_mul_lo_u32 v10, v5, s30
	v_ashrrev_i32_e32 v7, 31, v6
	v_lshlrev_b64 v[6:7], 3, v[6:7]
	v_ashrrev_i32_e32 v11, 31, v10
	v_add_co_u32_e32 v8, vcc, s14, v6
	v_addc_co_u32_e32 v9, vcc, v22, v7, vcc
	global_load_dwordx2 v[6:7], v[8:9], off
	v_lshlrev_b64 v[10:11], 3, v[10:11]
	v_add_co_u32_e32 v10, vcc, s45, v10
	v_addc_co_u32_e32 v11, vcc, v23, v11, vcc
	s_and_b64 vcc, exec, s[0:1]
	s_waitcnt vmcnt(0)
	global_store_dwordx2 v[10:11], v[6:7], off
	s_cbranch_vccnz .LBB86_21
; %bb.20:                               ;   in Loop: Header=BB86_19 Depth=1
	global_store_dwordx2 v[8:9], v[3:4], off
.LBB86_21:                              ;   in Loop: Header=BB86_19 Depth=1
	v_cmp_gt_i32_e32 vcc, s31, v5
	s_and_saveexec_b64 s[18:19], vcc
	s_cbranch_execz .LBB86_18
; %bb.22:                               ;   in Loop: Header=BB86_19 Depth=1
	v_ashrrev_i32_e32 v2, 31, v1
	v_lshlrev_b64 v[8:9], 3, v[1:2]
	v_mov_b32_e32 v2, s35
	v_add_co_u32_e32 v8, vcc, s34, v8
	v_addc_co_u32_e32 v9, vcc, v2, v9, vcc
	s_mov_b64 s[28:29], 0
	v_mov_b32_e32 v10, v18
	v_mov_b32_e32 v12, v17
	s_mov_b32 s38, s31
	s_branch .LBB86_24
.LBB86_23:                              ;   in Loop: Header=BB86_24 Depth=2
	s_add_i32 s38, s38, -1
	v_mul_f32_e32 v2, v14, v14
	v_cmp_le_i32_e32 vcc, s38, v5
	v_fmac_f32_e32 v2, v13, v13
	s_or_b64 s[28:29], vcc, s[28:29]
	v_add_co_u32_e32 v8, vcc, -8, v8
	v_fmac_f32_e32 v20, 2.0, v2
	v_subrev_u32_e32 v12, s15, v12
	v_subrev_u32_e32 v10, s11, v10
	v_addc_co_u32_e32 v9, vcc, -1, v9, vcc
	s_andn2_b64 exec, exec, s[28:29]
	s_cbranch_execz .LBB86_17
.LBB86_24:                              ;   Parent Loop BB86_19 Depth=1
                                        ; =>  This Inner Loop Header: Depth=2
	v_ashrrev_i32_e32 v13, 31, v12
	v_lshlrev_b64 v[13:14], 3, v[12:13]
	v_mov_b32_e32 v2, s44
	v_add_co_u32_e32 v15, vcc, s14, v13
	v_addc_co_u32_e32 v16, vcc, v2, v14, vcc
	global_load_dwordx2 v[13:14], v[15:16], off
	v_ashrrev_i32_e32 v11, 31, v10
	v_lshlrev_b64 v[24:25], 3, v[10:11]
	v_mov_b32_e32 v2, s46
	v_add_co_u32_e32 v24, vcc, s45, v24
	v_addc_co_u32_e32 v25, vcc, v2, v25, vcc
	s_and_b64 vcc, exec, s[0:1]
	s_waitcnt vmcnt(0)
	global_store_dwordx2 v[24:25], v[13:14], off
	v_xor_b32_e32 v25, 0x80000000, v14
	v_mov_b32_e32 v24, v13
	global_store_dwordx2 v[8:9], v[24:25], off offset:-4
	s_cbranch_vccnz .LBB86_23
; %bb.25:                               ;   in Loop: Header=BB86_24 Depth=2
	v_add_u32_e32 v24, s38, v19
	v_ashrrev_i32_e32 v25, 31, v24
	v_lshlrev_b64 v[24:25], 3, v[24:25]
	s_mov_b32 s13, s12
	v_mov_b32_e32 v27, s13
	v_mov_b32_e32 v2, s44
	v_add_co_u32_e32 v24, vcc, s14, v24
	v_mov_b32_e32 v26, s12
	v_addc_co_u32_e32 v25, vcc, v2, v25, vcc
	global_store_dwordx2 v[15:16], v[26:27], off
	global_store_dwordx2 v[24:25], v[26:27], off
	s_branch .LBB86_23
.LBB86_26:
	s_or_b64 exec, exec, s[8:9]
.LBB86_27:
	s_or_b64 exec, exec, s[2:3]
.LBB86_28:
	s_lshl_b32 s8, s33, 2
	v_lshlrev_b32_e32 v1, 2, v0
	s_add_i32 s0, s8, 0
	v_add_u32_e32 v2, 0, v1
	ds_write_b32 v2, v20
	v_add_u32_e32 v2, s0, v1
	v_cmp_eq_u32_e32 vcc, 0, v0
	ds_write_b32 v2, v21
	s_waitcnt vmcnt(0) lgkmcnt(0)
	s_barrier
	s_and_saveexec_b64 s[0:1], vcc
	s_cbranch_execz .LBB86_40
; %bb.29:
	s_min_i32 s3, s11, s33
	s_cmp_lt_i32 s3, 2
	s_cbranch_scc1 .LBB86_37
; %bb.30:
	s_add_i32 s2, s3, -1
	s_add_i32 s3, s3, -2
	s_cmp_lt_u32 s3, 7
	s_cbranch_scc1 .LBB86_34
; %bb.31:
	s_and_b32 s3, s2, -8
	s_mov_b32 s11, 0
	s_add_i32 s9, 0, 4
.LBB86_32:                              ; =>This Inner Loop Header: Depth=1
	s_add_i32 s13, s9, s8
	v_mov_b32_e32 v8, s9
	v_mov_b32_e32 v16, s13
	ds_read2_b32 v[2:3], v8 offset1:1
	ds_read2_b32 v[4:5], v8 offset0:2 offset1:3
	ds_read2_b32 v[6:7], v8 offset0:4 offset1:5
	;; [unrolled: 1-line block ×3, first 2 shown]
	ds_read2_b32 v[10:11], v16 offset1:1
	ds_read2_b32 v[12:13], v16 offset0:2 offset1:3
	ds_read2_b32 v[14:15], v16 offset0:4 offset1:5
	;; [unrolled: 1-line block ×3, first 2 shown]
	s_waitcnt lgkmcnt(7)
	v_add_f32_e32 v2, v20, v2
	s_waitcnt lgkmcnt(3)
	v_add_f32_e32 v10, v21, v10
	v_add_f32_e32 v2, v2, v3
	v_add_f32_e32 v3, v10, v11
	v_add_f32_e32 v2, v2, v4
	s_waitcnt lgkmcnt(2)
	v_add_f32_e32 v3, v3, v12
	v_add_f32_e32 v2, v2, v5
	v_add_f32_e32 v3, v3, v13
	;; [unrolled: 5-line block ×3, first 2 shown]
	s_mov_b32 s12, s11
	s_add_i32 s9, s9, 32
	s_add_i32 s11, s11, 8
	v_add_f32_e32 v2, v2, v8
	s_waitcnt lgkmcnt(0)
	v_add_f32_e32 v3, v3, v16
	s_cmp_lg_u32 s3, s11
	v_add_f32_e32 v20, v2, v9
	v_add_f32_e32 v21, v3, v17
	s_cbranch_scc1 .LBB86_32
; %bb.33:
	s_add_i32 s3, s12, 9
	s_and_b32 s2, s2, 7
	s_cmp_eq_u32 s2, 0
	s_cbranch_scc0 .LBB86_35
	s_branch .LBB86_37
.LBB86_34:
	s_mov_b32 s3, 1
	s_and_b32 s2, s2, 7
	s_cmp_eq_u32 s2, 0
	s_cbranch_scc1 .LBB86_37
.LBB86_35:
	s_lshl_b32 s3, s3, 2
	s_add_i32 s3, s3, 0
.LBB86_36:                              ; =>This Inner Loop Header: Depth=1
	s_add_i32 s9, s3, s8
	v_mov_b32_e32 v2, s3
	v_mov_b32_e32 v3, s9
	ds_read_b32 v2, v2
	ds_read_b32 v3, v3
	s_add_i32 s3, s3, 4
	s_add_i32 s2, s2, -1
	s_cmp_lg_u32 s2, 0
	s_waitcnt lgkmcnt(1)
	v_add_f32_e32 v20, v20, v2
	s_waitcnt lgkmcnt(0)
	v_add_f32_e32 v21, v21, v3
	s_cbranch_scc1 .LBB86_36
.LBB86_37:
	s_load_dword s9, s[4:5], 0x28
	s_lshl_b64 s[2:3], s[6:7], 2
	s_add_u32 s4, s20, s2
	v_add_f32_e32 v2, v21, v20
	s_addc_u32 s5, s21, s3
	s_waitcnt lgkmcnt(0)
	v_mul_f32_e32 v2, s9, v2
	s_add_u32 s12, s16, s2
	v_mul_f32_e32 v3, s9, v2
	v_mov_b32_e32 v2, 0
	s_addc_u32 s13, s17, s3
	global_store_dword v2, v3, s[4:5]
	global_store_dword v2, v20, s[12:13]
	global_load_dword v3, v2, s[4:5]
	s_waitcnt vmcnt(0)
	v_cmp_lt_f32_e32 vcc, v20, v3
	s_and_b64 exec, exec, vcc
	s_cbranch_execz .LBB86_40
; %bb.38:
	s_add_u32 s2, s26, s2
	s_mov_b64 s[4:5], exec
	s_addc_u32 s3, s27, s3
	v_mov_b32_e32 v3, 1
	global_store_dword v2, v3, s[2:3] offset:4
	v_mbcnt_lo_u32_b32 v2, s4, 0
	v_mbcnt_hi_u32_b32 v2, s5, v2
	v_cmp_eq_u32_e32 vcc, 0, v2
	s_and_b64 s[2:3], exec, vcc
	s_mov_b64 exec, s[2:3]
	s_cbranch_execz .LBB86_40
; %bb.39:
	s_bcnt1_i32_b64 s2, s[4:5]
	v_mov_b32_e32 v2, 0
	v_mov_b32_e32 v3, s2
	global_atomic_add v2, v3, s[26:27]
.LBB86_40:
	s_or_b64 exec, exec, s[0:1]
	s_cmp_eq_u32 s6, 0
	s_cselect_b64 s[2:3], -1, 0
	s_cmp_lg_u64 s[22:23], 0
	s_cselect_b64 s[4:5], -1, 0
	s_cmp_lg_u64 s[24:25], 0
	s_cselect_b64 s[6:7], -1, 0
	s_and_b64 s[4:5], s[4:5], s[6:7]
	s_and_b64 s[2:3], s[4:5], s[2:3]
	v_cmp_gt_i32_e32 vcc, s10, v0
	s_mov_b64 s[0:1], 0
	s_and_b64 s[2:3], s[2:3], vcc
	s_and_saveexec_b64 s[4:5], s[2:3]
	s_cbranch_execz .LBB86_43
; %bb.41:
	v_lshlrev_b32_e32 v2, 1, v0
	s_lshl_b32 s2, s33, 1
	v_mov_b32_e32 v3, 0
	v_mov_b32_e32 v4, s23
	;; [unrolled: 1-line block ×3, first 2 shown]
.LBB86_42:                              ; =>This Inner Loop Header: Depth=1
	v_add_co_u32_e32 v6, vcc, s22, v1
	v_addc_co_u32_e32 v7, vcc, v4, v3, vcc
	v_add_co_u32_e32 v8, vcc, s24, v1
	v_addc_co_u32_e32 v9, vcc, v5, v3, vcc
	v_add_co_u32_e32 v1, vcc, s8, v1
	v_add_u32_e32 v0, s33, v0
	v_addc_co_u32_e32 v3, vcc, 0, v3, vcc
	v_cmp_le_i32_e32 vcc, s10, v0
	v_add_u32_e32 v10, 1, v2
	global_store_dword v[6:7], v2, off
	global_store_dword v[8:9], v10, off
	s_or_b64 s[0:1], vcc, s[0:1]
	v_add_u32_e32 v2, s2, v2
	s_andn2_b64 exec, exec, s[0:1]
	s_cbranch_execnz .LBB86_42
.LBB86_43:
	s_endpgm
	.section	.rodata,"a",@progbits
	.p2align	6, 0x0
	.amdhsa_kernel _ZN9rocsolver6v33100L10syevj_initI19rocblas_complex_numIfEfPS3_EEv14rocblas_evect_13rocblas_fill_iiT1_iilT0_PS8_PT_S9_PiSC_SC_
		.amdhsa_group_segment_fixed_size 0
		.amdhsa_private_segment_fixed_size 0
		.amdhsa_kernarg_size 352
		.amdhsa_user_sgpr_count 6
		.amdhsa_user_sgpr_private_segment_buffer 1
		.amdhsa_user_sgpr_dispatch_ptr 0
		.amdhsa_user_sgpr_queue_ptr 0
		.amdhsa_user_sgpr_kernarg_segment_ptr 1
		.amdhsa_user_sgpr_dispatch_id 0
		.amdhsa_user_sgpr_flat_scratch_init 0
		.amdhsa_user_sgpr_private_segment_size 0
		.amdhsa_uses_dynamic_stack 0
		.amdhsa_system_sgpr_private_segment_wavefront_offset 0
		.amdhsa_system_sgpr_workgroup_id_x 1
		.amdhsa_system_sgpr_workgroup_id_y 1
		.amdhsa_system_sgpr_workgroup_id_z 0
		.amdhsa_system_sgpr_workgroup_info 0
		.amdhsa_system_vgpr_workitem_id 0
		.amdhsa_next_free_vgpr 29
		.amdhsa_next_free_sgpr 53
		.amdhsa_reserve_vcc 1
		.amdhsa_reserve_flat_scratch 0
		.amdhsa_float_round_mode_32 0
		.amdhsa_float_round_mode_16_64 0
		.amdhsa_float_denorm_mode_32 3
		.amdhsa_float_denorm_mode_16_64 3
		.amdhsa_dx10_clamp 1
		.amdhsa_ieee_mode 1
		.amdhsa_fp16_overflow 0
		.amdhsa_exception_fp_ieee_invalid_op 0
		.amdhsa_exception_fp_denorm_src 0
		.amdhsa_exception_fp_ieee_div_zero 0
		.amdhsa_exception_fp_ieee_overflow 0
		.amdhsa_exception_fp_ieee_underflow 0
		.amdhsa_exception_fp_ieee_inexact 0
		.amdhsa_exception_int_div_zero 0
	.end_amdhsa_kernel
	.section	.text._ZN9rocsolver6v33100L10syevj_initI19rocblas_complex_numIfEfPS3_EEv14rocblas_evect_13rocblas_fill_iiT1_iilT0_PS8_PT_S9_PiSC_SC_,"axG",@progbits,_ZN9rocsolver6v33100L10syevj_initI19rocblas_complex_numIfEfPS3_EEv14rocblas_evect_13rocblas_fill_iiT1_iilT0_PS8_PT_S9_PiSC_SC_,comdat
.Lfunc_end86:
	.size	_ZN9rocsolver6v33100L10syevj_initI19rocblas_complex_numIfEfPS3_EEv14rocblas_evect_13rocblas_fill_iiT1_iilT0_PS8_PT_S9_PiSC_SC_, .Lfunc_end86-_ZN9rocsolver6v33100L10syevj_initI19rocblas_complex_numIfEfPS3_EEv14rocblas_evect_13rocblas_fill_iiT1_iilT0_PS8_PT_S9_PiSC_SC_
                                        ; -- End function
	.set _ZN9rocsolver6v33100L10syevj_initI19rocblas_complex_numIfEfPS3_EEv14rocblas_evect_13rocblas_fill_iiT1_iilT0_PS8_PT_S9_PiSC_SC_.num_vgpr, 29
	.set _ZN9rocsolver6v33100L10syevj_initI19rocblas_complex_numIfEfPS3_EEv14rocblas_evect_13rocblas_fill_iiT1_iilT0_PS8_PT_S9_PiSC_SC_.num_agpr, 0
	.set _ZN9rocsolver6v33100L10syevj_initI19rocblas_complex_numIfEfPS3_EEv14rocblas_evect_13rocblas_fill_iiT1_iilT0_PS8_PT_S9_PiSC_SC_.numbered_sgpr, 53
	.set _ZN9rocsolver6v33100L10syevj_initI19rocblas_complex_numIfEfPS3_EEv14rocblas_evect_13rocblas_fill_iiT1_iilT0_PS8_PT_S9_PiSC_SC_.num_named_barrier, 0
	.set _ZN9rocsolver6v33100L10syevj_initI19rocblas_complex_numIfEfPS3_EEv14rocblas_evect_13rocblas_fill_iiT1_iilT0_PS8_PT_S9_PiSC_SC_.private_seg_size, 0
	.set _ZN9rocsolver6v33100L10syevj_initI19rocblas_complex_numIfEfPS3_EEv14rocblas_evect_13rocblas_fill_iiT1_iilT0_PS8_PT_S9_PiSC_SC_.uses_vcc, 1
	.set _ZN9rocsolver6v33100L10syevj_initI19rocblas_complex_numIfEfPS3_EEv14rocblas_evect_13rocblas_fill_iiT1_iilT0_PS8_PT_S9_PiSC_SC_.uses_flat_scratch, 0
	.set _ZN9rocsolver6v33100L10syevj_initI19rocblas_complex_numIfEfPS3_EEv14rocblas_evect_13rocblas_fill_iiT1_iilT0_PS8_PT_S9_PiSC_SC_.has_dyn_sized_stack, 0
	.set _ZN9rocsolver6v33100L10syevj_initI19rocblas_complex_numIfEfPS3_EEv14rocblas_evect_13rocblas_fill_iiT1_iilT0_PS8_PT_S9_PiSC_SC_.has_recursion, 0
	.set _ZN9rocsolver6v33100L10syevj_initI19rocblas_complex_numIfEfPS3_EEv14rocblas_evect_13rocblas_fill_iiT1_iilT0_PS8_PT_S9_PiSC_SC_.has_indirect_call, 0
	.section	.AMDGPU.csdata,"",@progbits
; Kernel info:
; codeLenInByte = 2032
; TotalNumSgprs: 57
; NumVgprs: 29
; ScratchSize: 0
; MemoryBound: 0
; FloatMode: 240
; IeeeMode: 1
; LDSByteSize: 0 bytes/workgroup (compile time only)
; SGPRBlocks: 7
; VGPRBlocks: 7
; NumSGPRsForWavesPerEU: 57
; NumVGPRsForWavesPerEU: 29
; Occupancy: 8
; WaveLimiterHint : 0
; COMPUTE_PGM_RSRC2:SCRATCH_EN: 0
; COMPUTE_PGM_RSRC2:USER_SGPR: 6
; COMPUTE_PGM_RSRC2:TRAP_HANDLER: 0
; COMPUTE_PGM_RSRC2:TGID_X_EN: 1
; COMPUTE_PGM_RSRC2:TGID_Y_EN: 1
; COMPUTE_PGM_RSRC2:TGID_Z_EN: 0
; COMPUTE_PGM_RSRC2:TIDIG_COMP_CNT: 0
	.section	.text._ZN9rocsolver6v33100L17syevj_diag_kernelI19rocblas_complex_numIfEfPS3_EEviT1_iilT0_PT_Pi,"axG",@progbits,_ZN9rocsolver6v33100L17syevj_diag_kernelI19rocblas_complex_numIfEfPS3_EEviT1_iilT0_PT_Pi,comdat
	.globl	_ZN9rocsolver6v33100L17syevj_diag_kernelI19rocblas_complex_numIfEfPS3_EEviT1_iilT0_PT_Pi ; -- Begin function _ZN9rocsolver6v33100L17syevj_diag_kernelI19rocblas_complex_numIfEfPS3_EEviT1_iilT0_PT_Pi
	.p2align	8
	.type	_ZN9rocsolver6v33100L17syevj_diag_kernelI19rocblas_complex_numIfEfPS3_EEviT1_iilT0_PT_Pi,@function
_ZN9rocsolver6v33100L17syevj_diag_kernelI19rocblas_complex_numIfEfPS3_EEviT1_iilT0_PT_Pi: ; @_ZN9rocsolver6v33100L17syevj_diag_kernelI19rocblas_complex_numIfEfPS3_EEviT1_iilT0_PT_Pi
; %bb.0:
	s_load_dwordx4 s[0:3], s[4:5], 0x28
	s_mov_b32 s18, s7
	s_ashr_i32 s19, s7, 31
	s_lshl_b64 s[8:9], s[18:19], 2
	s_waitcnt lgkmcnt(0)
	s_add_u32 s2, s2, s8
	s_addc_u32 s3, s3, s9
	s_load_dword s2, s[2:3], 0x4
	s_waitcnt lgkmcnt(0)
	s_cmp_lg_u32 s2, 0
	s_cbranch_scc1 .LBB87_58
; %bb.1:
	s_load_dword s7, s[4:5], 0x44
	s_load_dword s30, s[4:5], 0x0
	s_add_u32 s2, s4, 56
	s_addc_u32 s3, s5, 0
	v_max_i32_e32 v2, v0, v1
	s_waitcnt lgkmcnt(0)
	s_and_b32 s7, s7, 0xffff
	s_add_i32 s8, s30, -1
	s_lshl_b32 s20, s7, 1
	s_lshr_b32 s7, s8, 31
	s_add_i32 s8, s8, s7
	s_mul_i32 s31, s20, s6
	s_and_b32 s7, s8, -2
	s_sub_i32 s7, s7, s31
	s_add_i32 s7, s7, 2
	s_min_i32 s7, s20, s7
	s_ashr_i32 s17, s7, 1
	v_cmp_gt_i32_e32 vcc, s17, v2
	s_and_saveexec_b64 s[8:9], vcc
	s_cbranch_execz .LBB87_58
; %bb.2:
	s_cmp_eq_u64 s[0:1], 0
	s_mov_b64 s[12:13], 0
	s_cbranch_scc1 .LBB87_4
; %bb.3:
	s_load_dword s2, s[2:3], 0x0
	s_waitcnt lgkmcnt(0)
	s_mul_i32 s2, s2, s18
	s_add_i32 s2, s2, s6
	s_mul_i32 s2, s20, s2
	s_mul_i32 s2, s2, s20
	s_ashr_i32 s3, s2, 31
	s_lshl_b64 s[2:3], s[2:3], 3
	s_add_u32 s12, s0, s2
	s_addc_u32 s13, s1, s3
.LBB87_4:
	s_cmp_lg_u64 s[12:13], 0
	v_lshlrev_b32_e32 v2, 1, v0
	s_cselect_b64 s[14:15], -1, 0
	s_cmp_eq_u64 s[12:13], 0
	v_lshlrev_b32_e32 v4, 1, v1
	s_cbranch_scc1 .LBB87_6
; %bb.5:
	v_mad_u32_u24 v3, s20, v4, v2
	v_mov_b32_e32 v6, 0
	v_add_u32_e32 v7, s20, v3
	v_mov_b32_e32 v8, v6
	s_mov_b32 s0, 0
	v_lshlrev_b64 v[7:8], 3, v[7:8]
	v_cmp_eq_u32_e32 vcc, v2, v4
	s_mov_b32 s1, s0
	v_cndmask_b32_e64 v5, 0, 1.0, vcc
	v_lshlrev_b32_e32 v11, 3, v3
	v_mov_b32_e32 v3, s13
	v_add_co_u32_e32 v7, vcc, s12, v7
	v_mov_b32_e32 v10, s1
	v_addc_co_u32_e32 v8, vcc, v3, v8, vcc
	v_mov_b32_e32 v9, s0
	global_store_dwordx2 v11, v[5:6], s[12:13]
	global_store_dwordx2 v[7:8], v[9:10], off
	global_store_dwordx2 v11, v[9:10], s[12:13] offset:8
	global_store_dwordx2 v[7:8], v[5:6], off offset:8
.LBB87_6:
	s_lshl_b32 s0, s17, 2
	s_add_i32 s21, s0, 0
	s_lshl_b32 s1, s17, 3
	s_add_i32 s6, s21, s1
	v_add_u32_e32 v2, s31, v2
	s_add_i32 s33, s6, s0
	v_or_b32_e32 v3, 1, v2
	v_cmp_eq_u32_e64 s[0:1], 0, v1
	v_lshlrev_b32_e32 v5, 2, v0
	s_and_saveexec_b64 s[2:3], s[0:1]
	s_cbranch_execz .LBB87_8
; %bb.7:
	v_add_u32_e32 v6, s6, v5
	v_add_u32_e32 v1, s33, v5
	ds_write_b32 v6, v2
	ds_write_b32 v1, v3
.LBB87_8:
	s_or_b64 exec, exec, s[2:3]
	s_cmp_lt_i32 s7, 2
	s_cbranch_scc1 .LBB87_58
; %bb.9:
	s_load_dword s24, s[4:5], 0x20
	v_mov_b32_e32 v6, 0x800000
	v_add_u32_e32 v1, s31, v4
	v_mul_u32_u24_e32 v12, s20, v4
	v_mad_u32_u24 v13, s20, v4, s20
	s_waitcnt lgkmcnt(0)
	v_div_scale_f32 v7, s[2:3], s24, s24, v6
	s_mov_b32 s2, 0x800000
	v_mov_b32_e32 v8, s24
	v_div_scale_f32 v8, vcc, s2, v8, s2
	v_or_b32_e32 v4, 1, v1
	v_cmp_gt_i32_e64 s[2:3], s30, v4
	s_load_dwordx4 s[8:11], s[4:5], 0x8
	s_load_dwordx2 s[22:23], s[4:5], 0x18
	v_add_u32_e32 v14, s6, v5
	v_add_u32_e32 v19, s33, v5
	v_add_u32_e32 v10, 0, v5
	s_waitcnt lgkmcnt(0)
	s_ashr_i32 s5, s10, 31
	s_mov_b32 s4, s10
	s_mul_i32 s6, s22, s19
	s_mul_hi_u32 s10, s22, s18
	v_rcp_f32_e32 v4, v7
	s_mul_i32 s19, s23, s18
	s_add_i32 s6, s10, s6
	s_mul_i32 s18, s22, s18
	v_fma_f32 v9, -v7, v4, 1.0
	v_fmac_f32_e32 v4, v9, v4
	v_mul_f32_e32 v9, v8, v4
	v_fma_f32 v16, -v7, v9, v8
	v_fmac_f32_e32 v9, v16, v4
	v_fma_f32 v7, -v7, v9, v8
	v_div_fmas_f32 v4, v7, v4, v9
	s_add_i32 s19, s6, s19
	s_lshl_b64 s[18:19], s[18:19], 3
	s_add_u32 s6, s8, s18
	v_mul_lo_u32 v16, v1, s11
	s_addc_u32 s8, s9, s19
	s_lshl_b64 s[4:5], s[4:5], 3
	s_add_u32 s10, s6, s4
	s_addc_u32 s34, s8, s5
	s_add_i32 s17, s17, -1
	s_add_i32 s4, s33, -4
	v_mov_b32_e32 v5, s4
	v_cmp_eq_u32_e32 vcc, s17, v0
	s_mov_b32 s16, 0
	v_lshl_add_u32 v11, v0, 3, s21
	v_add_u32_e32 v15, -4, v14
	v_div_fixup_f32 v18, v4, s24, v6
	v_add_u32_e32 v4, 4, v19
	v_add_u32_e32 v17, s11, v16
	s_add_i32 s35, s11, 1
	v_cndmask_b32_e32 v20, v4, v5, vcc
	s_add_i32 s36, s7, -1
	s_mov_b32 s37, 0xf800000
	v_mov_b32_e32 v21, 0x260
	s_mov_b32 s38, 0x7f800000
	v_mov_b32_e32 v22, 0x7f800000
	v_mov_b32_e32 v23, 0xff800000
                                        ; implicit-def: $vgpr24
                                        ; implicit-def: $vgpr8
                                        ; implicit-def: $vgpr9
                                        ; implicit-def: $vgpr5
	s_branch .LBB87_11
.LBB87_10:                              ;   in Loop: Header=BB87_11 Depth=1
	s_or_b64 exec, exec, s[4:5]
	s_add_i32 s36, s36, -1
	s_cmp_lg_u32 s36, 0
	s_cbranch_scc0 .LBB87_58
.LBB87_11:                              ; =>This Inner Loop Header: Depth=1
	v_cmp_gt_i32_e64 s[4:5], s30, v2
	s_and_b64 s[8:9], s[0:1], s[4:5]
	v_cmp_gt_i32_e64 s[6:7], s30, v3
	s_and_b64 s[18:19], s[8:9], s[6:7]
	s_and_saveexec_b64 s[20:21], s[18:19]
	s_cbranch_execz .LBB87_37
; %bb.12:                               ;   in Loop: Header=BB87_11 Depth=1
	v_mul_lo_u32 v26, v3, s11
	v_mov_b32_e32 v6, s34
                                        ; implicit-def: $vgpr25
	v_add_u32_e32 v4, v2, v26
	v_ashrrev_i32_e32 v5, 31, v4
	v_lshlrev_b64 v[4:5], 3, v[4:5]
	v_add_co_u32_e32 v4, vcc, s10, v4
	v_addc_co_u32_e32 v5, vcc, v6, v5, vcc
	global_load_dwordx2 v[6:7], v[4:5], off
	s_waitcnt vmcnt(0)
	v_cmp_gt_f32_e32 vcc, 0, v6
	v_cndmask_b32_e64 v4, v6, -v6, vcc
	v_cmp_gt_f32_e32 vcc, 0, v7
	v_cndmask_b32_e64 v5, v7, -v7, vcc
	v_cmp_ngt_f32_e32 vcc, v4, v5
	s_and_saveexec_b64 s[8:9], vcc
	s_xor_b64 s[22:23], exec, s[8:9]
	s_cbranch_execz .LBB87_16
; %bb.13:                               ;   in Loop: Header=BB87_11 Depth=1
	v_mov_b32_e32 v25, 0
	v_cmp_neq_f32_e32 vcc, 0, v7
	s_and_saveexec_b64 s[24:25], vcc
	s_cbranch_execz .LBB87_15
; %bb.14:                               ;   in Loop: Header=BB87_11 Depth=1
	v_div_scale_f32 v24, s[8:9], v5, v5, v4
	v_div_scale_f32 v25, vcc, v4, v5, v4
	v_rcp_f32_e32 v27, v24
	v_fma_f32 v28, -v24, v27, 1.0
	v_fmac_f32_e32 v27, v28, v27
	v_mul_f32_e32 v28, v25, v27
	v_fma_f32 v29, -v24, v28, v25
	v_fmac_f32_e32 v28, v29, v27
	v_fma_f32 v24, -v24, v28, v25
	v_div_fmas_f32 v24, v24, v27, v28
	v_div_fixup_f32 v4, v24, v5, v4
	v_fma_f32 v4, v4, v4, 1.0
	v_mul_f32_e32 v24, 0x4f800000, v4
	v_cmp_gt_f32_e32 vcc, s37, v4
	v_cndmask_b32_e32 v4, v4, v24, vcc
	v_sqrt_f32_e32 v24, v4
	v_add_u32_e32 v25, -1, v24
	v_add_u32_e32 v27, 1, v24
	v_fma_f32 v28, -v25, v24, v4
	v_fma_f32 v29, -v27, v24, v4
	v_cmp_ge_f32_e64 s[8:9], 0, v28
	v_cndmask_b32_e64 v24, v24, v25, s[8:9]
	v_cmp_lt_f32_e64 s[8:9], 0, v29
	v_cndmask_b32_e64 v24, v24, v27, s[8:9]
	v_mul_f32_e32 v25, 0x37800000, v24
	v_cndmask_b32_e32 v24, v24, v25, vcc
	v_cmp_class_f32_e32 vcc, v4, v21
	v_cndmask_b32_e32 v4, v24, v4, vcc
	v_mul_f32_e32 v25, v5, v4
.LBB87_15:                              ;   in Loop: Header=BB87_11 Depth=1
	s_or_b64 exec, exec, s[24:25]
                                        ; implicit-def: $vgpr4
                                        ; implicit-def: $vgpr5
.LBB87_16:                              ;   in Loop: Header=BB87_11 Depth=1
	s_andn2_saveexec_b64 s[22:23], s[22:23]
	s_cbranch_execz .LBB87_18
; %bb.17:                               ;   in Loop: Header=BB87_11 Depth=1
	v_div_scale_f32 v24, s[8:9], v4, v4, v5
	v_div_scale_f32 v25, vcc, v5, v4, v5
	v_rcp_f32_e32 v27, v24
	v_fma_f32 v28, -v24, v27, 1.0
	v_fmac_f32_e32 v27, v28, v27
	v_mul_f32_e32 v28, v25, v27
	v_fma_f32 v29, -v24, v28, v25
	v_fmac_f32_e32 v28, v29, v27
	v_fma_f32 v24, -v24, v28, v25
	v_div_fmas_f32 v24, v24, v27, v28
	v_div_fixup_f32 v5, v24, v4, v5
	v_fma_f32 v5, v5, v5, 1.0
	v_mul_f32_e32 v24, 0x4f800000, v5
	v_cmp_gt_f32_e32 vcc, s37, v5
	v_cndmask_b32_e32 v5, v5, v24, vcc
	v_sqrt_f32_e32 v24, v5
	v_add_u32_e32 v25, -1, v24
	v_add_u32_e32 v27, 1, v24
	v_fma_f32 v28, -v25, v24, v5
	v_fma_f32 v29, -v27, v24, v5
	v_cmp_ge_f32_e64 s[8:9], 0, v28
	v_cndmask_b32_e64 v24, v24, v25, s[8:9]
	v_cmp_lt_f32_e64 s[8:9], 0, v29
	v_cndmask_b32_e64 v24, v24, v27, s[8:9]
	v_mul_f32_e32 v25, 0x37800000, v24
	v_cndmask_b32_e32 v24, v24, v25, vcc
	v_cmp_class_f32_e32 vcc, v5, v21
	v_cndmask_b32_e32 v5, v24, v5, vcc
	v_mul_f32_e32 v25, v4, v5
.LBB87_18:                              ;   in Loop: Header=BB87_11 Depth=1
	s_or_b64 exec, exec, s[22:23]
	v_mul_f32_e32 v4, v25, v25
	v_mov_b32_e32 v5, 0
	v_cmp_nlt_f32_e32 vcc, v4, v18
	v_mov_b32_e32 v24, 1.0
	v_mov_b32_e32 v4, v5
	s_and_saveexec_b64 s[22:23], vcc
	s_cbranch_execz .LBB87_36
; %bb.19:                               ;   in Loop: Header=BB87_11 Depth=1
	v_add_u32_e32 v4, v26, v3
	v_mul_lo_u32 v26, v2, s35
	v_ashrrev_i32_e32 v5, 31, v4
	v_lshlrev_b64 v[4:5], 3, v[4:5]
	v_mov_b32_e32 v24, s34
	v_ashrrev_i32_e32 v27, 31, v26
	v_add_co_u32_e32 v4, vcc, s10, v4
	v_lshlrev_b64 v[26:27], 3, v[26:27]
	v_addc_co_u32_e32 v5, vcc, v24, v5, vcc
	v_add_co_u32_e32 v26, vcc, s10, v26
	v_addc_co_u32_e32 v27, vcc, v24, v27, vcc
	global_load_dword v24, v[4:5], off
	global_load_dword v28, v[26:27], off
	v_add_f32_e32 v4, v25, v25
	s_waitcnt vmcnt(0)
	v_sub_f32_e32 v5, v24, v28
	v_max_f32_e64 v24, |v5|, |v4|
	v_cvt_f64_f32_e32 v[26:27], v24
	v_cmp_ngt_f32_e32 vcc, 0, v5
	v_frexp_exp_i32_f64_e32 v26, v[26:27]
	v_sub_u32_e32 v27, 0, v26
	v_ldexp_f32 v28, |v5|, v27
	v_ldexp_f32 v27, |v4|, v27
	v_mul_f32_e32 v27, v27, v27
	v_fmac_f32_e32 v27, v28, v28
	v_sqrt_f32_e32 v28, v27
                                        ; implicit-def: $vgpr27
	s_and_saveexec_b64 s[8:9], vcc
	s_xor_b64 s[8:9], exec, s[8:9]
; %bb.20:                               ;   in Loop: Header=BB87_11 Depth=1
	v_ldexp_f32 v26, v28, v26
	v_cmp_neq_f32_e32 vcc, s38, v24
	v_cndmask_b32_e32 v27, v22, v26, vcc
                                        ; implicit-def: $vgpr28
                                        ; implicit-def: $vgpr26
                                        ; implicit-def: $vgpr24
; %bb.21:                               ;   in Loop: Header=BB87_11 Depth=1
	s_andn2_saveexec_b64 s[8:9], s[8:9]
; %bb.22:                               ;   in Loop: Header=BB87_11 Depth=1
	v_ldexp_f32 v26, -v28, v26
	v_cmp_neq_f32_e32 vcc, s38, v24
	v_cndmask_b32_e32 v27, v23, v26, vcc
; %bb.23:                               ;   in Loop: Header=BB87_11 Depth=1
	s_or_b64 exec, exec, s[8:9]
	v_mov_b32_e32 v26, 0
	v_cmp_neq_f32_e32 vcc, 0, v4
	v_mov_b32_e32 v24, 1.0
	s_and_saveexec_b64 s[24:25], vcc
	s_cbranch_execz .LBB87_31
; %bb.24:                               ;   in Loop: Header=BB87_11 Depth=1
	v_add_f32_e32 v5, v5, v27
	v_mov_b32_e32 v24, 0
	v_cmp_neq_f32_e32 vcc, 0, v5
	v_mov_b32_e32 v26, 1.0
	s_and_saveexec_b64 s[26:27], vcc
	s_cbranch_execz .LBB87_30
; %bb.25:                               ;   in Loop: Header=BB87_11 Depth=1
	v_cmp_ngt_f32_e64 s[8:9], |v4|, |v5|
                                        ; implicit-def: $vgpr24
                                        ; implicit-def: $vgpr26
	s_and_saveexec_b64 s[28:29], s[8:9]
	s_xor_b64 s[28:29], exec, s[28:29]
	s_cbranch_execz .LBB87_27
; %bb.26:                               ;   in Loop: Header=BB87_11 Depth=1
	v_div_scale_f32 v24, s[8:9], v5, v5, -v4
	v_div_scale_f32 v26, vcc, -v4, v5, -v4
	v_rcp_f32_e32 v27, v24
	v_fma_f32 v28, -v24, v27, 1.0
	v_fmac_f32_e32 v27, v28, v27
	v_mul_f32_e32 v28, v26, v27
	v_fma_f32 v29, -v24, v28, v26
	v_fmac_f32_e32 v28, v29, v27
	v_fma_f32 v24, -v24, v28, v26
	v_div_fmas_f32 v24, v24, v27, v28
	v_div_fixup_f32 v4, v24, v5, -v4
	v_fma_f32 v5, v4, v4, 1.0
	v_mul_f32_e32 v24, 0x4f800000, v5
	v_cmp_gt_f32_e32 vcc, s37, v5
	v_cndmask_b32_e32 v5, v5, v24, vcc
	v_sqrt_f32_e32 v24, v5
	v_add_u32_e32 v26, -1, v24
	v_add_u32_e32 v27, 1, v24
	v_fma_f32 v28, -v26, v24, v5
	v_fma_f32 v29, -v27, v24, v5
	v_cmp_ge_f32_e64 s[8:9], 0, v28
	v_cndmask_b32_e64 v24, v24, v26, s[8:9]
	v_cmp_lt_f32_e64 s[8:9], 0, v29
	v_cndmask_b32_e64 v24, v24, v27, s[8:9]
	v_mul_f32_e32 v26, 0x37800000, v24
	v_cndmask_b32_e32 v24, v24, v26, vcc
	v_cmp_class_f32_e32 vcc, v5, v21
	v_cndmask_b32_e32 v5, v24, v5, vcc
	v_div_scale_f32 v24, s[8:9], v5, v5, 1.0
	v_div_scale_f32 v26, vcc, 1.0, v5, 1.0
	v_rcp_f32_e32 v27, v24
	v_fma_f32 v28, -v24, v27, 1.0
	v_fmac_f32_e32 v27, v28, v27
	v_mul_f32_e32 v28, v26, v27
	v_fma_f32 v29, -v24, v28, v26
	v_fmac_f32_e32 v28, v29, v27
	v_fma_f32 v24, -v24, v28, v26
	v_div_fmas_f32 v24, v24, v27, v28
	v_div_fixup_f32 v24, v24, v5, 1.0
	v_mul_f32_e32 v26, v4, v24
                                        ; implicit-def: $vgpr4
                                        ; implicit-def: $vgpr5
.LBB87_27:                              ;   in Loop: Header=BB87_11 Depth=1
	s_andn2_saveexec_b64 s[28:29], s[28:29]
	s_cbranch_execz .LBB87_29
; %bb.28:                               ;   in Loop: Header=BB87_11 Depth=1
	v_div_scale_f32 v24, s[8:9], v4, v4, -v5
	v_div_scale_f32 v26, vcc, -v5, v4, -v5
	v_rcp_f32_e32 v27, v24
	v_fma_f32 v28, -v24, v27, 1.0
	v_fmac_f32_e32 v27, v28, v27
	v_mul_f32_e32 v28, v26, v27
	v_fma_f32 v29, -v24, v28, v26
	v_fmac_f32_e32 v28, v29, v27
	v_fma_f32 v24, -v24, v28, v26
	v_div_fmas_f32 v24, v24, v27, v28
	v_div_fixup_f32 v4, v24, v4, -v5
	v_fma_f32 v5, v4, v4, 1.0
	v_mul_f32_e32 v24, 0x4f800000, v5
	v_cmp_gt_f32_e32 vcc, s37, v5
	v_cndmask_b32_e32 v5, v5, v24, vcc
	v_sqrt_f32_e32 v24, v5
	v_add_u32_e32 v26, -1, v24
	v_add_u32_e32 v27, 1, v24
	v_fma_f32 v28, -v26, v24, v5
	v_fma_f32 v29, -v27, v24, v5
	v_cmp_ge_f32_e64 s[8:9], 0, v28
	v_cndmask_b32_e64 v24, v24, v26, s[8:9]
	v_cmp_lt_f32_e64 s[8:9], 0, v29
	v_cndmask_b32_e64 v24, v24, v27, s[8:9]
	v_mul_f32_e32 v26, 0x37800000, v24
	v_cndmask_b32_e32 v24, v24, v26, vcc
	v_cmp_class_f32_e32 vcc, v5, v21
	v_cndmask_b32_e32 v5, v24, v5, vcc
	v_div_scale_f32 v24, s[8:9], v5, v5, 1.0
	v_div_scale_f32 v26, vcc, 1.0, v5, 1.0
	v_rcp_f32_e32 v27, v24
	v_fma_f32 v28, -v24, v27, 1.0
	v_fmac_f32_e32 v27, v28, v27
	v_mul_f32_e32 v28, v26, v27
	v_fma_f32 v29, -v24, v28, v26
	v_fmac_f32_e32 v28, v29, v27
	v_fma_f32 v24, -v24, v28, v26
	v_div_fmas_f32 v24, v24, v27, v28
	v_div_fixup_f32 v26, v24, v5, 1.0
	v_mul_f32_e32 v24, v4, v26
.LBB87_29:                              ;   in Loop: Header=BB87_11 Depth=1
	s_or_b64 exec, exec, s[28:29]
.LBB87_30:                              ;   in Loop: Header=BB87_11 Depth=1
	s_or_b64 exec, exec, s[26:27]
.LBB87_31:                              ;   in Loop: Header=BB87_11 Depth=1
	s_or_b64 exec, exec, s[24:25]
	v_mul_f32_e32 v6, v6, v26
	v_mul_f32_e32 v7, v7, v26
	v_cmp_lg_f32_e32 vcc, 0, v25
                                        ; implicit-def: $vgpr5
	s_and_saveexec_b64 s[8:9], vcc
	s_xor_b64 s[8:9], exec, s[8:9]
	s_cbranch_execz .LBB87_33
; %bb.32:                               ;   in Loop: Header=BB87_11 Depth=1
	v_div_scale_f32 v4, s[24:25], v25, v25, 0
	v_div_scale_f32 v5, vcc, 0, v25, 0
	v_rcp_f32_e32 v26, v4
	v_fma_f32 v27, -v4, v26, 1.0
	v_fmac_f32_e32 v26, v27, v26
	v_mul_f32_e32 v27, v5, v26
	v_fma_f32 v28, -v4, v27, v5
	v_fmac_f32_e32 v27, v28, v26
	v_fma_f32 v4, -v4, v27, v5
	v_div_fmas_f32 v4, v4, v26, v27
	v_div_fixup_f32 v4, v4, v25, 0
	v_fmac_f32_e32 v25, 0, v4
	v_div_scale_f32 v5, s[24:25], v25, v25, 1.0
	v_div_scale_f32 v26, vcc, 1.0, v25, 1.0
	v_rcp_f32_e32 v27, v5
	v_fma_f32 v28, -v5, v27, 1.0
	v_fmac_f32_e32 v27, v28, v27
	v_mul_f32_e32 v28, v26, v27
	v_fma_f32 v29, -v5, v28, v26
	v_fmac_f32_e32 v28, v29, v27
	v_fma_f32 v5, -v5, v28, v26
	v_div_fmas_f32 v5, v5, v27, v28
	v_fma_f32 v26, v4, v7, v6
	v_fma_f32 v6, -v4, v6, v7
                                        ; implicit-def: $vgpr7
	v_div_fixup_f32 v5, v5, v25, 1.0
	v_mul_f32_e32 v4, v5, v26
	v_mul_f32_e32 v5, v5, v6
                                        ; implicit-def: $vgpr25
                                        ; implicit-def: $vgpr6
.LBB87_33:                              ;   in Loop: Header=BB87_11 Depth=1
	s_andn2_saveexec_b64 s[8:9], s[8:9]
	s_cbranch_execz .LBB87_35
; %bb.34:                               ;   in Loop: Header=BB87_11 Depth=1
	v_div_scale_f32 v4, s[24:25], 0, 0, v25
	v_div_scale_f32 v5, vcc, v25, 0, v25
	v_rcp_f32_e32 v26, v4
	v_fma_f32 v27, -v4, v26, 1.0
	v_fmac_f32_e32 v26, v27, v26
	v_mul_f32_e32 v27, v5, v26
	v_fma_f32 v28, -v4, v27, v5
	v_fmac_f32_e32 v27, v28, v26
	v_fma_f32 v4, -v4, v27, v5
	v_div_fmas_f32 v4, v4, v26, v27
	v_div_fixup_f32 v4, v4, 0, v25
	v_fma_f32 v5, v25, v4, 0
	v_div_scale_f32 v25, s[24:25], v5, v5, 1.0
	v_div_scale_f32 v26, vcc, 1.0, v5, 1.0
	v_rcp_f32_e32 v27, v25
	v_fma_f32 v28, -v25, v27, 1.0
	v_fmac_f32_e32 v27, v28, v27
	v_mul_f32_e32 v28, v26, v27
	v_fma_f32 v29, -v25, v28, v26
	v_fmac_f32_e32 v28, v29, v27
	v_fma_f32 v25, -v25, v28, v26
	v_div_fmas_f32 v25, v25, v27, v28
	v_fma_f32 v26, v4, v6, v7
	v_fma_f32 v6, v4, v7, -v6
	v_div_fixup_f32 v5, v25, v5, 1.0
	v_mul_f32_e32 v4, v5, v26
	v_mul_f32_e32 v5, v5, v6
.LBB87_35:                              ;   in Loop: Header=BB87_11 Depth=1
	s_or_b64 exec, exec, s[8:9]
.LBB87_36:                              ;   in Loop: Header=BB87_11 Depth=1
	s_or_b64 exec, exec, s[22:23]
	ds_write_b32 v10, v24
	ds_write2_b32 v11, v4, v5 offset1:1
.LBB87_37:                              ;   in Loop: Header=BB87_11 Depth=1
	s_or_b64 exec, exec, s[20:21]
	s_and_b64 s[4:5], s[4:5], s[6:7]
	s_waitcnt vmcnt(0) lgkmcnt(0)
	s_barrier
	s_and_saveexec_b64 s[6:7], s[4:5]
	s_cbranch_execz .LBB87_45
; %bb.38:                               ;   in Loop: Header=BB87_11 Depth=1
	ds_read_b32 v24, v10
	ds_read2_b32 v[4:5], v11 offset1:1
	s_andn2_b64 vcc, exec, s[14:15]
	s_cbranch_vccnz .LBB87_42
; %bb.39:                               ;   in Loop: Header=BB87_11 Depth=1
	v_subrev_u32_e32 v7, s31, v2
	v_add_u32_e32 v8, v7, v12
	v_subrev_u32_e32 v6, s31, v3
	v_ashrrev_i32_e32 v9, 31, v8
	v_lshlrev_b64 v[8:9], 3, v[8:9]
	v_add_u32_e32 v25, v6, v12
	v_ashrrev_i32_e32 v26, 31, v25
	v_mov_b32_e32 v29, s13
	v_lshlrev_b64 v[25:26], 3, v[25:26]
	v_add_co_u32_e32 v8, vcc, s12, v8
	v_addc_co_u32_e32 v9, vcc, v29, v9, vcc
	v_add_co_u32_e32 v25, vcc, s12, v25
	v_addc_co_u32_e32 v26, vcc, v29, v26, vcc
	global_load_dwordx2 v[27:28], v[8:9], off
	global_load_dwordx2 v[29:30], v[25:26], off
	s_waitcnt vmcnt(1) lgkmcnt(0)
	v_mul_f32_e32 v32, v27, v4
	s_waitcnt vmcnt(0)
	v_mul_f32_e32 v35, v5, v29
	v_mul_f32_e32 v31, v5, v30
	;; [unrolled: 1-line block ×3, first 2 shown]
	v_fma_f32 v33, v5, v28, -v32
	v_fma_f32 v32, v30, v4, -v35
	v_fmac_f32_e32 v31, v29, v4
	v_fma_f32 v34, v27, -v5, -v34
	v_fmac_f32_e32 v31, v24, v27
	v_fmac_f32_e32 v32, v24, v28
	;; [unrolled: 1-line block ×4, first 2 shown]
	global_store_dwordx2 v[8:9], v[31:32], off
	global_store_dwordx2 v[25:26], v[33:34], off
	s_and_saveexec_b64 s[8:9], s[2:3]
	s_cbranch_execz .LBB87_41
; %bb.40:                               ;   in Loop: Header=BB87_11 Depth=1
	v_add_u32_e32 v25, v6, v13
	v_ashrrev_i32_e32 v26, 31, v25
	v_add_u32_e32 v7, v7, v13
	v_lshlrev_b64 v[25:26], 3, v[25:26]
	v_ashrrev_i32_e32 v8, 31, v7
	v_lshlrev_b64 v[7:8], 3, v[7:8]
	v_mov_b32_e32 v9, s13
	v_add_co_u32_e32 v25, vcc, s12, v25
	v_addc_co_u32_e32 v26, vcc, v9, v26, vcc
	v_add_co_u32_e32 v6, vcc, s12, v7
	global_load_dwordx2 v[27:28], v[25:26], off
	v_addc_co_u32_e32 v7, vcc, v9, v8, vcc
	global_load_dwordx2 v[8:9], v[6:7], off
	s_waitcnt vmcnt(1)
	v_mul_f32_e32 v29, v5, v28
	v_mul_f32_e32 v30, v5, v27
	v_fmac_f32_e32 v29, v27, v4
	s_waitcnt vmcnt(0)
	v_mul_f32_e32 v31, v8, v4
	v_mul_f32_e32 v32, v9, v4
	v_fma_f32 v30, v28, v4, -v30
	v_fma_f32 v31, v5, v9, -v31
	v_fma_f32 v32, v8, -v5, -v32
	v_fmac_f32_e32 v29, v24, v8
	v_fmac_f32_e32 v30, v24, v9
	;; [unrolled: 1-line block ×4, first 2 shown]
	global_store_dwordx2 v[6:7], v[29:30], off
	global_store_dwordx2 v[25:26], v[31:32], off
.LBB87_41:                              ;   in Loop: Header=BB87_11 Depth=1
	s_or_b64 exec, exec, s[8:9]
.LBB87_42:                              ;   in Loop: Header=BB87_11 Depth=1
	v_mad_u64_u32 v[6:7], s[8:9], v2, s11, v[1:2]
	v_mad_u64_u32 v[8:9], s[8:9], v3, s11, v[1:2]
	v_ashrrev_i32_e32 v7, 31, v6
	v_lshlrev_b64 v[25:26], 3, v[6:7]
	v_ashrrev_i32_e32 v9, 31, v8
	v_lshlrev_b64 v[6:7], 3, v[8:9]
	v_mov_b32_e32 v8, s34
	v_add_co_u32_e32 v6, vcc, s10, v6
	v_addc_co_u32_e32 v7, vcc, v8, v7, vcc
	v_mov_b32_e32 v29, s34
	v_add_co_u32_e32 v8, vcc, s10, v25
	global_load_dwordx2 v[27:28], v[6:7], off
	v_addc_co_u32_e32 v9, vcc, v29, v26, vcc
	global_load_dwordx2 v[25:26], v[8:9], off
	s_waitcnt vmcnt(1) lgkmcnt(0)
	v_mul_f32_e32 v29, v5, v28
	v_mul_f32_e32 v30, v5, v27
	v_fmac_f32_e32 v29, v27, v4
	s_waitcnt vmcnt(0)
	v_mul_f32_e32 v31, v25, v4
	v_mul_f32_e32 v32, v26, v4
	v_fma_f32 v30, v28, v4, -v30
	v_fma_f32 v31, v5, v26, -v31
	v_fma_f32 v32, v25, -v5, -v32
	v_fmac_f32_e32 v29, v24, v25
	v_fmac_f32_e32 v30, v24, v26
	;; [unrolled: 1-line block ×4, first 2 shown]
	global_store_dwordx2 v[8:9], v[29:30], off
	global_store_dwordx2 v[6:7], v[31:32], off
	s_and_saveexec_b64 s[8:9], s[2:3]
	s_cbranch_execz .LBB87_44
; %bb.43:                               ;   in Loop: Header=BB87_11 Depth=1
	global_load_dwordx2 v[25:26], v[6:7], off offset:8
	global_load_dwordx2 v[27:28], v[8:9], off offset:8
	s_waitcnt vmcnt(1)
	v_mul_f32_e32 v29, v5, v26
	v_mul_f32_e32 v30, v5, v25
	s_waitcnt vmcnt(0)
	v_mul_f32_e32 v31, v27, v4
	v_mul_f32_e32 v32, v28, v4
	v_fmac_f32_e32 v29, v25, v4
	v_fma_f32 v30, v26, v4, -v30
	v_fma_f32 v31, v5, v28, -v31
	v_fma_f32 v32, v27, -v5, -v32
	v_fmac_f32_e32 v29, v24, v27
	v_fmac_f32_e32 v30, v24, v28
	;; [unrolled: 1-line block ×4, first 2 shown]
	global_store_dwordx2 v[8:9], v[29:30], off offset:8
	global_store_dwordx2 v[6:7], v[31:32], off offset:8
.LBB87_44:                              ;   in Loop: Header=BB87_11 Depth=1
	s_or_b64 exec, exec, s[8:9]
	v_xor_b32_e32 v8, 0x80000000, v5
	v_mov_b32_e32 v9, v4
.LBB87_45:                              ;   in Loop: Header=BB87_11 Depth=1
	s_or_b64 exec, exec, s[6:7]
	s_waitcnt vmcnt(0)
	s_barrier
	s_and_saveexec_b64 s[6:7], s[4:5]
	s_cbranch_execz .LBB87_48
; %bb.46:                               ;   in Loop: Header=BB87_11 Depth=1
	v_add_u32_e32 v25, v3, v16
	v_ashrrev_i32_e32 v26, 31, v25
	v_add_u32_e32 v6, v2, v16
	v_lshlrev_b64 v[25:26], 3, v[25:26]
	v_ashrrev_i32_e32 v7, 31, v6
	v_lshlrev_b64 v[6:7], 3, v[6:7]
	v_mov_b32_e32 v27, s34
	v_add_co_u32_e32 v25, vcc, s10, v25
	v_addc_co_u32_e32 v26, vcc, v27, v26, vcc
	v_mov_b32_e32 v29, s34
	v_add_co_u32_e32 v6, vcc, s10, v6
	global_load_dwordx2 v[27:28], v[25:26], off
	v_addc_co_u32_e32 v7, vcc, v29, v7, vcc
	global_load_dwordx2 v[29:30], v[6:7], off
	s_waitcnt vmcnt(1)
	v_mul_f32_e32 v31, v5, v28
	v_mul_f32_e32 v32, v4, v28
	v_fma_f32 v31, v4, v27, -v31
	s_waitcnt vmcnt(0)
	v_mul_f32_e32 v33, v9, v29
	v_mul_f32_e32 v34, v9, v30
	v_fmac_f32_e32 v32, v5, v27
	v_fma_f32 v33, v8, v30, -v33
	v_fma_f32 v34, v29, -v8, -v34
	v_fmac_f32_e32 v31, v24, v29
	v_fmac_f32_e32 v32, v24, v30
	;; [unrolled: 1-line block ×4, first 2 shown]
	global_store_dwordx2 v[6:7], v[31:32], off
	global_store_dwordx2 v[25:26], v[33:34], off
	s_and_b64 exec, exec, s[2:3]
	s_cbranch_execz .LBB87_48
; %bb.47:                               ;   in Loop: Header=BB87_11 Depth=1
	v_add_u32_e32 v25, v3, v17
	v_ashrrev_i32_e32 v26, 31, v25
	v_add_u32_e32 v6, v2, v17
	v_lshlrev_b64 v[25:26], 3, v[25:26]
	v_ashrrev_i32_e32 v7, 31, v6
	v_lshlrev_b64 v[6:7], 3, v[6:7]
	v_mov_b32_e32 v27, s34
	v_add_co_u32_e32 v25, vcc, s10, v25
	v_addc_co_u32_e32 v26, vcc, v27, v26, vcc
	v_mov_b32_e32 v29, s34
	v_add_co_u32_e32 v6, vcc, s10, v6
	global_load_dwordx2 v[27:28], v[25:26], off
	v_addc_co_u32_e32 v7, vcc, v29, v7, vcc
	global_load_dwordx2 v[29:30], v[6:7], off
	s_waitcnt vmcnt(1)
	v_mul_f32_e32 v31, v5, v28
	v_mul_f32_e32 v32, v4, v28
	v_fma_f32 v31, v4, v27, -v31
	s_waitcnt vmcnt(0)
	v_mul_f32_e32 v33, v9, v29
	v_mul_f32_e32 v34, v9, v30
	v_fmac_f32_e32 v32, v5, v27
	v_fma_f32 v33, v8, v30, -v33
	v_fma_f32 v34, v29, -v8, -v34
	v_fmac_f32_e32 v31, v24, v29
	v_fmac_f32_e32 v32, v24, v30
	;; [unrolled: 1-line block ×4, first 2 shown]
	global_store_dwordx2 v[6:7], v[31:32], off
	global_store_dwordx2 v[25:26], v[33:34], off
.LBB87_48:                              ;   in Loop: Header=BB87_11 Depth=1
	s_or_b64 exec, exec, s[6:7]
	s_waitcnt vmcnt(0)
	s_barrier
	s_and_saveexec_b64 s[4:5], s[18:19]
	s_cbranch_execz .LBB87_50
; %bb.49:                               ;   in Loop: Header=BB87_11 Depth=1
	v_mad_u64_u32 v[6:7], s[6:7], v3, s11, v[2:3]
	v_mov_b32_e32 v25, s34
	s_mov_b32 s17, s16
	v_ashrrev_i32_e32 v7, 31, v6
	v_lshlrev_b64 v[6:7], 3, v[6:7]
	v_mov_b32_e32 v28, s17
	v_add_co_u32_e32 v6, vcc, s10, v6
	v_addc_co_u32_e32 v7, vcc, v25, v7, vcc
	v_mad_u64_u32 v[25:26], s[6:7], v2, s11, v[3:4]
	v_mov_b32_e32 v27, s16
	global_store_dwordx2 v[6:7], v[27:28], off
	v_ashrrev_i32_e32 v26, 31, v25
	v_lshlrev_b64 v[6:7], 3, v[25:26]
	v_mov_b32_e32 v3, s34
	v_add_co_u32_e32 v6, vcc, s10, v6
	v_addc_co_u32_e32 v7, vcc, v3, v7, vcc
	global_store_dwordx2 v[6:7], v[27:28], off
.LBB87_50:                              ;   in Loop: Header=BB87_11 Depth=1
	s_or_b64 exec, exec, s[4:5]
	v_cmp_lt_i32_e32 vcc, 0, v0
	s_and_saveexec_b64 s[4:5], vcc
	s_cbranch_execz .LBB87_56
; %bb.51:                               ;   in Loop: Header=BB87_11 Depth=1
	v_cmp_ne_u32_e32 vcc, 1, v0
                                        ; implicit-def: $vgpr2
	s_and_saveexec_b64 s[6:7], vcc
	s_xor_b64 s[6:7], exec, s[6:7]
; %bb.52:                               ;   in Loop: Header=BB87_11 Depth=1
	ds_read_b32 v2, v15
; %bb.53:                               ;   in Loop: Header=BB87_11 Depth=1
	s_andn2_saveexec_b64 s[6:7], s[6:7]
	s_cbranch_execz .LBB87_55
; %bb.54:                               ;   in Loop: Header=BB87_11 Depth=1
	s_waitcnt lgkmcnt(0)
	v_mov_b32_e32 v2, s33
	ds_read_b32 v2, v2
.LBB87_55:                              ;   in Loop: Header=BB87_11 Depth=1
	s_or_b64 exec, exec, s[6:7]
.LBB87_56:                              ;   in Loop: Header=BB87_11 Depth=1
	s_or_b64 exec, exec, s[4:5]
	ds_read_b32 v3, v20
	s_waitcnt vmcnt(0) lgkmcnt(0)
	s_barrier
	s_and_saveexec_b64 s[4:5], s[0:1]
	s_cbranch_execz .LBB87_10
; %bb.57:                               ;   in Loop: Header=BB87_11 Depth=1
	ds_write_b32 v14, v2
	ds_write_b32 v19, v3
	s_branch .LBB87_10
.LBB87_58:
	s_endpgm
	.section	.rodata,"a",@progbits
	.p2align	6, 0x0
	.amdhsa_kernel _ZN9rocsolver6v33100L17syevj_diag_kernelI19rocblas_complex_numIfEfPS3_EEviT1_iilT0_PT_Pi
		.amdhsa_group_segment_fixed_size 0
		.amdhsa_private_segment_fixed_size 0
		.amdhsa_kernarg_size 312
		.amdhsa_user_sgpr_count 6
		.amdhsa_user_sgpr_private_segment_buffer 1
		.amdhsa_user_sgpr_dispatch_ptr 0
		.amdhsa_user_sgpr_queue_ptr 0
		.amdhsa_user_sgpr_kernarg_segment_ptr 1
		.amdhsa_user_sgpr_dispatch_id 0
		.amdhsa_user_sgpr_flat_scratch_init 0
		.amdhsa_user_sgpr_private_segment_size 0
		.amdhsa_uses_dynamic_stack 0
		.amdhsa_system_sgpr_private_segment_wavefront_offset 0
		.amdhsa_system_sgpr_workgroup_id_x 1
		.amdhsa_system_sgpr_workgroup_id_y 0
		.amdhsa_system_sgpr_workgroup_id_z 1
		.amdhsa_system_sgpr_workgroup_info 0
		.amdhsa_system_vgpr_workitem_id 1
		.amdhsa_next_free_vgpr 36
		.amdhsa_next_free_sgpr 39
		.amdhsa_reserve_vcc 1
		.amdhsa_reserve_flat_scratch 0
		.amdhsa_float_round_mode_32 0
		.amdhsa_float_round_mode_16_64 0
		.amdhsa_float_denorm_mode_32 3
		.amdhsa_float_denorm_mode_16_64 3
		.amdhsa_dx10_clamp 1
		.amdhsa_ieee_mode 1
		.amdhsa_fp16_overflow 0
		.amdhsa_exception_fp_ieee_invalid_op 0
		.amdhsa_exception_fp_denorm_src 0
		.amdhsa_exception_fp_ieee_div_zero 0
		.amdhsa_exception_fp_ieee_overflow 0
		.amdhsa_exception_fp_ieee_underflow 0
		.amdhsa_exception_fp_ieee_inexact 0
		.amdhsa_exception_int_div_zero 0
	.end_amdhsa_kernel
	.section	.text._ZN9rocsolver6v33100L17syevj_diag_kernelI19rocblas_complex_numIfEfPS3_EEviT1_iilT0_PT_Pi,"axG",@progbits,_ZN9rocsolver6v33100L17syevj_diag_kernelI19rocblas_complex_numIfEfPS3_EEviT1_iilT0_PT_Pi,comdat
.Lfunc_end87:
	.size	_ZN9rocsolver6v33100L17syevj_diag_kernelI19rocblas_complex_numIfEfPS3_EEviT1_iilT0_PT_Pi, .Lfunc_end87-_ZN9rocsolver6v33100L17syevj_diag_kernelI19rocblas_complex_numIfEfPS3_EEviT1_iilT0_PT_Pi
                                        ; -- End function
	.set _ZN9rocsolver6v33100L17syevj_diag_kernelI19rocblas_complex_numIfEfPS3_EEviT1_iilT0_PT_Pi.num_vgpr, 36
	.set _ZN9rocsolver6v33100L17syevj_diag_kernelI19rocblas_complex_numIfEfPS3_EEviT1_iilT0_PT_Pi.num_agpr, 0
	.set _ZN9rocsolver6v33100L17syevj_diag_kernelI19rocblas_complex_numIfEfPS3_EEviT1_iilT0_PT_Pi.numbered_sgpr, 39
	.set _ZN9rocsolver6v33100L17syevj_diag_kernelI19rocblas_complex_numIfEfPS3_EEviT1_iilT0_PT_Pi.num_named_barrier, 0
	.set _ZN9rocsolver6v33100L17syevj_diag_kernelI19rocblas_complex_numIfEfPS3_EEviT1_iilT0_PT_Pi.private_seg_size, 0
	.set _ZN9rocsolver6v33100L17syevj_diag_kernelI19rocblas_complex_numIfEfPS3_EEviT1_iilT0_PT_Pi.uses_vcc, 1
	.set _ZN9rocsolver6v33100L17syevj_diag_kernelI19rocblas_complex_numIfEfPS3_EEviT1_iilT0_PT_Pi.uses_flat_scratch, 0
	.set _ZN9rocsolver6v33100L17syevj_diag_kernelI19rocblas_complex_numIfEfPS3_EEviT1_iilT0_PT_Pi.has_dyn_sized_stack, 0
	.set _ZN9rocsolver6v33100L17syevj_diag_kernelI19rocblas_complex_numIfEfPS3_EEviT1_iilT0_PT_Pi.has_recursion, 0
	.set _ZN9rocsolver6v33100L17syevj_diag_kernelI19rocblas_complex_numIfEfPS3_EEviT1_iilT0_PT_Pi.has_indirect_call, 0
	.section	.AMDGPU.csdata,"",@progbits
; Kernel info:
; codeLenInByte = 3696
; TotalNumSgprs: 43
; NumVgprs: 36
; ScratchSize: 0
; MemoryBound: 0
; FloatMode: 240
; IeeeMode: 1
; LDSByteSize: 0 bytes/workgroup (compile time only)
; SGPRBlocks: 5
; VGPRBlocks: 8
; NumSGPRsForWavesPerEU: 43
; NumVGPRsForWavesPerEU: 36
; Occupancy: 7
; WaveLimiterHint : 0
; COMPUTE_PGM_RSRC2:SCRATCH_EN: 0
; COMPUTE_PGM_RSRC2:USER_SGPR: 6
; COMPUTE_PGM_RSRC2:TRAP_HANDLER: 0
; COMPUTE_PGM_RSRC2:TGID_X_EN: 1
; COMPUTE_PGM_RSRC2:TGID_Y_EN: 0
; COMPUTE_PGM_RSRC2:TGID_Z_EN: 1
; COMPUTE_PGM_RSRC2:TIDIG_COMP_CNT: 1
	.section	.text._ZN9rocsolver6v33100L21syevj_diag_rotate_orgILb0E19rocblas_complex_numIfEfPS3_EEvbiT2_iilPT0_Pi,"axG",@progbits,_ZN9rocsolver6v33100L21syevj_diag_rotate_orgILb0E19rocblas_complex_numIfEfPS3_EEvbiT2_iilPT0_Pi,comdat
	.globl	_ZN9rocsolver6v33100L21syevj_diag_rotate_orgILb0E19rocblas_complex_numIfEfPS3_EEvbiT2_iilPT0_Pi ; -- Begin function _ZN9rocsolver6v33100L21syevj_diag_rotate_orgILb0E19rocblas_complex_numIfEfPS3_EEvbiT2_iilPT0_Pi
	.p2align	8
	.type	_ZN9rocsolver6v33100L21syevj_diag_rotate_orgILb0E19rocblas_complex_numIfEfPS3_EEvbiT2_iilPT0_Pi,@function
_ZN9rocsolver6v33100L21syevj_diag_rotate_orgILb0E19rocblas_complex_numIfEfPS3_EEvbiT2_iilPT0_Pi: ; @_ZN9rocsolver6v33100L21syevj_diag_rotate_orgILb0E19rocblas_complex_numIfEfPS3_EEvbiT2_iilPT0_Pi
; %bb.0:
	s_load_dwordx2 s[0:1], s[4:5], 0x0
	s_load_dwordx2 s[2:3], s[4:5], 0x28
	s_waitcnt lgkmcnt(0)
	s_bitcmp1_b32 s0, 0
	s_cselect_b64 s[10:11], -1, 0
	s_ashr_i32 s9, s8, 31
	s_lshl_b64 s[12:13], s[8:9], 2
	s_add_u32 s2, s2, s12
	s_addc_u32 s3, s3, s13
	s_load_dword s0, s[2:3], 0x4
	s_waitcnt lgkmcnt(0)
	s_cmp_lg_u32 s0, 0
	s_cselect_b64 s[2:3], -1, 0
	s_cmp_eq_u32 s6, s7
	s_cselect_b64 s[12:13], -1, 0
	s_and_b64 s[10:11], s[12:13], s[10:11]
	s_or_b64 s[2:3], s[10:11], s[2:3]
	s_and_b64 vcc, exec, s[2:3]
	s_cbranch_vccnz .LBB88_7
; %bb.1:
	s_load_dword s0, s[4:5], 0x3c
	s_add_u32 s2, s4, 48
	s_addc_u32 s3, s5, 0
	s_waitcnt lgkmcnt(0)
	s_and_b32 s10, s0, 0xffff
	s_mul_i32 s0, s6, s10
	s_mul_i32 s11, s7, s10
	v_add_u32_e32 v7, s0, v0
	v_add_u32_e32 v2, s11, v1
	v_max_i32_e32 v3, v7, v2
	v_cmp_gt_i32_e32 vcc, s1, v3
	s_and_saveexec_b64 s[12:13], vcc
	s_cbranch_execz .LBB88_7
; %bb.2:
	s_load_dwordx8 s[12:19], s[4:5], 0x8
	s_sub_i32 s0, s1, s0
	s_min_i32 s4, s0, s10
	s_waitcnt lgkmcnt(0)
	s_mul_i32 s5, s16, s9
	s_mul_hi_u32 s9, s16, s8
	s_add_i32 s5, s9, s5
	s_mul_i32 s9, s17, s8
	s_add_i32 s17, s5, s9
	s_mul_i32 s16, s16, s8
	s_ashr_i32 s1, s14, 31
	s_lshl_b64 s[16:17], s[16:17], 3
	s_mov_b32 s0, s14
	s_add_u32 s5, s12, s16
	s_addc_u32 s9, s13, s17
	s_lshl_b64 s[0:1], s[0:1], 3
	s_add_u32 s0, s5, s0
	s_addc_u32 s1, s9, s1
	s_cmp_lt_i32 s4, 1
	s_cbranch_scc1 .LBB88_5
; %bb.3:
	s_load_dword s2, s[2:3], 0x0
	s_mul_i32 s3, s6, s15
	s_add_i32 s3, s7, s3
	s_mul_i32 s3, s3, s10
	v_add_u32_e32 v3, s3, v1
	s_waitcnt lgkmcnt(0)
	s_mul_i32 s2, s2, s8
	s_add_i32 s2, s2, s6
	s_mul_i32 s2, s2, s10
	s_mul_i32 s2, s2, s10
	s_ashr_i32 s3, s2, 31
	s_lshl_b64 s[2:3], s[2:3], 3
	s_add_u32 s2, s18, s2
	v_lshlrev_b32_e32 v0, 3, v0
	s_addc_u32 s3, s19, s3
	v_mov_b32_e32 v4, s3
	v_add_co_u32_e32 v5, vcc, s2, v0
	v_mov_b32_e32 v1, 0
	v_addc_co_u32_e32 v6, vcc, 0, v4, vcc
	s_lshl_b32 s2, s10, 3
	v_mov_b32_e32 v8, s1
	v_mov_b32_e32 v0, 0
.LBB88_4:                               ; =>This Inner Loop Header: Depth=1
	v_ashrrev_i32_e32 v4, 31, v3
	v_lshlrev_b64 v[11:12], 3, v[3:4]
	global_load_dwordx2 v[9:10], v[5:6], off
	v_add_co_u32_e32 v11, vcc, s0, v11
	v_addc_co_u32_e32 v12, vcc, v8, v12, vcc
	global_load_dwordx2 v[11:12], v[11:12], off
	s_add_i32 s4, s4, -1
	v_add_co_u32_e32 v5, vcc, s2, v5
	v_addc_co_u32_e32 v6, vcc, 0, v6, vcc
	v_add_u32_e32 v3, s15, v3
	s_cmp_lg_u32 s4, 0
	s_waitcnt vmcnt(0)
	v_mul_f32_e32 v4, v12, v10
	v_mul_f32_e32 v10, v11, v10
	v_fma_f32 v4, v11, v9, -v4
	v_fmac_f32_e32 v10, v12, v9
	v_add_f32_e32 v0, v0, v4
	v_add_f32_e32 v1, v1, v10
	s_cbranch_scc1 .LBB88_4
	s_branch .LBB88_6
.LBB88_5:
	v_mov_b32_e32 v1, 0
	v_mov_b32_e32 v0, 0
.LBB88_6:
	v_mad_u64_u32 v[2:3], s[2:3], v7, s15, v[2:3]
	v_mov_b32_e32 v4, s1
	v_ashrrev_i32_e32 v3, 31, v2
	v_lshlrev_b64 v[2:3], 3, v[2:3]
	s_barrier
	v_add_co_u32_e32 v2, vcc, s0, v2
	v_addc_co_u32_e32 v3, vcc, v4, v3, vcc
	global_store_dwordx2 v[2:3], v[0:1], off
.LBB88_7:
	s_endpgm
	.section	.rodata,"a",@progbits
	.p2align	6, 0x0
	.amdhsa_kernel _ZN9rocsolver6v33100L21syevj_diag_rotate_orgILb0E19rocblas_complex_numIfEfPS3_EEvbiT2_iilPT0_Pi
		.amdhsa_group_segment_fixed_size 0
		.amdhsa_private_segment_fixed_size 0
		.amdhsa_kernarg_size 304
		.amdhsa_user_sgpr_count 6
		.amdhsa_user_sgpr_private_segment_buffer 1
		.amdhsa_user_sgpr_dispatch_ptr 0
		.amdhsa_user_sgpr_queue_ptr 0
		.amdhsa_user_sgpr_kernarg_segment_ptr 1
		.amdhsa_user_sgpr_dispatch_id 0
		.amdhsa_user_sgpr_flat_scratch_init 0
		.amdhsa_user_sgpr_private_segment_size 0
		.amdhsa_uses_dynamic_stack 0
		.amdhsa_system_sgpr_private_segment_wavefront_offset 0
		.amdhsa_system_sgpr_workgroup_id_x 1
		.amdhsa_system_sgpr_workgroup_id_y 1
		.amdhsa_system_sgpr_workgroup_id_z 1
		.amdhsa_system_sgpr_workgroup_info 0
		.amdhsa_system_vgpr_workitem_id 1
		.amdhsa_next_free_vgpr 13
		.amdhsa_next_free_sgpr 20
		.amdhsa_reserve_vcc 1
		.amdhsa_reserve_flat_scratch 0
		.amdhsa_float_round_mode_32 0
		.amdhsa_float_round_mode_16_64 0
		.amdhsa_float_denorm_mode_32 3
		.amdhsa_float_denorm_mode_16_64 3
		.amdhsa_dx10_clamp 1
		.amdhsa_ieee_mode 1
		.amdhsa_fp16_overflow 0
		.amdhsa_exception_fp_ieee_invalid_op 0
		.amdhsa_exception_fp_denorm_src 0
		.amdhsa_exception_fp_ieee_div_zero 0
		.amdhsa_exception_fp_ieee_overflow 0
		.amdhsa_exception_fp_ieee_underflow 0
		.amdhsa_exception_fp_ieee_inexact 0
		.amdhsa_exception_int_div_zero 0
	.end_amdhsa_kernel
	.section	.text._ZN9rocsolver6v33100L21syevj_diag_rotate_orgILb0E19rocblas_complex_numIfEfPS3_EEvbiT2_iilPT0_Pi,"axG",@progbits,_ZN9rocsolver6v33100L21syevj_diag_rotate_orgILb0E19rocblas_complex_numIfEfPS3_EEvbiT2_iilPT0_Pi,comdat
.Lfunc_end88:
	.size	_ZN9rocsolver6v33100L21syevj_diag_rotate_orgILb0E19rocblas_complex_numIfEfPS3_EEvbiT2_iilPT0_Pi, .Lfunc_end88-_ZN9rocsolver6v33100L21syevj_diag_rotate_orgILb0E19rocblas_complex_numIfEfPS3_EEvbiT2_iilPT0_Pi
                                        ; -- End function
	.set _ZN9rocsolver6v33100L21syevj_diag_rotate_orgILb0E19rocblas_complex_numIfEfPS3_EEvbiT2_iilPT0_Pi.num_vgpr, 13
	.set _ZN9rocsolver6v33100L21syevj_diag_rotate_orgILb0E19rocblas_complex_numIfEfPS3_EEvbiT2_iilPT0_Pi.num_agpr, 0
	.set _ZN9rocsolver6v33100L21syevj_diag_rotate_orgILb0E19rocblas_complex_numIfEfPS3_EEvbiT2_iilPT0_Pi.numbered_sgpr, 20
	.set _ZN9rocsolver6v33100L21syevj_diag_rotate_orgILb0E19rocblas_complex_numIfEfPS3_EEvbiT2_iilPT0_Pi.num_named_barrier, 0
	.set _ZN9rocsolver6v33100L21syevj_diag_rotate_orgILb0E19rocblas_complex_numIfEfPS3_EEvbiT2_iilPT0_Pi.private_seg_size, 0
	.set _ZN9rocsolver6v33100L21syevj_diag_rotate_orgILb0E19rocblas_complex_numIfEfPS3_EEvbiT2_iilPT0_Pi.uses_vcc, 1
	.set _ZN9rocsolver6v33100L21syevj_diag_rotate_orgILb0E19rocblas_complex_numIfEfPS3_EEvbiT2_iilPT0_Pi.uses_flat_scratch, 0
	.set _ZN9rocsolver6v33100L21syevj_diag_rotate_orgILb0E19rocblas_complex_numIfEfPS3_EEvbiT2_iilPT0_Pi.has_dyn_sized_stack, 0
	.set _ZN9rocsolver6v33100L21syevj_diag_rotate_orgILb0E19rocblas_complex_numIfEfPS3_EEvbiT2_iilPT0_Pi.has_recursion, 0
	.set _ZN9rocsolver6v33100L21syevj_diag_rotate_orgILb0E19rocblas_complex_numIfEfPS3_EEvbiT2_iilPT0_Pi.has_indirect_call, 0
	.section	.AMDGPU.csdata,"",@progbits
; Kernel info:
; codeLenInByte = 476
; TotalNumSgprs: 24
; NumVgprs: 13
; ScratchSize: 0
; MemoryBound: 0
; FloatMode: 240
; IeeeMode: 1
; LDSByteSize: 0 bytes/workgroup (compile time only)
; SGPRBlocks: 2
; VGPRBlocks: 3
; NumSGPRsForWavesPerEU: 24
; NumVGPRsForWavesPerEU: 13
; Occupancy: 10
; WaveLimiterHint : 0
; COMPUTE_PGM_RSRC2:SCRATCH_EN: 0
; COMPUTE_PGM_RSRC2:USER_SGPR: 6
; COMPUTE_PGM_RSRC2:TRAP_HANDLER: 0
; COMPUTE_PGM_RSRC2:TGID_X_EN: 1
; COMPUTE_PGM_RSRC2:TGID_Y_EN: 1
; COMPUTE_PGM_RSRC2:TGID_Z_EN: 1
; COMPUTE_PGM_RSRC2:TIDIG_COMP_CNT: 1
	.section	.text._ZN9rocsolver6v33100L21syevj_diag_rotate_orgILb1E19rocblas_complex_numIfEfPS3_EEvbiT2_iilPT0_Pi,"axG",@progbits,_ZN9rocsolver6v33100L21syevj_diag_rotate_orgILb1E19rocblas_complex_numIfEfPS3_EEvbiT2_iilPT0_Pi,comdat
	.globl	_ZN9rocsolver6v33100L21syevj_diag_rotate_orgILb1E19rocblas_complex_numIfEfPS3_EEvbiT2_iilPT0_Pi ; -- Begin function _ZN9rocsolver6v33100L21syevj_diag_rotate_orgILb1E19rocblas_complex_numIfEfPS3_EEvbiT2_iilPT0_Pi
	.p2align	8
	.type	_ZN9rocsolver6v33100L21syevj_diag_rotate_orgILb1E19rocblas_complex_numIfEfPS3_EEvbiT2_iilPT0_Pi,@function
_ZN9rocsolver6v33100L21syevj_diag_rotate_orgILb1E19rocblas_complex_numIfEfPS3_EEvbiT2_iilPT0_Pi: ; @_ZN9rocsolver6v33100L21syevj_diag_rotate_orgILb1E19rocblas_complex_numIfEfPS3_EEvbiT2_iilPT0_Pi
; %bb.0:
	s_load_dwordx2 s[2:3], s[4:5], 0x0
	s_load_dwordx2 s[0:1], s[4:5], 0x28
	s_waitcnt lgkmcnt(0)
	s_bitcmp1_b32 s2, 0
	s_cselect_b64 s[10:11], -1, 0
	s_ashr_i32 s9, s8, 31
	s_lshl_b64 s[12:13], s[8:9], 2
	s_add_u32 s0, s0, s12
	s_addc_u32 s1, s1, s13
	s_load_dword s0, s[0:1], 0x4
	s_waitcnt lgkmcnt(0)
	s_cmp_lg_u32 s0, 0
	s_cselect_b64 s[0:1], -1, 0
	s_cmp_eq_u32 s6, s7
	s_cselect_b64 s[12:13], -1, 0
	s_and_b64 s[10:11], s[12:13], s[10:11]
	s_or_b64 s[0:1], s[10:11], s[0:1]
	s_and_b64 vcc, exec, s[0:1]
	s_cbranch_vccnz .LBB89_7
; %bb.1:
	s_load_dword s2, s[4:5], 0x3c
	s_add_u32 s0, s4, 48
	s_addc_u32 s1, s5, 0
	s_waitcnt lgkmcnt(0)
	s_and_b32 s11, s2, 0xffff
	s_mul_i32 s10, s6, s11
	s_mul_i32 s7, s7, s11
	v_add_u32_e32 v6, s10, v0
	v_add_u32_e32 v1, s7, v1
	v_max_i32_e32 v2, v6, v1
	v_cmp_gt_i32_e32 vcc, s3, v2
	s_and_saveexec_b64 s[12:13], vcc
	s_cbranch_execz .LBB89_7
; %bb.2:
	s_load_dwordx8 s[12:19], s[4:5], 0x8
	s_sub_i32 s2, s3, s10
	s_min_i32 s4, s2, s11
	s_waitcnt lgkmcnt(0)
	s_mul_i32 s5, s16, s9
	s_mul_hi_u32 s7, s16, s8
	s_add_i32 s5, s7, s5
	s_mul_i32 s7, s17, s8
	s_add_i32 s17, s5, s7
	s_mul_i32 s16, s16, s8
	s_ashr_i32 s3, s14, 31
	s_lshl_b64 s[16:17], s[16:17], 3
	s_mov_b32 s2, s14
	s_add_u32 s5, s12, s16
	s_addc_u32 s7, s13, s17
	s_lshl_b64 s[2:3], s[2:3], 3
	v_mul_lo_u32 v7, v1, s15
	s_add_u32 s2, s5, s2
	s_addc_u32 s3, s7, s3
	s_cmp_lt_i32 s4, 1
	s_cbranch_scc1 .LBB89_5
; %bb.3:
	s_load_dword s0, s[0:1], 0x0
	v_lshlrev_b32_e32 v0, 3, v0
	v_mov_b32_e32 v1, 0
	v_add_u32_e32 v4, s10, v7
	v_mov_b32_e32 v8, s3
	s_waitcnt lgkmcnt(0)
	s_mul_i32 s0, s0, s8
	s_add_i32 s0, s0, s6
	s_mul_i32 s0, s0, s11
	s_mul_i32 s0, s0, s11
	s_ashr_i32 s1, s0, 31
	s_lshl_b64 s[0:1], s[0:1], 3
	s_add_u32 s0, s18, s0
	s_addc_u32 s1, s19, s1
	v_mov_b32_e32 v2, s1
	v_add_co_u32_e32 v0, vcc, s0, v0
	v_addc_co_u32_e32 v3, vcc, 0, v2, vcc
	v_add_co_u32_e32 v2, vcc, 4, v0
	v_addc_co_u32_e32 v3, vcc, 0, v3, vcc
	s_lshl_b32 s0, s11, 3
	v_mov_b32_e32 v0, 0
.LBB89_4:                               ; =>This Inner Loop Header: Depth=1
	v_ashrrev_i32_e32 v5, 31, v4
	v_lshlrev_b64 v[11:12], 3, v[4:5]
	global_load_dwordx2 v[9:10], v[2:3], off offset:-4
	v_add_co_u32_e32 v11, vcc, s2, v11
	v_addc_co_u32_e32 v12, vcc, v8, v12, vcc
	global_load_dwordx2 v[11:12], v[11:12], off
	s_add_i32 s4, s4, -1
	v_add_co_u32_e32 v2, vcc, s0, v2
	v_addc_co_u32_e32 v3, vcc, 0, v3, vcc
	v_add_u32_e32 v4, 1, v4
	s_cmp_lg_u32 s4, 0
	s_waitcnt vmcnt(0)
	v_mul_f32_e32 v5, v10, v12
	v_mul_f32_e32 v10, v10, v11
	v_fmac_f32_e32 v5, v9, v11
	v_fma_f32 v9, v9, v12, -v10
	v_add_f32_e32 v0, v0, v5
	v_add_f32_e32 v1, v1, v9
	s_cbranch_scc1 .LBB89_4
	s_branch .LBB89_6
.LBB89_5:
	v_mov_b32_e32 v1, 0
	v_mov_b32_e32 v0, 0
.LBB89_6:
	v_add_u32_e32 v2, v7, v6
	v_ashrrev_i32_e32 v3, 31, v2
	v_lshlrev_b64 v[2:3], 3, v[2:3]
	v_mov_b32_e32 v4, s3
	v_add_co_u32_e32 v2, vcc, s2, v2
	v_addc_co_u32_e32 v3, vcc, v4, v3, vcc
	s_barrier
	global_store_dwordx2 v[2:3], v[0:1], off
.LBB89_7:
	s_endpgm
	.section	.rodata,"a",@progbits
	.p2align	6, 0x0
	.amdhsa_kernel _ZN9rocsolver6v33100L21syevj_diag_rotate_orgILb1E19rocblas_complex_numIfEfPS3_EEvbiT2_iilPT0_Pi
		.amdhsa_group_segment_fixed_size 0
		.amdhsa_private_segment_fixed_size 0
		.amdhsa_kernarg_size 304
		.amdhsa_user_sgpr_count 6
		.amdhsa_user_sgpr_private_segment_buffer 1
		.amdhsa_user_sgpr_dispatch_ptr 0
		.amdhsa_user_sgpr_queue_ptr 0
		.amdhsa_user_sgpr_kernarg_segment_ptr 1
		.amdhsa_user_sgpr_dispatch_id 0
		.amdhsa_user_sgpr_flat_scratch_init 0
		.amdhsa_user_sgpr_private_segment_size 0
		.amdhsa_uses_dynamic_stack 0
		.amdhsa_system_sgpr_private_segment_wavefront_offset 0
		.amdhsa_system_sgpr_workgroup_id_x 1
		.amdhsa_system_sgpr_workgroup_id_y 1
		.amdhsa_system_sgpr_workgroup_id_z 1
		.amdhsa_system_sgpr_workgroup_info 0
		.amdhsa_system_vgpr_workitem_id 1
		.amdhsa_next_free_vgpr 13
		.amdhsa_next_free_sgpr 20
		.amdhsa_reserve_vcc 1
		.amdhsa_reserve_flat_scratch 0
		.amdhsa_float_round_mode_32 0
		.amdhsa_float_round_mode_16_64 0
		.amdhsa_float_denorm_mode_32 3
		.amdhsa_float_denorm_mode_16_64 3
		.amdhsa_dx10_clamp 1
		.amdhsa_ieee_mode 1
		.amdhsa_fp16_overflow 0
		.amdhsa_exception_fp_ieee_invalid_op 0
		.amdhsa_exception_fp_denorm_src 0
		.amdhsa_exception_fp_ieee_div_zero 0
		.amdhsa_exception_fp_ieee_overflow 0
		.amdhsa_exception_fp_ieee_underflow 0
		.amdhsa_exception_fp_ieee_inexact 0
		.amdhsa_exception_int_div_zero 0
	.end_amdhsa_kernel
	.section	.text._ZN9rocsolver6v33100L21syevj_diag_rotate_orgILb1E19rocblas_complex_numIfEfPS3_EEvbiT2_iilPT0_Pi,"axG",@progbits,_ZN9rocsolver6v33100L21syevj_diag_rotate_orgILb1E19rocblas_complex_numIfEfPS3_EEvbiT2_iilPT0_Pi,comdat
.Lfunc_end89:
	.size	_ZN9rocsolver6v33100L21syevj_diag_rotate_orgILb1E19rocblas_complex_numIfEfPS3_EEvbiT2_iilPT0_Pi, .Lfunc_end89-_ZN9rocsolver6v33100L21syevj_diag_rotate_orgILb1E19rocblas_complex_numIfEfPS3_EEvbiT2_iilPT0_Pi
                                        ; -- End function
	.set _ZN9rocsolver6v33100L21syevj_diag_rotate_orgILb1E19rocblas_complex_numIfEfPS3_EEvbiT2_iilPT0_Pi.num_vgpr, 13
	.set _ZN9rocsolver6v33100L21syevj_diag_rotate_orgILb1E19rocblas_complex_numIfEfPS3_EEvbiT2_iilPT0_Pi.num_agpr, 0
	.set _ZN9rocsolver6v33100L21syevj_diag_rotate_orgILb1E19rocblas_complex_numIfEfPS3_EEvbiT2_iilPT0_Pi.numbered_sgpr, 20
	.set _ZN9rocsolver6v33100L21syevj_diag_rotate_orgILb1E19rocblas_complex_numIfEfPS3_EEvbiT2_iilPT0_Pi.num_named_barrier, 0
	.set _ZN9rocsolver6v33100L21syevj_diag_rotate_orgILb1E19rocblas_complex_numIfEfPS3_EEvbiT2_iilPT0_Pi.private_seg_size, 0
	.set _ZN9rocsolver6v33100L21syevj_diag_rotate_orgILb1E19rocblas_complex_numIfEfPS3_EEvbiT2_iilPT0_Pi.uses_vcc, 1
	.set _ZN9rocsolver6v33100L21syevj_diag_rotate_orgILb1E19rocblas_complex_numIfEfPS3_EEvbiT2_iilPT0_Pi.uses_flat_scratch, 0
	.set _ZN9rocsolver6v33100L21syevj_diag_rotate_orgILb1E19rocblas_complex_numIfEfPS3_EEvbiT2_iilPT0_Pi.has_dyn_sized_stack, 0
	.set _ZN9rocsolver6v33100L21syevj_diag_rotate_orgILb1E19rocblas_complex_numIfEfPS3_EEvbiT2_iilPT0_Pi.has_recursion, 0
	.set _ZN9rocsolver6v33100L21syevj_diag_rotate_orgILb1E19rocblas_complex_numIfEfPS3_EEvbiT2_iilPT0_Pi.has_indirect_call, 0
	.section	.AMDGPU.csdata,"",@progbits
; Kernel info:
; codeLenInByte = 476
; TotalNumSgprs: 24
; NumVgprs: 13
; ScratchSize: 0
; MemoryBound: 0
; FloatMode: 240
; IeeeMode: 1
; LDSByteSize: 0 bytes/workgroup (compile time only)
; SGPRBlocks: 2
; VGPRBlocks: 3
; NumSGPRsForWavesPerEU: 24
; NumVGPRsForWavesPerEU: 13
; Occupancy: 10
; WaveLimiterHint : 0
; COMPUTE_PGM_RSRC2:SCRATCH_EN: 0
; COMPUTE_PGM_RSRC2:USER_SGPR: 6
; COMPUTE_PGM_RSRC2:TRAP_HANDLER: 0
; COMPUTE_PGM_RSRC2:TGID_X_EN: 1
; COMPUTE_PGM_RSRC2:TGID_Y_EN: 1
; COMPUTE_PGM_RSRC2:TGID_Z_EN: 1
; COMPUTE_PGM_RSRC2:TIDIG_COMP_CNT: 1
	.section	.text._ZN9rocsolver6v33100L17syevj_diag_rotateILb0E19rocblas_complex_numIfEfPS3_EEvbiiT2_iilPT0_Pii,"axG",@progbits,_ZN9rocsolver6v33100L17syevj_diag_rotateILb0E19rocblas_complex_numIfEfPS3_EEvbiiT2_iilPT0_Pii,comdat
	.globl	_ZN9rocsolver6v33100L17syevj_diag_rotateILb0E19rocblas_complex_numIfEfPS3_EEvbiiT2_iilPT0_Pii ; -- Begin function _ZN9rocsolver6v33100L17syevj_diag_rotateILb0E19rocblas_complex_numIfEfPS3_EEvbiiT2_iilPT0_Pii
	.p2align	8
	.type	_ZN9rocsolver6v33100L17syevj_diag_rotateILb0E19rocblas_complex_numIfEfPS3_EEvbiiT2_iilPT0_Pii,@function
_ZN9rocsolver6v33100L17syevj_diag_rotateILb0E19rocblas_complex_numIfEfPS3_EEvbiiT2_iilPT0_Pii: ; @_ZN9rocsolver6v33100L17syevj_diag_rotateILb0E19rocblas_complex_numIfEfPS3_EEvbiiT2_iilPT0_Pii
; %bb.0:
	s_load_dwordx4 s[36:39], s[4:5], 0x0
	s_add_u32 flat_scratch_lo, s6, s11
	s_addc_u32 flat_scratch_hi, s7, 0
	s_add_u32 s0, s0, s11
	s_addc_u32 s1, s1, 0
	s_waitcnt lgkmcnt(0)
	s_abs_i32 s27, s37
	v_mov_b32_e32 v42, v0
	v_cvt_f32_u32_e32 v0, s27
	s_mul_i32 s50, s37, s37
	s_mov_b32 s26, s10
	s_mov_b64 s[28:29], s[4:5]
	v_rcp_iflag_f32_e32 v0, v0
	s_mov_b32 s34, s9
	s_mov_b32 s35, s8
	v_mov_b32_e32 v41, v1
	v_mul_f32_e32 v0, 0x4f7ffffe, v0
	v_cvt_u32_f32_e32 v0, v0
	s_cmpk_lt_u32 s50, 0x2001
	s_mov_b64 s[4:5], -1
	s_mov_b32 s32, 0
	v_readfirstlane_b32 s39, v0
	s_cbranch_scc1 .LBB90_2
; %bb.1:
	s_add_u32 s8, s28, 64
	s_addc_u32 s9, s29, 0
	s_getpc_b64 s[4:5]
	s_add_u32 s4, s4, __PRETTY_FUNCTION__._ZN9rocsolver6v33100L17syevj_diag_rotateILb0E19rocblas_complex_numIfEfPS3_EEvbiiT2_iilPT0_Pii@rel32@lo+4
	s_addc_u32 s5, s5, __PRETTY_FUNCTION__._ZN9rocsolver6v33100L17syevj_diag_rotateILb0E19rocblas_complex_numIfEfPS3_EEvbiiT2_iilPT0_Pii@rel32@hi+12
	s_getpc_b64 s[6:7]
	s_add_u32 s6, s6, __assert_fail@rel32@lo+4
	s_addc_u32 s7, s7, __assert_fail@rel32@hi+12
	v_mov_b32_e32 v0, s4
	v_mov_b32_e32 v1, s5
	s_swappc_b64 s[30:31], s[6:7]
	s_mov_b64 s[4:5], 0
	; divergent unreachable
.LBB90_2:
	s_andn2_b64 vcc, exec, s[4:5]
	s_cbranch_vccnz .LBB90_36
; %bb.3:
	s_load_dword s33, s[28:29], 0x38
	s_waitcnt lgkmcnt(0)
	s_cmp_ge_u32 s26, s33
	s_cbranch_scc1 .LBB90_36
; %bb.4:
	s_mov_b64 s[4:5], src_shared_base
	s_sub_i32 s4, 0, s27
	s_mul_i32 s4, s4, s39
	s_add_i32 s6, s38, -1
	s_mul_hi_u32 s4, s39, s4
	s_abs_i32 s7, s6
	s_add_i32 s39, s39, s4
	s_ashr_i32 s6, s6, 31
	s_ashr_i32 s8, s37, 31
	s_load_dwordx4 s[20:23], s[28:29], 0x40
	s_cmpk_lt_u32 s50, 0x1001
	s_mul_hi_u32 s4, s7, s39
	s_cselect_b64 s[24:25], -1, 0
	s_bitcmp1_b32 s36, 0
	s_cselect_b64 s[30:31], -1, 0
	s_xor_b32 s6, s6, s8
	s_mul_i32 s8, s4, s27
	s_sub_i32 s7, s7, s8
	s_waitcnt lgkmcnt(0)
	s_lshr_b32 s36, s23, 16
	s_and_b32 s23, s23, 0xffff
	s_add_i32 s8, s4, 1
	s_sub_i32 s9, s7, s27
	s_cmp_ge_u32 s7, s27
	s_cselect_b32 s4, s8, s4
	s_cselect_b32 s7, s9, s7
	s_add_i32 s8, s4, 1
	s_load_dwordx8 s[12:19], s[28:29], 0x10
	s_load_dwordx2 s[40:41], s[28:29], 0x30
	s_cmp_ge_u32 s7, s27
	s_cselect_b32 s4, s8, s4
	s_xor_b32 s4, s4, s6
	s_sub_i32 s51, s4, s6
	s_lshl_b32 s4, s50, 3
	s_add_i32 s52, s51, 1
	s_add_i32 s53, s4, 0
	s_waitcnt lgkmcnt(0)
	s_ashr_i32 s7, s14, 31
	v_mul_lo_u32 v0, v41, s37
	s_cmp_lt_u32 s35, s52
	s_mul_i32 s4, s51, s37
	s_cselect_b64 s[8:9], -1, 0
	s_sub_i32 s55, s38, s4
	s_mov_b32 s6, s14
	s_cmp_lt_u32 s34, s52
	s_cselect_b64 s[10:11], -1, 0
	s_ashr_i32 s57, s15, 31
	s_lshl_b64 s[6:7], s[6:7], 3
	v_lshlrev_b32_e32 v0, 3, v0
	v_lshlrev_b32_e32 v1, 3, v42
	s_add_u32 s59, s12, s6
	v_add3_u32 v6, v0, v1, 0
	s_mul_i32 s6, s37, s36
	v_cndmask_b32_e64 v0, 0, 1, s[8:9]
	v_mad_u32_u24 v4, v41, s23, v42
	s_mul_i32 s56, s36, s23
	s_addc_u32 s60, s13, s7
	s_lshl_b32 s62, s6, 3
	v_cmp_ne_u32_e64 s[6:7], 1, v0
	v_cndmask_b32_e64 v0, 0, 1, s[24:25]
	v_cndmask_b32_e64 v2, 0, 1, s[10:11]
	s_mov_b32 s29, 0
	s_mov_b32 s54, s5
	v_cmp_gt_u32_e64 s[4:5], s50, v4
	s_mov_b32 s58, s15
	v_lshl_add_u32 v5, v4, 3, s53
	s_lshl_b32 s61, s56, 3
	s_lshl_b32 s63, s23, 3
	s_mul_i32 s64, s34, s37
	s_mul_i32 s65, s21, s37
	v_add_u32_e32 v7, 0, v1
	s_lshl_b32 s66, s37, 3
	v_mov_b32_e32 v1, 0
	v_cmp_ne_u32_e64 s[8:9], 1, v0
	v_cmp_ne_u32_e64 s[10:11], 1, v2
	s_branch .LBB90_6
.LBB90_5:                               ;   in Loop: Header=BB90_6 Depth=1
	s_add_i32 s26, s26, s22
	s_cmp_lt_u32 s26, s33
	s_cbranch_scc0 .LBB90_36
.LBB90_6:                               ; =>This Loop Header: Depth=1
                                        ;     Child Loop BB90_10 Depth 2
                                        ;       Child Loop BB90_13 Depth 3
                                        ;       Child Loop BB90_19 Depth 3
                                        ;         Child Loop BB90_23 Depth 4
                                        ;           Child Loop BB90_25 Depth 5
                                        ;         Child Loop BB90_29 Depth 4
                                        ;           Child Loop BB90_33 Depth 5
                                        ;             Child Loop BB90_35 Depth 6
	s_mov_b32 s27, s29
	s_lshl_b64 s[12:13], s[26:27], 2
	s_add_u32 s12, s40, s12
	s_addc_u32 s13, s41, s13
	global_load_dword v0, v1, s[12:13] offset:4
	s_waitcnt vmcnt(0)
	v_cmp_ne_u32_e32 vcc, 0, v0
	s_cbranch_vccnz .LBB90_5
; %bb.7:                                ;   in Loop: Header=BB90_6 Depth=1
	s_and_b64 vcc, exec, s[6:7]
	s_cbranch_vccnz .LBB90_5
; %bb.8:                                ;   in Loop: Header=BB90_6 Depth=1
	s_mul_i32 s12, s17, s26
	s_mul_hi_u32 s13, s16, s26
	s_add_i32 s13, s13, s12
	s_mul_i32 s12, s16, s26
	s_lshl_b64 s[12:13], s[12:13], 3
	s_add_u32 s27, s59, s12
	s_addc_u32 s67, s60, s13
	s_mul_i32 s68, s26, s52
	s_mov_b32 s69, s35
	s_branch .LBB90_10
.LBB90_9:                               ;   in Loop: Header=BB90_10 Depth=2
	s_add_i32 s69, s69, s20
	s_cmp_ge_u32 s69, s52
	s_cbranch_scc1 .LBB90_5
.LBB90_10:                              ;   Parent Loop BB90_6 Depth=1
                                        ; =>  This Loop Header: Depth=2
                                        ;       Child Loop BB90_13 Depth 3
                                        ;       Child Loop BB90_19 Depth 3
                                        ;         Child Loop BB90_23 Depth 4
                                        ;           Child Loop BB90_25 Depth 5
                                        ;         Child Loop BB90_29 Depth 4
                                        ;           Child Loop BB90_33 Depth 5
                                        ;             Child Loop BB90_35 Depth 6
	s_add_i32 s12, s69, s68
	s_mul_i32 s28, s12, s50
	s_lshl_b64 s[12:13], s[28:29], 3
	s_add_u32 s38, s18, s12
	s_addc_u32 s28, s19, s13
	s_and_b64 vcc, exec, s[8:9]
	s_cbranch_vccnz .LBB90_15
; %bb.11:                               ;   in Loop: Header=BB90_10 Depth=2
	s_barrier
	s_and_saveexec_b64 s[12:13], s[4:5]
	s_cbranch_execz .LBB90_14
; %bb.12:                               ;   in Loop: Header=BB90_10 Depth=2
	s_mov_b64 s[14:15], 0
	v_mov_b32_e32 v2, s28
	v_mov_b32_e32 v3, v5
	;; [unrolled: 1-line block ×3, first 2 shown]
.LBB90_13:                              ;   Parent Loop BB90_6 Depth=1
                                        ;     Parent Loop BB90_10 Depth=2
                                        ; =>    This Inner Loop Header: Depth=3
	v_lshlrev_b64 v[8:9], 3, v[0:1]
	v_add_u32_e32 v0, s56, v0
	v_add_co_u32_e32 v8, vcc, s38, v8
	v_addc_co_u32_e32 v9, vcc, v2, v9, vcc
	global_load_dwordx2 v[8:9], v[8:9], off
	v_cmp_le_u32_e32 vcc, s50, v0
	s_or_b64 s[14:15], vcc, s[14:15]
	s_waitcnt vmcnt(0)
	ds_write_b64 v3, v[8:9]
	v_add_u32_e32 v3, s61, v3
	s_andn2_b64 exec, exec, s[14:15]
	s_cbranch_execnz .LBB90_13
.LBB90_14:                              ;   in Loop: Header=BB90_10 Depth=2
	s_or_b64 exec, exec, s[12:13]
	s_waitcnt lgkmcnt(0)
	s_barrier
.LBB90_15:                              ;   in Loop: Header=BB90_10 Depth=2
	s_and_b64 vcc, exec, s[10:11]
	s_cbranch_vccnz .LBB90_9
; %bb.16:                               ;   in Loop: Header=BB90_10 Depth=2
	s_and_b64 s[12:13], s[24:25], exec
	s_cselect_b32 s28, s54, s28
	s_cselect_b32 s70, s53, s38
	s_cmp_eq_u32 s69, s51
	s_cselect_b32 s71, s55, s37
	s_cmp_gt_i32 s71, 0
	s_mul_i32 s72, s69, s37
	v_cmp_gt_u32_e64 s[12:13], s71, v41
	s_cselect_b64 s[38:39], -1, 0
	s_mov_b32 s73, s64
	s_mov_b32 s74, s34
	s_branch .LBB90_19
.LBB90_17:                              ;   in Loop: Header=BB90_19 Depth=3
	s_or_b64 exec, exec, s[42:43]
	s_waitcnt vmcnt(0)
	s_barrier
.LBB90_18:                              ;   in Loop: Header=BB90_19 Depth=3
	s_add_i32 s74, s74, s21
	s_add_i32 s73, s73, s65
	s_cmp_ge_u32 s74, s52
	s_cbranch_scc1 .LBB90_9
.LBB90_19:                              ;   Parent Loop BB90_6 Depth=1
                                        ;     Parent Loop BB90_10 Depth=2
                                        ; =>    This Loop Header: Depth=3
                                        ;         Child Loop BB90_23 Depth 4
                                        ;           Child Loop BB90_25 Depth 5
                                        ;         Child Loop BB90_29 Depth 4
                                        ;           Child Loop BB90_33 Depth 5
                                        ;             Child Loop BB90_35 Depth 6
	s_cmp_eq_u32 s69, s74
	s_cselect_b64 s[14:15], -1, 0
	s_and_b64 s[14:15], s[30:31], s[14:15]
	s_and_b64 vcc, exec, s[14:15]
	s_cbranch_vccnz .LBB90_18
; %bb.20:                               ;   in Loop: Header=BB90_19 Depth=3
	s_cmp_eq_u32 s74, s51
	s_cselect_b32 s75, s55, s37
	s_barrier
	s_and_saveexec_b64 s[42:43], s[12:13]
	s_cbranch_execz .LBB90_26
; %bb.21:                               ;   in Loop: Header=BB90_19 Depth=3
	v_cmp_gt_u32_e32 vcc, s75, v42
	s_mov_b64 s[44:45], 0
	v_mov_b32_e32 v2, v6
	v_mov_b32_e32 v3, v41
	s_branch .LBB90_23
.LBB90_22:                              ;   in Loop: Header=BB90_23 Depth=4
	s_or_b64 exec, exec, s[46:47]
	v_add_u32_e32 v3, s36, v3
	v_cmp_le_u32_e64 s[14:15], s71, v3
	s_or_b64 s[44:45], s[14:15], s[44:45]
	v_add_u32_e32 v2, s62, v2
	s_andn2_b64 exec, exec, s[44:45]
	s_cbranch_execz .LBB90_26
.LBB90_23:                              ;   Parent Loop BB90_6 Depth=1
                                        ;     Parent Loop BB90_10 Depth=2
                                        ;       Parent Loop BB90_19 Depth=3
                                        ; =>      This Loop Header: Depth=4
                                        ;           Child Loop BB90_25 Depth 5
	s_and_saveexec_b64 s[46:47], vcc
	s_cbranch_execz .LBB90_22
; %bb.24:                               ;   in Loop: Header=BB90_23 Depth=4
	v_add_u32_e32 v10, s72, v3
	v_mad_u64_u32 v[8:9], s[14:15], v10, s58, 0
	s_mov_b64 s[48:49], 0
	v_mov_b32_e32 v11, v42
	v_mov_b32_e32 v0, v9
	v_mad_u64_u32 v[9:10], s[14:15], v10, s57, v[0:1]
	v_mov_b32_e32 v0, s67
	v_mov_b32_e32 v10, v2
	v_lshlrev_b64 v[8:9], 3, v[8:9]
	v_add_co_u32_e64 v8, s[14:15], s27, v8
	v_addc_co_u32_e64 v9, s[14:15], v0, v9, s[14:15]
.LBB90_25:                              ;   Parent Loop BB90_6 Depth=1
                                        ;     Parent Loop BB90_10 Depth=2
                                        ;       Parent Loop BB90_19 Depth=3
                                        ;         Parent Loop BB90_23 Depth=4
                                        ; =>        This Inner Loop Header: Depth=5
	v_add_u32_e32 v0, s73, v11
	v_lshlrev_b64 v[12:13], 3, v[0:1]
	v_add_u32_e32 v11, s23, v11
	v_add_co_u32_e64 v12, s[14:15], v8, v12
	v_addc_co_u32_e64 v13, s[14:15], v9, v13, s[14:15]
	global_load_dwordx2 v[12:13], v[12:13], off
	v_cmp_le_u32_e64 s[14:15], s75, v11
	s_or_b64 s[48:49], s[14:15], s[48:49]
	s_waitcnt vmcnt(0)
	ds_write_b64 v10, v[12:13]
	v_add_u32_e32 v10, s63, v10
	s_andn2_b64 exec, exec, s[48:49]
	s_cbranch_execnz .LBB90_25
	s_branch .LBB90_22
.LBB90_26:                              ;   in Loop: Header=BB90_19 Depth=3
	s_or_b64 exec, exec, s[42:43]
	s_waitcnt lgkmcnt(0)
	s_barrier
	s_and_saveexec_b64 s[42:43], s[12:13]
	s_cbranch_execz .LBB90_17
; %bb.27:                               ;   in Loop: Header=BB90_19 Depth=3
	s_mul_i32 s76, s74, s37
	v_cmp_gt_u32_e64 s[14:15], s75, v42
	s_mov_b64 s[44:45], 0
	v_mov_b32_e32 v8, v41
	s_branch .LBB90_29
.LBB90_28:                              ;   in Loop: Header=BB90_29 Depth=4
	s_or_b64 exec, exec, s[46:47]
	v_add_u32_e32 v8, s36, v8
	v_cmp_le_u32_e32 vcc, s71, v8
	s_or_b64 s[44:45], vcc, s[44:45]
	s_andn2_b64 exec, exec, s[44:45]
	s_cbranch_execz .LBB90_17
.LBB90_29:                              ;   Parent Loop BB90_6 Depth=1
                                        ;     Parent Loop BB90_10 Depth=2
                                        ;       Parent Loop BB90_19 Depth=3
                                        ; =>      This Loop Header: Depth=4
                                        ;           Child Loop BB90_33 Depth 5
                                        ;             Child Loop BB90_35 Depth 6
	s_and_saveexec_b64 s[46:47], s[14:15]
	s_cbranch_execz .LBB90_28
; %bb.30:                               ;   in Loop: Header=BB90_29 Depth=4
	v_add_u32_e32 v9, s72, v8
	v_mad_u64_u32 v[2:3], s[48:49], v9, s58, 0
	v_mov_b32_e32 v11, v7
	v_mov_b32_e32 v12, v42
	;; [unrolled: 1-line block ×3, first 2 shown]
	v_mad_u64_u32 v[9:10], s[48:49], v9, s57, v[0:1]
	v_mov_b32_e32 v0, s67
	s_mov_b64 s[48:49], 0
	v_mov_b32_e32 v3, v9
	v_lshlrev_b64 v[2:3], 3, v[2:3]
	v_add_co_u32_e32 v9, vcc, s27, v2
	v_addc_co_u32_e32 v10, vcc, v0, v3, vcc
	s_branch .LBB90_33
.LBB90_31:                              ;   in Loop: Header=BB90_33 Depth=5
	v_mov_b32_e32 v2, v3
.LBB90_32:                              ;   in Loop: Header=BB90_33 Depth=5
	v_add_u32_e32 v0, s76, v12
	v_lshlrev_b64 v[13:14], 3, v[0:1]
	v_add_u32_e32 v12, s23, v12
	v_add_co_u32_e32 v13, vcc, v9, v13
	v_addc_co_u32_e32 v14, vcc, v10, v14, vcc
	v_cmp_le_u32_e32 vcc, s75, v12
	s_or_b64 s[48:49], vcc, s[48:49]
	v_add_u32_e32 v11, s63, v11
	global_store_dwordx2 v[13:14], v[2:3], off
	s_andn2_b64 exec, exec, s[48:49]
	s_cbranch_execz .LBB90_28
.LBB90_33:                              ;   Parent Loop BB90_6 Depth=1
                                        ;     Parent Loop BB90_10 Depth=2
                                        ;       Parent Loop BB90_19 Depth=3
                                        ;         Parent Loop BB90_29 Depth=4
                                        ; =>        This Loop Header: Depth=5
                                        ;             Child Loop BB90_35 Depth 6
	v_mov_b32_e32 v3, 0
	s_andn2_b64 vcc, exec, s[38:39]
	s_cbranch_vccnz .LBB90_31
; %bb.34:                               ;   in Loop: Header=BB90_33 Depth=5
	v_mov_b32_e32 v0, v8
	v_mov_b32_e32 v13, v11
	s_mov_b32 s77, s71
	v_mov_b32_e32 v2, v3
.LBB90_35:                              ;   Parent Loop BB90_6 Depth=1
                                        ;     Parent Loop BB90_10 Depth=2
                                        ;       Parent Loop BB90_19 Depth=3
                                        ;         Parent Loop BB90_29 Depth=4
                                        ;           Parent Loop BB90_33 Depth=5
                                        ; =>          This Inner Loop Header: Depth=6
	v_lshlrev_b64 v[14:15], 3, v[0:1]
	v_mov_b32_e32 v16, s28
	v_add_co_u32_e32 v14, vcc, s70, v14
	v_addc_co_u32_e32 v15, vcc, v16, v15, vcc
	flat_load_dwordx2 v[14:15], v[14:15]
	ds_read_b64 v[16:17], v13
	s_add_i32 s77, s77, -1
	v_add_u32_e32 v13, s66, v13
	v_add_u32_e32 v0, s37, v0
	s_cmp_eq_u32 s77, 0
	s_waitcnt vmcnt(0) lgkmcnt(0)
	v_mul_f32_e32 v18, v15, v17
	v_mul_f32_e32 v17, v14, v17
	v_fma_f32 v14, v14, v16, -v18
	v_fmac_f32_e32 v17, v15, v16
	v_add_f32_e32 v2, v2, v14
	v_add_f32_e32 v3, v3, v17
	s_cbranch_scc0 .LBB90_35
	s_branch .LBB90_32
.LBB90_36:
	s_endpgm
	.section	.rodata,"a",@progbits
	.p2align	6, 0x0
	.amdhsa_kernel _ZN9rocsolver6v33100L17syevj_diag_rotateILb0E19rocblas_complex_numIfEfPS3_EEvbiiT2_iilPT0_Pii
		.amdhsa_group_segment_fixed_size 0
		.amdhsa_private_segment_fixed_size 64
		.amdhsa_kernarg_size 320
		.amdhsa_user_sgpr_count 8
		.amdhsa_user_sgpr_private_segment_buffer 1
		.amdhsa_user_sgpr_dispatch_ptr 0
		.amdhsa_user_sgpr_queue_ptr 0
		.amdhsa_user_sgpr_kernarg_segment_ptr 1
		.amdhsa_user_sgpr_dispatch_id 0
		.amdhsa_user_sgpr_flat_scratch_init 1
		.amdhsa_user_sgpr_private_segment_size 0
		.amdhsa_uses_dynamic_stack 0
		.amdhsa_system_sgpr_private_segment_wavefront_offset 1
		.amdhsa_system_sgpr_workgroup_id_x 1
		.amdhsa_system_sgpr_workgroup_id_y 1
		.amdhsa_system_sgpr_workgroup_id_z 1
		.amdhsa_system_sgpr_workgroup_info 0
		.amdhsa_system_vgpr_workitem_id 1
		.amdhsa_next_free_vgpr 43
		.amdhsa_next_free_sgpr 78
		.amdhsa_reserve_vcc 1
		.amdhsa_reserve_flat_scratch 1
		.amdhsa_float_round_mode_32 0
		.amdhsa_float_round_mode_16_64 0
		.amdhsa_float_denorm_mode_32 3
		.amdhsa_float_denorm_mode_16_64 3
		.amdhsa_dx10_clamp 1
		.amdhsa_ieee_mode 1
		.amdhsa_fp16_overflow 0
		.amdhsa_exception_fp_ieee_invalid_op 0
		.amdhsa_exception_fp_denorm_src 0
		.amdhsa_exception_fp_ieee_div_zero 0
		.amdhsa_exception_fp_ieee_overflow 0
		.amdhsa_exception_fp_ieee_underflow 0
		.amdhsa_exception_fp_ieee_inexact 0
		.amdhsa_exception_int_div_zero 0
	.end_amdhsa_kernel
	.section	.text._ZN9rocsolver6v33100L17syevj_diag_rotateILb0E19rocblas_complex_numIfEfPS3_EEvbiiT2_iilPT0_Pii,"axG",@progbits,_ZN9rocsolver6v33100L17syevj_diag_rotateILb0E19rocblas_complex_numIfEfPS3_EEvbiiT2_iilPT0_Pii,comdat
.Lfunc_end90:
	.size	_ZN9rocsolver6v33100L17syevj_diag_rotateILb0E19rocblas_complex_numIfEfPS3_EEvbiiT2_iilPT0_Pii, .Lfunc_end90-_ZN9rocsolver6v33100L17syevj_diag_rotateILb0E19rocblas_complex_numIfEfPS3_EEvbiiT2_iilPT0_Pii
                                        ; -- End function
	.set _ZN9rocsolver6v33100L17syevj_diag_rotateILb0E19rocblas_complex_numIfEfPS3_EEvbiiT2_iilPT0_Pii.num_vgpr, max(43, .L__assert_fail.num_vgpr)
	.set _ZN9rocsolver6v33100L17syevj_diag_rotateILb0E19rocblas_complex_numIfEfPS3_EEvbiiT2_iilPT0_Pii.num_agpr, max(0, .L__assert_fail.num_agpr)
	.set _ZN9rocsolver6v33100L17syevj_diag_rotateILb0E19rocblas_complex_numIfEfPS3_EEvbiiT2_iilPT0_Pii.numbered_sgpr, max(78, .L__assert_fail.numbered_sgpr)
	.set _ZN9rocsolver6v33100L17syevj_diag_rotateILb0E19rocblas_complex_numIfEfPS3_EEvbiiT2_iilPT0_Pii.num_named_barrier, max(0, .L__assert_fail.num_named_barrier)
	.set _ZN9rocsolver6v33100L17syevj_diag_rotateILb0E19rocblas_complex_numIfEfPS3_EEvbiiT2_iilPT0_Pii.private_seg_size, 0+max(.L__assert_fail.private_seg_size)
	.set _ZN9rocsolver6v33100L17syevj_diag_rotateILb0E19rocblas_complex_numIfEfPS3_EEvbiiT2_iilPT0_Pii.uses_vcc, or(1, .L__assert_fail.uses_vcc)
	.set _ZN9rocsolver6v33100L17syevj_diag_rotateILb0E19rocblas_complex_numIfEfPS3_EEvbiiT2_iilPT0_Pii.uses_flat_scratch, or(1, .L__assert_fail.uses_flat_scratch)
	.set _ZN9rocsolver6v33100L17syevj_diag_rotateILb0E19rocblas_complex_numIfEfPS3_EEvbiiT2_iilPT0_Pii.has_dyn_sized_stack, or(0, .L__assert_fail.has_dyn_sized_stack)
	.set _ZN9rocsolver6v33100L17syevj_diag_rotateILb0E19rocblas_complex_numIfEfPS3_EEvbiiT2_iilPT0_Pii.has_recursion, or(0, .L__assert_fail.has_recursion)
	.set _ZN9rocsolver6v33100L17syevj_diag_rotateILb0E19rocblas_complex_numIfEfPS3_EEvbiiT2_iilPT0_Pii.has_indirect_call, or(0, .L__assert_fail.has_indirect_call)
	.section	.AMDGPU.csdata,"",@progbits
; Kernel info:
; codeLenInByte = 1444
; TotalNumSgprs: 84
; NumVgprs: 43
; ScratchSize: 64
; MemoryBound: 0
; FloatMode: 240
; IeeeMode: 1
; LDSByteSize: 0 bytes/workgroup (compile time only)
; SGPRBlocks: 10
; VGPRBlocks: 10
; NumSGPRsForWavesPerEU: 84
; NumVGPRsForWavesPerEU: 43
; Occupancy: 5
; WaveLimiterHint : 1
; COMPUTE_PGM_RSRC2:SCRATCH_EN: 1
; COMPUTE_PGM_RSRC2:USER_SGPR: 8
; COMPUTE_PGM_RSRC2:TRAP_HANDLER: 0
; COMPUTE_PGM_RSRC2:TGID_X_EN: 1
; COMPUTE_PGM_RSRC2:TGID_Y_EN: 1
; COMPUTE_PGM_RSRC2:TGID_Z_EN: 1
; COMPUTE_PGM_RSRC2:TIDIG_COMP_CNT: 1
	.section	.text._ZN9rocsolver6v33100L17syevj_diag_rotateILb1E19rocblas_complex_numIfEfPS3_EEvbiiT2_iilPT0_Pii,"axG",@progbits,_ZN9rocsolver6v33100L17syevj_diag_rotateILb1E19rocblas_complex_numIfEfPS3_EEvbiiT2_iilPT0_Pii,comdat
	.globl	_ZN9rocsolver6v33100L17syevj_diag_rotateILb1E19rocblas_complex_numIfEfPS3_EEvbiiT2_iilPT0_Pii ; -- Begin function _ZN9rocsolver6v33100L17syevj_diag_rotateILb1E19rocblas_complex_numIfEfPS3_EEvbiiT2_iilPT0_Pii
	.p2align	8
	.type	_ZN9rocsolver6v33100L17syevj_diag_rotateILb1E19rocblas_complex_numIfEfPS3_EEvbiiT2_iilPT0_Pii,@function
_ZN9rocsolver6v33100L17syevj_diag_rotateILb1E19rocblas_complex_numIfEfPS3_EEvbiiT2_iilPT0_Pii: ; @_ZN9rocsolver6v33100L17syevj_diag_rotateILb1E19rocblas_complex_numIfEfPS3_EEvbiiT2_iilPT0_Pii
; %bb.0:
	s_load_dwordx4 s[36:39], s[4:5], 0x0
	s_add_u32 flat_scratch_lo, s6, s11
	s_addc_u32 flat_scratch_hi, s7, 0
	s_add_u32 s0, s0, s11
	s_addc_u32 s1, s1, 0
	s_waitcnt lgkmcnt(0)
	s_abs_i32 s27, s37
	v_mov_b32_e32 v42, v0
	v_cvt_f32_u32_e32 v0, s27
	s_mul_i32 s50, s37, s37
	s_mov_b32 s26, s10
	s_mov_b64 s[28:29], s[4:5]
	v_rcp_iflag_f32_e32 v0, v0
	s_mov_b32 s34, s9
	s_mov_b32 s35, s8
	v_mov_b32_e32 v41, v1
	v_mul_f32_e32 v0, 0x4f7ffffe, v0
	v_cvt_u32_f32_e32 v0, v0
	s_cmpk_lt_u32 s50, 0x2001
	s_mov_b64 s[4:5], -1
	s_mov_b32 s32, 0
	v_readfirstlane_b32 s39, v0
	s_cbranch_scc1 .LBB91_2
; %bb.1:
	s_add_u32 s8, s28, 64
	s_addc_u32 s9, s29, 0
	s_getpc_b64 s[4:5]
	s_add_u32 s4, s4, __PRETTY_FUNCTION__._ZN9rocsolver6v33100L17syevj_diag_rotateILb1E19rocblas_complex_numIfEfPS3_EEvbiiT2_iilPT0_Pii@rel32@lo+4
	s_addc_u32 s5, s5, __PRETTY_FUNCTION__._ZN9rocsolver6v33100L17syevj_diag_rotateILb1E19rocblas_complex_numIfEfPS3_EEvbiiT2_iilPT0_Pii@rel32@hi+12
	s_getpc_b64 s[6:7]
	s_add_u32 s6, s6, __assert_fail@rel32@lo+4
	s_addc_u32 s7, s7, __assert_fail@rel32@hi+12
	v_mov_b32_e32 v0, s4
	v_mov_b32_e32 v1, s5
	s_swappc_b64 s[30:31], s[6:7]
	s_mov_b64 s[4:5], 0
	; divergent unreachable
.LBB91_2:
	s_andn2_b64 vcc, exec, s[4:5]
	s_cbranch_vccnz .LBB91_36
; %bb.3:
	s_load_dword s33, s[28:29], 0x38
	s_waitcnt lgkmcnt(0)
	s_cmp_ge_u32 s26, s33
	s_cbranch_scc1 .LBB91_36
; %bb.4:
	s_mov_b64 s[4:5], src_shared_base
	s_sub_i32 s4, 0, s27
	s_mul_i32 s4, s4, s39
	s_add_i32 s6, s38, -1
	s_mul_hi_u32 s4, s39, s4
	s_abs_i32 s7, s6
	s_add_i32 s39, s39, s4
	s_ashr_i32 s6, s6, 31
	s_ashr_i32 s8, s37, 31
	s_load_dwordx4 s[20:23], s[28:29], 0x40
	s_cmpk_lt_u32 s50, 0x1001
	s_mul_hi_u32 s4, s7, s39
	s_cselect_b64 s[24:25], -1, 0
	s_bitcmp1_b32 s36, 0
	s_cselect_b64 s[30:31], -1, 0
	s_xor_b32 s6, s6, s8
	s_mul_i32 s8, s4, s27
	s_sub_i32 s7, s7, s8
	s_waitcnt lgkmcnt(0)
	s_lshr_b32 s36, s23, 16
	s_and_b32 s23, s23, 0xffff
	s_add_i32 s8, s4, 1
	s_sub_i32 s9, s7, s27
	s_cmp_ge_u32 s7, s27
	s_cselect_b32 s4, s8, s4
	s_cselect_b32 s7, s9, s7
	s_add_i32 s8, s4, 1
	s_load_dwordx8 s[12:19], s[28:29], 0x10
	s_load_dwordx2 s[40:41], s[28:29], 0x30
	s_cmp_ge_u32 s7, s27
	s_cselect_b32 s4, s8, s4
	s_xor_b32 s4, s4, s6
	s_sub_i32 s51, s4, s6
	s_lshl_b32 s4, s50, 3
	s_add_i32 s52, s51, 1
	s_add_i32 s53, s4, 0
	s_waitcnt lgkmcnt(0)
	s_ashr_i32 s7, s14, 31
	v_mul_lo_u32 v0, v41, s37
	s_cmp_lt_u32 s35, s52
	s_mul_i32 s4, s51, s37
	s_cselect_b64 s[8:9], -1, 0
	s_sub_i32 s55, s38, s4
	s_mov_b32 s6, s14
	s_cmp_lt_u32 s34, s52
	s_cselect_b64 s[10:11], -1, 0
	s_ashr_i32 s57, s15, 31
	s_lshl_b64 s[6:7], s[6:7], 3
	v_lshlrev_b32_e32 v0, 3, v0
	v_lshlrev_b32_e32 v1, 3, v42
	s_add_u32 s59, s12, s6
	v_add3_u32 v6, v0, v1, 0
	s_mul_i32 s6, s37, s36
	v_add_u32_e32 v7, 0, v0
	v_cndmask_b32_e64 v0, 0, 1, s[8:9]
	v_mad_u32_u24 v4, v41, s23, v42
	s_mul_i32 s56, s36, s23
	s_addc_u32 s60, s13, s7
	s_lshl_b32 s62, s6, 3
	v_cmp_ne_u32_e64 s[6:7], 1, v0
	v_cndmask_b32_e64 v0, 0, 1, s[24:25]
	v_cndmask_b32_e64 v2, 0, 1, s[10:11]
	s_mov_b32 s29, 0
	s_mov_b32 s54, s5
	v_cmp_gt_u32_e64 s[4:5], s50, v4
	s_mov_b32 s58, s15
	v_lshl_add_u32 v5, v4, 3, s53
	s_lshl_b32 s61, s56, 3
	s_lshl_b32 s63, s23, 3
	s_mul_i32 s64, s35, s37
	s_mul_i32 s65, s20, s37
	v_mov_b32_e32 v1, 0
	v_cmp_ne_u32_e64 s[8:9], 1, v0
	v_cmp_ne_u32_e64 s[10:11], 1, v2
	s_branch .LBB91_6
.LBB91_5:                               ;   in Loop: Header=BB91_6 Depth=1
	s_add_i32 s26, s26, s22
	s_cmp_lt_u32 s26, s33
	s_cbranch_scc0 .LBB91_36
.LBB91_6:                               ; =>This Loop Header: Depth=1
                                        ;     Child Loop BB91_10 Depth 2
                                        ;       Child Loop BB91_13 Depth 3
                                        ;       Child Loop BB91_19 Depth 3
                                        ;         Child Loop BB91_23 Depth 4
                                        ;           Child Loop BB91_25 Depth 5
                                        ;         Child Loop BB91_29 Depth 4
                                        ;           Child Loop BB91_33 Depth 5
                                        ;             Child Loop BB91_35 Depth 6
	s_mov_b32 s27, s29
	s_lshl_b64 s[12:13], s[26:27], 2
	s_add_u32 s12, s40, s12
	s_addc_u32 s13, s41, s13
	global_load_dword v0, v1, s[12:13] offset:4
	s_waitcnt vmcnt(0)
	v_cmp_ne_u32_e32 vcc, 0, v0
	s_cbranch_vccnz .LBB91_5
; %bb.7:                                ;   in Loop: Header=BB91_6 Depth=1
	s_and_b64 vcc, exec, s[6:7]
	s_cbranch_vccnz .LBB91_5
; %bb.8:                                ;   in Loop: Header=BB91_6 Depth=1
	s_mul_i32 s12, s17, s26
	s_mul_hi_u32 s13, s16, s26
	s_add_i32 s13, s13, s12
	s_mul_i32 s12, s16, s26
	s_lshl_b64 s[12:13], s[12:13], 3
	s_add_u32 s27, s59, s12
	s_addc_u32 s66, s60, s13
	s_mul_i32 s67, s26, s52
	s_mov_b32 s68, s64
	s_mov_b32 s69, s35
	s_branch .LBB91_10
.LBB91_9:                               ;   in Loop: Header=BB91_10 Depth=2
	s_add_i32 s69, s69, s20
	s_add_i32 s68, s68, s65
	s_cmp_ge_u32 s69, s52
	s_cbranch_scc1 .LBB91_5
.LBB91_10:                              ;   Parent Loop BB91_6 Depth=1
                                        ; =>  This Loop Header: Depth=2
                                        ;       Child Loop BB91_13 Depth 3
                                        ;       Child Loop BB91_19 Depth 3
                                        ;         Child Loop BB91_23 Depth 4
                                        ;           Child Loop BB91_25 Depth 5
                                        ;         Child Loop BB91_29 Depth 4
                                        ;           Child Loop BB91_33 Depth 5
                                        ;             Child Loop BB91_35 Depth 6
	s_add_i32 s12, s69, s67
	s_mul_i32 s28, s12, s50
	s_lshl_b64 s[12:13], s[28:29], 3
	s_add_u32 s38, s18, s12
	s_addc_u32 s28, s19, s13
	s_and_b64 vcc, exec, s[8:9]
	s_cbranch_vccnz .LBB91_15
; %bb.11:                               ;   in Loop: Header=BB91_10 Depth=2
	s_barrier
	s_and_saveexec_b64 s[12:13], s[4:5]
	s_cbranch_execz .LBB91_14
; %bb.12:                               ;   in Loop: Header=BB91_10 Depth=2
	s_mov_b64 s[14:15], 0
	v_mov_b32_e32 v2, s28
	v_mov_b32_e32 v3, v5
	;; [unrolled: 1-line block ×3, first 2 shown]
.LBB91_13:                              ;   Parent Loop BB91_6 Depth=1
                                        ;     Parent Loop BB91_10 Depth=2
                                        ; =>    This Inner Loop Header: Depth=3
	v_lshlrev_b64 v[8:9], 3, v[0:1]
	v_add_u32_e32 v0, s56, v0
	v_add_co_u32_e32 v8, vcc, s38, v8
	v_addc_co_u32_e32 v9, vcc, v2, v9, vcc
	global_load_dwordx2 v[8:9], v[8:9], off
	v_cmp_le_u32_e32 vcc, s50, v0
	s_or_b64 s[14:15], vcc, s[14:15]
	s_waitcnt vmcnt(0)
	ds_write_b64 v3, v[8:9]
	v_add_u32_e32 v3, s61, v3
	s_andn2_b64 exec, exec, s[14:15]
	s_cbranch_execnz .LBB91_13
.LBB91_14:                              ;   in Loop: Header=BB91_10 Depth=2
	s_or_b64 exec, exec, s[12:13]
	s_waitcnt lgkmcnt(0)
	s_barrier
.LBB91_15:                              ;   in Loop: Header=BB91_10 Depth=2
	s_and_b64 vcc, exec, s[10:11]
	s_cbranch_vccnz .LBB91_9
; %bb.16:                               ;   in Loop: Header=BB91_10 Depth=2
	s_and_b64 s[12:13], s[24:25], exec
	s_cselect_b32 s28, s54, s28
	s_cselect_b32 s70, s53, s38
	s_cmp_eq_u32 s69, s51
	s_cselect_b32 s71, s55, s37
	s_cmp_gt_i32 s71, 0
	s_mul_i32 s72, s69, s37
	v_cmp_gt_u32_e64 s[12:13], s71, v42
	s_cselect_b64 s[38:39], -1, 0
	s_mov_b32 s73, s34
	s_branch .LBB91_19
.LBB91_17:                              ;   in Loop: Header=BB91_19 Depth=3
	s_or_b64 exec, exec, s[14:15]
	s_waitcnt vmcnt(0)
	s_barrier
.LBB91_18:                              ;   in Loop: Header=BB91_19 Depth=3
	s_add_i32 s73, s73, s21
	s_cmp_ge_u32 s73, s52
	s_cbranch_scc1 .LBB91_9
.LBB91_19:                              ;   Parent Loop BB91_6 Depth=1
                                        ;     Parent Loop BB91_10 Depth=2
                                        ; =>    This Loop Header: Depth=3
                                        ;         Child Loop BB91_23 Depth 4
                                        ;           Child Loop BB91_25 Depth 5
                                        ;         Child Loop BB91_29 Depth 4
                                        ;           Child Loop BB91_33 Depth 5
                                        ;             Child Loop BB91_35 Depth 6
	s_cmp_eq_u32 s69, s73
	s_cselect_b64 s[14:15], -1, 0
	s_and_b64 s[14:15], s[30:31], s[14:15]
	s_and_b64 vcc, exec, s[14:15]
	s_cbranch_vccnz .LBB91_18
; %bb.20:                               ;   in Loop: Header=BB91_19 Depth=3
	s_cmp_eq_u32 s73, s51
	s_cselect_b32 s75, s55, s37
	s_mul_i32 s74, s73, s37
	v_cmp_gt_u32_e32 vcc, s75, v41
	s_barrier
	s_and_saveexec_b64 s[42:43], vcc
	s_cbranch_execz .LBB91_26
; %bb.21:                               ;   in Loop: Header=BB91_19 Depth=3
	s_mov_b64 s[44:45], 0
	v_mov_b32_e32 v2, v6
	v_mov_b32_e32 v3, v41
	s_branch .LBB91_23
.LBB91_22:                              ;   in Loop: Header=BB91_23 Depth=4
	s_or_b64 exec, exec, s[46:47]
	v_add_u32_e32 v3, s36, v3
	v_cmp_le_u32_e64 s[14:15], s75, v3
	s_or_b64 s[44:45], s[14:15], s[44:45]
	v_add_u32_e32 v2, s62, v2
	s_andn2_b64 exec, exec, s[44:45]
	s_cbranch_execz .LBB91_26
.LBB91_23:                              ;   Parent Loop BB91_6 Depth=1
                                        ;     Parent Loop BB91_10 Depth=2
                                        ;       Parent Loop BB91_19 Depth=3
                                        ; =>      This Loop Header: Depth=4
                                        ;           Child Loop BB91_25 Depth 5
	s_and_saveexec_b64 s[46:47], s[12:13]
	s_cbranch_execz .LBB91_22
; %bb.24:                               ;   in Loop: Header=BB91_23 Depth=4
	v_add_u32_e32 v10, s74, v3
	v_mad_u64_u32 v[8:9], s[14:15], v10, s58, 0
	s_mov_b64 s[48:49], 0
	v_mov_b32_e32 v11, v42
	v_mov_b32_e32 v0, v9
	v_mad_u64_u32 v[9:10], s[14:15], v10, s57, v[0:1]
	v_mov_b32_e32 v0, s66
	v_mov_b32_e32 v10, v2
	v_lshlrev_b64 v[8:9], 3, v[8:9]
	v_add_co_u32_e64 v8, s[14:15], s27, v8
	v_addc_co_u32_e64 v9, s[14:15], v0, v9, s[14:15]
.LBB91_25:                              ;   Parent Loop BB91_6 Depth=1
                                        ;     Parent Loop BB91_10 Depth=2
                                        ;       Parent Loop BB91_19 Depth=3
                                        ;         Parent Loop BB91_23 Depth=4
                                        ; =>        This Inner Loop Header: Depth=5
	v_add_u32_e32 v0, s68, v11
	v_lshlrev_b64 v[12:13], 3, v[0:1]
	v_add_u32_e32 v11, s23, v11
	v_add_co_u32_e64 v12, s[14:15], v8, v12
	v_addc_co_u32_e64 v13, s[14:15], v9, v13, s[14:15]
	global_load_dwordx2 v[12:13], v[12:13], off
	v_cmp_le_u32_e64 s[14:15], s71, v11
	s_or_b64 s[48:49], s[14:15], s[48:49]
	s_waitcnt vmcnt(0)
	ds_write_b64 v10, v[12:13]
	v_add_u32_e32 v10, s63, v10
	s_andn2_b64 exec, exec, s[48:49]
	s_cbranch_execnz .LBB91_25
	s_branch .LBB91_22
.LBB91_26:                              ;   in Loop: Header=BB91_19 Depth=3
	s_or_b64 exec, exec, s[42:43]
	s_waitcnt lgkmcnt(0)
	s_barrier
	s_and_saveexec_b64 s[14:15], vcc
	s_cbranch_execz .LBB91_17
; %bb.27:                               ;   in Loop: Header=BB91_19 Depth=3
	s_mov_b64 s[42:43], 0
	v_mov_b32_e32 v8, v7
	v_mov_b32_e32 v9, v41
	s_branch .LBB91_29
.LBB91_28:                              ;   in Loop: Header=BB91_29 Depth=4
	s_or_b64 exec, exec, s[44:45]
	v_add_u32_e32 v9, s36, v9
	v_cmp_le_u32_e32 vcc, s75, v9
	s_or_b64 s[42:43], vcc, s[42:43]
	v_add_u32_e32 v8, s62, v8
	s_andn2_b64 exec, exec, s[42:43]
	s_cbranch_execz .LBB91_17
.LBB91_29:                              ;   Parent Loop BB91_6 Depth=1
                                        ;     Parent Loop BB91_10 Depth=2
                                        ;       Parent Loop BB91_19 Depth=3
                                        ; =>      This Loop Header: Depth=4
                                        ;           Child Loop BB91_33 Depth 5
                                        ;             Child Loop BB91_35 Depth 6
	s_and_saveexec_b64 s[44:45], s[12:13]
	s_cbranch_execz .LBB91_28
; %bb.30:                               ;   in Loop: Header=BB91_29 Depth=4
	v_add_u32_e32 v10, s74, v9
	v_mad_u64_u32 v[2:3], s[46:47], v10, s58, 0
	v_mov_b32_e32 v12, v42
	v_mov_b32_e32 v0, v3
	v_mad_u64_u32 v[10:11], s[46:47], v10, s57, v[0:1]
	v_mov_b32_e32 v0, s66
	s_mov_b64 s[46:47], 0
	v_mov_b32_e32 v3, v10
	v_lshlrev_b64 v[2:3], 3, v[2:3]
	v_add_co_u32_e32 v10, vcc, s27, v2
	v_addc_co_u32_e32 v11, vcc, v0, v3, vcc
	s_branch .LBB91_33
.LBB91_31:                              ;   in Loop: Header=BB91_33 Depth=5
	v_mov_b32_e32 v2, v3
.LBB91_32:                              ;   in Loop: Header=BB91_33 Depth=5
	v_add_u32_e32 v0, s72, v12
	v_lshlrev_b64 v[13:14], 3, v[0:1]
	v_add_u32_e32 v12, s23, v12
	v_add_co_u32_e32 v13, vcc, v10, v13
	v_addc_co_u32_e32 v14, vcc, v11, v14, vcc
	v_cmp_le_u32_e32 vcc, s71, v12
	s_or_b64 s[46:47], vcc, s[46:47]
	global_store_dwordx2 v[13:14], v[2:3], off
	s_andn2_b64 exec, exec, s[46:47]
	s_cbranch_execz .LBB91_28
.LBB91_33:                              ;   Parent Loop BB91_6 Depth=1
                                        ;     Parent Loop BB91_10 Depth=2
                                        ;       Parent Loop BB91_19 Depth=3
                                        ;         Parent Loop BB91_29 Depth=4
                                        ; =>        This Loop Header: Depth=5
                                        ;             Child Loop BB91_35 Depth 6
	v_mov_b32_e32 v3, 0
	s_andn2_b64 vcc, exec, s[38:39]
	s_cbranch_vccnz .LBB91_31
; %bb.34:                               ;   in Loop: Header=BB91_33 Depth=5
	v_mov_b32_e32 v0, v12
	s_mov_b32 s48, s71
	v_mov_b32_e32 v13, v8
	v_mov_b32_e32 v2, v3
.LBB91_35:                              ;   Parent Loop BB91_6 Depth=1
                                        ;     Parent Loop BB91_10 Depth=2
                                        ;       Parent Loop BB91_19 Depth=3
                                        ;         Parent Loop BB91_29 Depth=4
                                        ;           Parent Loop BB91_33 Depth=5
                                        ; =>          This Inner Loop Header: Depth=6
	v_lshlrev_b64 v[14:15], 3, v[0:1]
	v_mov_b32_e32 v16, s28
	v_add_co_u32_e32 v14, vcc, s70, v14
	v_addc_co_u32_e32 v15, vcc, v16, v15, vcc
	flat_load_dwordx2 v[14:15], v[14:15]
	ds_read_b64 v[16:17], v13
	s_add_i32 s48, s48, -1
	v_add_u32_e32 v13, 8, v13
	v_add_u32_e32 v0, s37, v0
	s_cmp_eq_u32 s48, 0
	s_waitcnt vmcnt(0) lgkmcnt(0)
	v_mul_f32_e32 v18, v15, v17
	v_mul_f32_e32 v15, v15, v16
	v_fmac_f32_e32 v18, v14, v16
	v_fma_f32 v14, v14, v17, -v15
	v_add_f32_e32 v2, v2, v18
	v_add_f32_e32 v3, v3, v14
	s_cbranch_scc0 .LBB91_35
	s_branch .LBB91_32
.LBB91_36:
	s_endpgm
	.section	.rodata,"a",@progbits
	.p2align	6, 0x0
	.amdhsa_kernel _ZN9rocsolver6v33100L17syevj_diag_rotateILb1E19rocblas_complex_numIfEfPS3_EEvbiiT2_iilPT0_Pii
		.amdhsa_group_segment_fixed_size 0
		.amdhsa_private_segment_fixed_size 64
		.amdhsa_kernarg_size 320
		.amdhsa_user_sgpr_count 8
		.amdhsa_user_sgpr_private_segment_buffer 1
		.amdhsa_user_sgpr_dispatch_ptr 0
		.amdhsa_user_sgpr_queue_ptr 0
		.amdhsa_user_sgpr_kernarg_segment_ptr 1
		.amdhsa_user_sgpr_dispatch_id 0
		.amdhsa_user_sgpr_flat_scratch_init 1
		.amdhsa_user_sgpr_private_segment_size 0
		.amdhsa_uses_dynamic_stack 0
		.amdhsa_system_sgpr_private_segment_wavefront_offset 1
		.amdhsa_system_sgpr_workgroup_id_x 1
		.amdhsa_system_sgpr_workgroup_id_y 1
		.amdhsa_system_sgpr_workgroup_id_z 1
		.amdhsa_system_sgpr_workgroup_info 0
		.amdhsa_system_vgpr_workitem_id 1
		.amdhsa_next_free_vgpr 43
		.amdhsa_next_free_sgpr 76
		.amdhsa_reserve_vcc 1
		.amdhsa_reserve_flat_scratch 1
		.amdhsa_float_round_mode_32 0
		.amdhsa_float_round_mode_16_64 0
		.amdhsa_float_denorm_mode_32 3
		.amdhsa_float_denorm_mode_16_64 3
		.amdhsa_dx10_clamp 1
		.amdhsa_ieee_mode 1
		.amdhsa_fp16_overflow 0
		.amdhsa_exception_fp_ieee_invalid_op 0
		.amdhsa_exception_fp_denorm_src 0
		.amdhsa_exception_fp_ieee_div_zero 0
		.amdhsa_exception_fp_ieee_overflow 0
		.amdhsa_exception_fp_ieee_underflow 0
		.amdhsa_exception_fp_ieee_inexact 0
		.amdhsa_exception_int_div_zero 0
	.end_amdhsa_kernel
	.section	.text._ZN9rocsolver6v33100L17syevj_diag_rotateILb1E19rocblas_complex_numIfEfPS3_EEvbiiT2_iilPT0_Pii,"axG",@progbits,_ZN9rocsolver6v33100L17syevj_diag_rotateILb1E19rocblas_complex_numIfEfPS3_EEvbiiT2_iilPT0_Pii,comdat
.Lfunc_end91:
	.size	_ZN9rocsolver6v33100L17syevj_diag_rotateILb1E19rocblas_complex_numIfEfPS3_EEvbiiT2_iilPT0_Pii, .Lfunc_end91-_ZN9rocsolver6v33100L17syevj_diag_rotateILb1E19rocblas_complex_numIfEfPS3_EEvbiiT2_iilPT0_Pii
                                        ; -- End function
	.set _ZN9rocsolver6v33100L17syevj_diag_rotateILb1E19rocblas_complex_numIfEfPS3_EEvbiiT2_iilPT0_Pii.num_vgpr, max(43, .L__assert_fail.num_vgpr)
	.set _ZN9rocsolver6v33100L17syevj_diag_rotateILb1E19rocblas_complex_numIfEfPS3_EEvbiiT2_iilPT0_Pii.num_agpr, max(0, .L__assert_fail.num_agpr)
	.set _ZN9rocsolver6v33100L17syevj_diag_rotateILb1E19rocblas_complex_numIfEfPS3_EEvbiiT2_iilPT0_Pii.numbered_sgpr, max(76, .L__assert_fail.numbered_sgpr)
	.set _ZN9rocsolver6v33100L17syevj_diag_rotateILb1E19rocblas_complex_numIfEfPS3_EEvbiiT2_iilPT0_Pii.num_named_barrier, max(0, .L__assert_fail.num_named_barrier)
	.set _ZN9rocsolver6v33100L17syevj_diag_rotateILb1E19rocblas_complex_numIfEfPS3_EEvbiiT2_iilPT0_Pii.private_seg_size, 0+max(.L__assert_fail.private_seg_size)
	.set _ZN9rocsolver6v33100L17syevj_diag_rotateILb1E19rocblas_complex_numIfEfPS3_EEvbiiT2_iilPT0_Pii.uses_vcc, or(1, .L__assert_fail.uses_vcc)
	.set _ZN9rocsolver6v33100L17syevj_diag_rotateILb1E19rocblas_complex_numIfEfPS3_EEvbiiT2_iilPT0_Pii.uses_flat_scratch, or(1, .L__assert_fail.uses_flat_scratch)
	.set _ZN9rocsolver6v33100L17syevj_diag_rotateILb1E19rocblas_complex_numIfEfPS3_EEvbiiT2_iilPT0_Pii.has_dyn_sized_stack, or(0, .L__assert_fail.has_dyn_sized_stack)
	.set _ZN9rocsolver6v33100L17syevj_diag_rotateILb1E19rocblas_complex_numIfEfPS3_EEvbiiT2_iilPT0_Pii.has_recursion, or(0, .L__assert_fail.has_recursion)
	.set _ZN9rocsolver6v33100L17syevj_diag_rotateILb1E19rocblas_complex_numIfEfPS3_EEvbiiT2_iilPT0_Pii.has_indirect_call, or(0, .L__assert_fail.has_indirect_call)
	.section	.AMDGPU.csdata,"",@progbits
; Kernel info:
; codeLenInByte = 1432
; TotalNumSgprs: 82
; NumVgprs: 43
; ScratchSize: 64
; MemoryBound: 0
; FloatMode: 240
; IeeeMode: 1
; LDSByteSize: 0 bytes/workgroup (compile time only)
; SGPRBlocks: 10
; VGPRBlocks: 10
; NumSGPRsForWavesPerEU: 82
; NumVGPRsForWavesPerEU: 43
; Occupancy: 5
; WaveLimiterHint : 1
; COMPUTE_PGM_RSRC2:SCRATCH_EN: 1
; COMPUTE_PGM_RSRC2:USER_SGPR: 8
; COMPUTE_PGM_RSRC2:TRAP_HANDLER: 0
; COMPUTE_PGM_RSRC2:TGID_X_EN: 1
; COMPUTE_PGM_RSRC2:TGID_Y_EN: 1
; COMPUTE_PGM_RSRC2:TGID_Z_EN: 1
; COMPUTE_PGM_RSRC2:TIDIG_COMP_CNT: 1
	.section	.text._ZN9rocsolver6v33100L21syevj_offd_kernel_orgI19rocblas_complex_numIfEfPS3_EEviiT1_iilT0_PT_PiS9_S9_,"axG",@progbits,_ZN9rocsolver6v33100L21syevj_offd_kernel_orgI19rocblas_complex_numIfEfPS3_EEviiT1_iilT0_PT_PiS9_S9_,comdat
	.globl	_ZN9rocsolver6v33100L21syevj_offd_kernel_orgI19rocblas_complex_numIfEfPS3_EEviiT1_iilT0_PT_PiS9_S9_ ; -- Begin function _ZN9rocsolver6v33100L21syevj_offd_kernel_orgI19rocblas_complex_numIfEfPS3_EEviiT1_iilT0_PT_PiS9_S9_
	.p2align	8
	.type	_ZN9rocsolver6v33100L21syevj_offd_kernel_orgI19rocblas_complex_numIfEfPS3_EEviiT1_iilT0_PT_PiS9_S9_,@function
_ZN9rocsolver6v33100L21syevj_offd_kernel_orgI19rocblas_complex_numIfEfPS3_EEviiT1_iilT0_PT_PiS9_S9_: ; @_ZN9rocsolver6v33100L21syevj_offd_kernel_orgI19rocblas_complex_numIfEfPS3_EEviiT1_iilT0_PT_PiS9_S9_
; %bb.0:
	s_load_dwordx8 s[8:15], s[4:5], 0x28
	s_mov_b32 s0, s7
	s_ashr_i32 s1, s7, 31
	s_lshl_b64 s[2:3], s[0:1], 2
	s_mov_b32 s7, 0
	s_waitcnt lgkmcnt(0)
	s_add_u32 s2, s14, s2
	s_addc_u32 s3, s15, s3
	s_load_dword s2, s[2:3], 0x4
	s_waitcnt lgkmcnt(0)
	s_cmp_lg_u32 s2, 0
	s_cbranch_scc1 .LBB92_49
; %bb.1:
	s_lshl_b64 s[2:3], s[6:7], 2
	s_add_u32 s10, s10, s2
	s_addc_u32 s11, s11, s3
	s_add_u32 s2, s12, s2
	s_load_dword s7, s[10:11], 0x0
	s_addc_u32 s3, s13, s3
	s_load_dword s10, s[2:3], 0x0
	s_load_dwordx2 s[12:13], s[4:5], 0x0
	s_waitcnt lgkmcnt(0)
	s_max_i32 s34, s7, s10
	s_cmp_ge_i32 s34, s12
	s_cbranch_scc1 .LBB92_49
; %bb.2:
	s_load_dword s11, s[4:5], 0x54
	s_add_u32 s2, s4, 0x48
	s_addc_u32 s3, s5, 0
	s_min_i32 s7, s7, s10
	s_waitcnt lgkmcnt(0)
	s_and_b32 s12, s11, 0xffff
	s_mul_i32 s7, s7, s12
	v_add_u32_e32 v23, s7, v1
	v_cmp_gt_i32_e32 vcc, s13, v23
	s_and_saveexec_b64 s[10:11], vcc
	s_cbranch_execz .LBB92_49
; %bb.3:
	s_cmp_eq_u64 s[8:9], 0
	s_mov_b64 s[14:15], 0
	s_cbranch_scc1 .LBB92_5
; %bb.4:
	s_load_dword s2, s[2:3], 0x0
	s_waitcnt lgkmcnt(0)
	s_mul_i32 s2, s2, s0
	s_add_i32 s2, s2, s6
	s_mul_i32 s2, s2, s12
	s_mul_i32 s2, s2, s12
	s_lshl_b32 s2, s2, 2
	s_ashr_i32 s3, s2, 31
	s_lshl_b64 s[2:3], s[2:3], 3
	s_add_u32 s14, s8, s2
	s_addc_u32 s15, s9, s3
.LBB92_5:
	s_lshl_b32 s6, s12, 1
	v_add_u32_e32 v19, s12, v1
	s_cmp_lg_u64 s[14:15], 0
	v_mul_u32_u24_e32 v24, s6, v1
	s_cselect_b64 s[16:17], -1, 0
	s_cmp_eq_u64 s[14:15], 0
	v_add_lshl_u32 v17, v24, v0, 3
	v_mad_u32_u24 v2, v19, s6, v0
	s_cbranch_scc1 .LBB92_7
; %bb.6:
	v_mov_b32_e32 v5, 0
	v_mov_b32_e32 v3, v5
	s_mov_b32 s2, 0
	v_lshlrev_b64 v[6:7], 3, v[2:3]
	v_cmp_eq_u32_e32 vcc, v0, v1
	s_mov_b32 s3, s2
	v_cndmask_b32_e64 v4, 0, 1.0, vcc
	v_mov_b32_e32 v3, s15
	v_add_co_u32_e32 v6, vcc, s14, v6
	v_mov_b32_e32 v9, s3
	v_add_u32_e32 v10, s12, v0
	v_addc_co_u32_e32 v7, vcc, v3, v7, vcc
	v_mov_b32_e32 v8, s2
	global_store_dwordx2 v17, v[4:5], s[14:15]
	global_store_dwordx2 v[6:7], v[8:9], off
	v_add_lshl_u32 v6, v24, v10, 3
	global_store_dwordx2 v6, v[8:9], s[14:15]
	v_mad_u32_u24 v6, v19, s6, v10
	v_mov_b32_e32 v7, v5
	v_lshlrev_b64 v[6:7], 3, v[6:7]
	v_add_co_u32_e32 v6, vcc, s14, v6
	v_addc_co_u32_e32 v7, vcc, v3, v7, vcc
	global_store_dwordx2 v[6:7], v[4:5], off
.LBB92_7:
	s_cmp_eq_u32 s12, 0
	s_mov_b32 s18, 0
	s_cbranch_scc1 .LBB92_49
; %bb.8:
	s_load_dwordx4 s[8:11], s[4:5], 0x8
	s_load_dwordx2 s[2:3], s[4:5], 0x18
	s_lshl_b32 s19, s12, 2
	v_add_u32_e32 v4, s7, v0
	s_add_i32 s19, s19, 0
	s_waitcnt lgkmcnt(0)
	s_ashr_i32 s21, s10, 31
	s_mov_b32 s20, s10
	s_mul_i32 s1, s2, s1
	s_mul_hi_u32 s10, s2, s0
	s_add_i32 s1, s10, s1
	s_mul_i32 s3, s3, s0
	s_add_i32 s1, s1, s3
	s_mul_i32 s0, s2, s0
	s_lshl_b64 s[0:1], s[0:1], 3
	v_mul_lo_u32 v25, v4, s11
	s_add_u32 s2, s8, s0
	s_addc_u32 s3, s9, s1
	s_lshl_b64 s[0:1], s[20:21], 3
	s_add_u32 s10, s2, s0
	s_load_dword s2, s[4:5], 0x20
	v_add_u32_e32 v5, v25, v4
	v_ashrrev_i32_e32 v6, 31, v5
	s_mul_i32 s34, s34, s12
	v_lshlrev_b64 v[5:6], 3, v[5:6]
	v_add_u32_e32 v7, v25, v23
	s_addc_u32 s33, s3, s1
	v_add_u32_e32 v26, s34, v1
	v_ashrrev_i32_e32 v8, 31, v7
	v_mov_b32_e32 v18, 0x800000
	v_mov_b32_e32 v3, s33
	v_add_co_u32_e32 v5, vcc, s10, v5
	v_lshlrev_b64 v[7:8], 3, v[7:8]
	v_add_u32_e32 v9, v25, v26
	s_waitcnt lgkmcnt(0)
	v_div_scale_f32 v15, s[0:1], s2, s2, v18
	v_addc_co_u32_e32 v6, vcc, v3, v6, vcc
	v_ashrrev_i32_e32 v10, 31, v9
	v_add_co_u32_e32 v7, vcc, s10, v7
	v_lshlrev_b64 v[9:10], 3, v[9:10]
	v_addc_co_u32_e32 v8, vcc, v3, v8, vcc
	v_add_co_u32_e32 v9, vcc, s10, v9
	v_addc_co_u32_e32 v10, vcc, v3, v10, vcc
	s_mov_b32 s0, 0x800000
	v_mov_b32_e32 v3, s2
	v_div_scale_f32 v3, vcc, s0, v3, s0
	v_rcp_f32_e32 v16, v15
	v_mul_lo_u32 v27, v23, s11
	v_mul_lo_u32 v28, v26, s11
	v_mov_b32_e32 v13, s33
	v_fma_f32 v21, -v15, v16, 1.0
	v_fmac_f32_e32 v16, v21, v16
	v_add_u32_e32 v11, v27, v4
	v_ashrrev_i32_e32 v12, 31, v11
	v_lshlrev_b64 v[11:12], 3, v[11:12]
	v_mov_b32_e32 v20, s33
	v_add_co_u32_e64 v11, s[0:1], s10, v11
	v_addc_co_u32_e64 v12, s[0:1], v13, v12, s[0:1]
	v_mul_f32_e32 v21, v3, v16
	v_fma_f32 v22, -v15, v21, v3
	v_fmac_f32_e32 v21, v22, v16
	v_cvt_f32_u32_e32 v22, s12
	v_add_u32_e32 v13, v28, v4
	v_fma_f32 v3, -v15, v21, v3
	v_ashrrev_i32_e32 v14, 31, v13
	v_rcp_iflag_f32_e32 v15, v22
	v_lshlrev_b64 v[13:14], 3, v[13:14]
	v_div_fmas_f32 v21, v3, v16, v21
	v_add_co_u32_e32 v13, vcc, s10, v13
	v_mul_f32_e32 v15, 0x4f7ffffe, v15
	v_addc_co_u32_e32 v14, vcc, v20, v14, vcc
	v_cvt_u32_f32_e32 v20, v15
	v_mov_b32_e32 v3, 0
	s_sub_i32 s0, 0, s12
	v_lshlrev_b64 v[15:16], 3, v[2:3]
	v_mul_lo_u32 v2, s0, v20
	v_cmp_eq_u32_e64 s[0:1], 0, v1
	v_mov_b32_e32 v22, s15
	v_add_co_u32_e32 v15, vcc, s14, v15
	v_mul_hi_u32 v1, v20, v2
	v_mul_u32_u24_e32 v31, s6, v19
	v_addc_co_u32_e32 v16, vcc, v22, v16, vcc
	v_add_u32_e32 v30, v20, v1
	v_mad_u64_u32 v[19:20], s[6:7], v0, v30, 0
	v_div_fixup_f32 v29, v21, s2, v18
	v_add_co_u32_e32 v17, vcc, s14, v17
	v_cmp_gt_i32_e64 s[2:3], s13, v4
	v_addc_co_u32_e32 v18, vcc, 0, v22, vcc
	v_cmp_gt_i32_e64 s[4:5], s13, v26
	s_and_b64 s[20:21], s[0:1], s[2:3]
	s_mov_b32 s35, 0xf800000
	s_mov_b32 s36, 0x7f800000
	;; [unrolled: 1-line block ×3, first 2 shown]
	v_lshl_add_u32 v32, v0, 2, 0
	v_lshl_add_u32 v33, v0, 3, s19
	v_mov_b32_e32 v34, 0x260
	v_mov_b32_e32 v35, 0x7f800000
	;; [unrolled: 1-line block ×3, first 2 shown]
                                        ; implicit-def: $vgpr41
                                        ; implicit-def: $vgpr38
                                        ; implicit-def: $vgpr39
                                        ; implicit-def: $vgpr22
	s_branch .LBB92_10
.LBB92_9:                               ;   in Loop: Header=BB92_10 Depth=1
	s_or_b64 exec, exec, s[6:7]
	s_add_i32 s37, s37, -1
	v_add_co_u32_e32 v19, vcc, v19, v30
	v_add_u32_e32 v0, 1, v0
	s_cmp_lg_u32 s37, 0
	v_addc_co_u32_e32 v20, vcc, 0, v20, vcc
	s_cbranch_scc0 .LBB92_49
.LBB92_10:                              ; =>This Inner Loop Header: Depth=1
	v_mul_lo_u32 v37, s12, v20
	v_not_b32_e32 v1, v20
	v_mad_u64_u32 v[1:2], s[6:7], s12, v1, v[0:1]
	v_sub_u32_e32 v2, v0, v37
	v_cmp_le_u32_e32 vcc, s12, v2
	v_cndmask_b32_e32 v1, v2, v1, vcc
	v_subrev_u32_e32 v2, s12, v1
	v_cmp_le_u32_e32 vcc, s12, v1
	v_cndmask_b32_e32 v42, v1, v2, vcc
	v_add_u32_e32 v37, s34, v42
	v_mul_lo_u32 v40, v37, s11
	v_cmp_gt_i32_e64 s[6:7], s13, v37
	s_and_b64 s[8:9], s[20:21], s[6:7]
	s_and_saveexec_b64 s[22:23], s[8:9]
	s_cbranch_execz .LBB92_36
; %bb.11:                               ;   in Loop: Header=BB92_10 Depth=1
	v_add_u32_e32 v1, v40, v4
	v_ashrrev_i32_e32 v2, 31, v1
	v_lshlrev_b64 v[1:2], 3, v[1:2]
	v_mov_b32_e32 v21, s33
	v_add_co_u32_e32 v1, vcc, s10, v1
	v_addc_co_u32_e32 v2, vcc, v21, v2, vcc
	global_load_dwordx2 v[1:2], v[1:2], off
                                        ; implicit-def: $vgpr43
	s_waitcnt vmcnt(0)
	v_cmp_gt_f32_e32 vcc, 0, v1
	v_cndmask_b32_e64 v21, v1, -v1, vcc
	v_cmp_gt_f32_e32 vcc, 0, v2
	v_cndmask_b32_e64 v22, v2, -v2, vcc
	v_cmp_ngt_f32_e32 vcc, v21, v22
	s_and_saveexec_b64 s[8:9], vcc
	s_xor_b64 s[24:25], exec, s[8:9]
	s_cbranch_execz .LBB92_15
; %bb.12:                               ;   in Loop: Header=BB92_10 Depth=1
	v_mov_b32_e32 v43, 0
	v_cmp_neq_f32_e32 vcc, 0, v2
	s_and_saveexec_b64 s[26:27], vcc
	s_cbranch_execz .LBB92_14
; %bb.13:                               ;   in Loop: Header=BB92_10 Depth=1
	v_div_scale_f32 v41, s[8:9], v22, v22, v21
	v_div_scale_f32 v43, vcc, v21, v22, v21
	v_rcp_f32_e32 v44, v41
	v_fma_f32 v45, -v41, v44, 1.0
	v_fmac_f32_e32 v44, v45, v44
	v_mul_f32_e32 v45, v43, v44
	v_fma_f32 v46, -v41, v45, v43
	v_fmac_f32_e32 v45, v46, v44
	v_fma_f32 v41, -v41, v45, v43
	v_div_fmas_f32 v41, v41, v44, v45
	v_div_fixup_f32 v21, v41, v22, v21
	v_fma_f32 v21, v21, v21, 1.0
	v_mul_f32_e32 v41, 0x4f800000, v21
	v_cmp_gt_f32_e32 vcc, s35, v21
	v_cndmask_b32_e32 v21, v21, v41, vcc
	v_sqrt_f32_e32 v41, v21
	v_add_u32_e32 v43, -1, v41
	v_add_u32_e32 v44, 1, v41
	v_fma_f32 v45, -v43, v41, v21
	v_fma_f32 v46, -v44, v41, v21
	v_cmp_ge_f32_e64 s[8:9], 0, v45
	v_cndmask_b32_e64 v41, v41, v43, s[8:9]
	v_cmp_lt_f32_e64 s[8:9], 0, v46
	v_cndmask_b32_e64 v41, v41, v44, s[8:9]
	v_mul_f32_e32 v43, 0x37800000, v41
	v_cndmask_b32_e32 v41, v41, v43, vcc
	v_cmp_class_f32_e32 vcc, v21, v34
	v_cndmask_b32_e32 v21, v41, v21, vcc
	v_mul_f32_e32 v43, v22, v21
.LBB92_14:                              ;   in Loop: Header=BB92_10 Depth=1
	s_or_b64 exec, exec, s[26:27]
                                        ; implicit-def: $vgpr21
                                        ; implicit-def: $vgpr22
.LBB92_15:                              ;   in Loop: Header=BB92_10 Depth=1
	s_andn2_saveexec_b64 s[24:25], s[24:25]
	s_cbranch_execz .LBB92_17
; %bb.16:                               ;   in Loop: Header=BB92_10 Depth=1
	v_div_scale_f32 v41, s[8:9], v21, v21, v22
	v_div_scale_f32 v43, vcc, v22, v21, v22
	v_rcp_f32_e32 v44, v41
	v_fma_f32 v45, -v41, v44, 1.0
	v_fmac_f32_e32 v44, v45, v44
	v_mul_f32_e32 v45, v43, v44
	v_fma_f32 v46, -v41, v45, v43
	v_fmac_f32_e32 v45, v46, v44
	v_fma_f32 v41, -v41, v45, v43
	v_div_fmas_f32 v41, v41, v44, v45
	v_div_fixup_f32 v22, v41, v21, v22
	v_fma_f32 v22, v22, v22, 1.0
	v_mul_f32_e32 v41, 0x4f800000, v22
	v_cmp_gt_f32_e32 vcc, s35, v22
	v_cndmask_b32_e32 v22, v22, v41, vcc
	v_sqrt_f32_e32 v41, v22
	v_add_u32_e32 v43, -1, v41
	v_add_u32_e32 v44, 1, v41
	v_fma_f32 v45, -v43, v41, v22
	v_fma_f32 v46, -v44, v41, v22
	v_cmp_ge_f32_e64 s[8:9], 0, v45
	v_cndmask_b32_e64 v41, v41, v43, s[8:9]
	v_cmp_lt_f32_e64 s[8:9], 0, v46
	v_cndmask_b32_e64 v41, v41, v44, s[8:9]
	v_mul_f32_e32 v43, 0x37800000, v41
	v_cndmask_b32_e32 v41, v41, v43, vcc
	v_cmp_class_f32_e32 vcc, v22, v34
	v_cndmask_b32_e32 v22, v41, v22, vcc
	v_mul_f32_e32 v43, v21, v22
.LBB92_17:                              ;   in Loop: Header=BB92_10 Depth=1
	s_or_b64 exec, exec, s[24:25]
	v_mul_f32_e32 v21, v43, v43
	v_mov_b32_e32 v22, 0
	v_cmp_nlt_f32_e32 vcc, v21, v29
	v_mov_b32_e32 v41, 1.0
	v_mov_b32_e32 v21, v22
	s_and_saveexec_b64 s[24:25], vcc
	s_cbranch_execz .LBB92_35
; %bb.18:                               ;   in Loop: Header=BB92_10 Depth=1
	v_add_u32_e32 v21, v40, v37
	v_ashrrev_i32_e32 v22, 31, v21
	v_lshlrev_b64 v[21:22], 3, v[21:22]
	v_mov_b32_e32 v41, s33
	v_add_co_u32_e32 v21, vcc, s10, v21
	v_addc_co_u32_e32 v22, vcc, v41, v22, vcc
	global_load_dword v22, v[21:22], off
	s_nop 0
	global_load_dword v41, v[5:6], off
	v_add_f32_e32 v21, v43, v43
	s_waitcnt vmcnt(0)
	v_sub_f32_e32 v22, v22, v41
	v_max_f32_e64 v41, |v22|, |v21|
	v_cvt_f64_f32_e32 v[44:45], v41
	v_cmp_ngt_f32_e32 vcc, 0, v22
	v_frexp_exp_i32_f64_e32 v44, v[44:45]
	v_sub_u32_e32 v45, 0, v44
	v_ldexp_f32 v46, |v22|, v45
	v_ldexp_f32 v45, |v21|, v45
	v_mul_f32_e32 v45, v45, v45
	v_fmac_f32_e32 v45, v46, v46
	v_sqrt_f32_e32 v46, v45
                                        ; implicit-def: $vgpr45
	s_and_saveexec_b64 s[8:9], vcc
	s_xor_b64 s[8:9], exec, s[8:9]
; %bb.19:                               ;   in Loop: Header=BB92_10 Depth=1
	v_ldexp_f32 v44, v46, v44
	v_cmp_neq_f32_e32 vcc, s36, v41
	v_cndmask_b32_e32 v45, v35, v44, vcc
                                        ; implicit-def: $vgpr46
                                        ; implicit-def: $vgpr44
                                        ; implicit-def: $vgpr41
; %bb.20:                               ;   in Loop: Header=BB92_10 Depth=1
	s_andn2_saveexec_b64 s[8:9], s[8:9]
; %bb.21:                               ;   in Loop: Header=BB92_10 Depth=1
	v_ldexp_f32 v44, -v46, v44
	v_cmp_neq_f32_e32 vcc, s36, v41
	v_cndmask_b32_e32 v45, v36, v44, vcc
; %bb.22:                               ;   in Loop: Header=BB92_10 Depth=1
	s_or_b64 exec, exec, s[8:9]
	v_mov_b32_e32 v44, 0
	v_cmp_neq_f32_e32 vcc, 0, v21
	v_mov_b32_e32 v41, 1.0
	s_and_saveexec_b64 s[26:27], vcc
	s_cbranch_execz .LBB92_30
; %bb.23:                               ;   in Loop: Header=BB92_10 Depth=1
	v_add_f32_e32 v22, v22, v45
	v_mov_b32_e32 v41, 0
	v_cmp_neq_f32_e32 vcc, 0, v22
	v_mov_b32_e32 v44, 1.0
	s_and_saveexec_b64 s[28:29], vcc
	s_cbranch_execz .LBB92_29
; %bb.24:                               ;   in Loop: Header=BB92_10 Depth=1
	v_cmp_ngt_f32_e64 s[8:9], |v21|, |v22|
                                        ; implicit-def: $vgpr41
                                        ; implicit-def: $vgpr44
	s_and_saveexec_b64 s[30:31], s[8:9]
	s_xor_b64 s[30:31], exec, s[30:31]
	s_cbranch_execz .LBB92_26
; %bb.25:                               ;   in Loop: Header=BB92_10 Depth=1
	v_div_scale_f32 v41, s[8:9], v22, v22, -v21
	v_div_scale_f32 v44, vcc, -v21, v22, -v21
	v_rcp_f32_e32 v45, v41
	v_fma_f32 v46, -v41, v45, 1.0
	v_fmac_f32_e32 v45, v46, v45
	v_mul_f32_e32 v46, v44, v45
	v_fma_f32 v47, -v41, v46, v44
	v_fmac_f32_e32 v46, v47, v45
	v_fma_f32 v41, -v41, v46, v44
	v_div_fmas_f32 v41, v41, v45, v46
	v_div_fixup_f32 v21, v41, v22, -v21
	v_fma_f32 v22, v21, v21, 1.0
	v_mul_f32_e32 v41, 0x4f800000, v22
	v_cmp_gt_f32_e32 vcc, s35, v22
	v_cndmask_b32_e32 v22, v22, v41, vcc
	v_sqrt_f32_e32 v41, v22
	v_add_u32_e32 v44, -1, v41
	v_add_u32_e32 v45, 1, v41
	v_fma_f32 v46, -v44, v41, v22
	v_fma_f32 v47, -v45, v41, v22
	v_cmp_ge_f32_e64 s[8:9], 0, v46
	v_cndmask_b32_e64 v41, v41, v44, s[8:9]
	v_cmp_lt_f32_e64 s[8:9], 0, v47
	v_cndmask_b32_e64 v41, v41, v45, s[8:9]
	v_mul_f32_e32 v44, 0x37800000, v41
	v_cndmask_b32_e32 v41, v41, v44, vcc
	v_cmp_class_f32_e32 vcc, v22, v34
	v_cndmask_b32_e32 v22, v41, v22, vcc
	v_div_scale_f32 v41, s[8:9], v22, v22, 1.0
	v_div_scale_f32 v44, vcc, 1.0, v22, 1.0
	v_rcp_f32_e32 v45, v41
	v_fma_f32 v46, -v41, v45, 1.0
	v_fmac_f32_e32 v45, v46, v45
	v_mul_f32_e32 v46, v44, v45
	v_fma_f32 v47, -v41, v46, v44
	v_fmac_f32_e32 v46, v47, v45
	v_fma_f32 v41, -v41, v46, v44
	v_div_fmas_f32 v41, v41, v45, v46
	v_div_fixup_f32 v41, v41, v22, 1.0
	v_mul_f32_e32 v44, v21, v41
                                        ; implicit-def: $vgpr21
                                        ; implicit-def: $vgpr22
.LBB92_26:                              ;   in Loop: Header=BB92_10 Depth=1
	s_andn2_saveexec_b64 s[30:31], s[30:31]
	s_cbranch_execz .LBB92_28
; %bb.27:                               ;   in Loop: Header=BB92_10 Depth=1
	v_div_scale_f32 v41, s[8:9], v21, v21, -v22
	v_div_scale_f32 v44, vcc, -v22, v21, -v22
	v_rcp_f32_e32 v45, v41
	v_fma_f32 v46, -v41, v45, 1.0
	v_fmac_f32_e32 v45, v46, v45
	v_mul_f32_e32 v46, v44, v45
	v_fma_f32 v47, -v41, v46, v44
	v_fmac_f32_e32 v46, v47, v45
	v_fma_f32 v41, -v41, v46, v44
	v_div_fmas_f32 v41, v41, v45, v46
	v_div_fixup_f32 v21, v41, v21, -v22
	v_fma_f32 v22, v21, v21, 1.0
	v_mul_f32_e32 v41, 0x4f800000, v22
	v_cmp_gt_f32_e32 vcc, s35, v22
	v_cndmask_b32_e32 v22, v22, v41, vcc
	v_sqrt_f32_e32 v41, v22
	v_add_u32_e32 v44, -1, v41
	v_add_u32_e32 v45, 1, v41
	v_fma_f32 v46, -v44, v41, v22
	v_fma_f32 v47, -v45, v41, v22
	v_cmp_ge_f32_e64 s[8:9], 0, v46
	v_cndmask_b32_e64 v41, v41, v44, s[8:9]
	v_cmp_lt_f32_e64 s[8:9], 0, v47
	v_cndmask_b32_e64 v41, v41, v45, s[8:9]
	v_mul_f32_e32 v44, 0x37800000, v41
	v_cndmask_b32_e32 v41, v41, v44, vcc
	v_cmp_class_f32_e32 vcc, v22, v34
	v_cndmask_b32_e32 v22, v41, v22, vcc
	v_div_scale_f32 v41, s[8:9], v22, v22, 1.0
	v_div_scale_f32 v44, vcc, 1.0, v22, 1.0
	v_rcp_f32_e32 v45, v41
	v_fma_f32 v46, -v41, v45, 1.0
	v_fmac_f32_e32 v45, v46, v45
	v_mul_f32_e32 v46, v44, v45
	v_fma_f32 v47, -v41, v46, v44
	v_fmac_f32_e32 v46, v47, v45
	v_fma_f32 v41, -v41, v46, v44
	v_div_fmas_f32 v41, v41, v45, v46
	v_div_fixup_f32 v44, v41, v22, 1.0
	v_mul_f32_e32 v41, v21, v44
.LBB92_28:                              ;   in Loop: Header=BB92_10 Depth=1
	s_or_b64 exec, exec, s[30:31]
.LBB92_29:                              ;   in Loop: Header=BB92_10 Depth=1
	s_or_b64 exec, exec, s[28:29]
.LBB92_30:                              ;   in Loop: Header=BB92_10 Depth=1
	s_or_b64 exec, exec, s[26:27]
	v_mul_f32_e32 v1, v1, v44
	v_mul_f32_e32 v2, v2, v44
	v_cmp_lg_f32_e32 vcc, 0, v43
                                        ; implicit-def: $vgpr22
	s_and_saveexec_b64 s[8:9], vcc
	s_xor_b64 s[8:9], exec, s[8:9]
	s_cbranch_execz .LBB92_32
; %bb.31:                               ;   in Loop: Header=BB92_10 Depth=1
	v_div_scale_f32 v21, s[26:27], v43, v43, 0
	v_div_scale_f32 v22, vcc, 0, v43, 0
	v_rcp_f32_e32 v44, v21
	v_fma_f32 v45, -v21, v44, 1.0
	v_fmac_f32_e32 v44, v45, v44
	v_mul_f32_e32 v45, v22, v44
	v_fma_f32 v46, -v21, v45, v22
	v_fmac_f32_e32 v45, v46, v44
	v_fma_f32 v21, -v21, v45, v22
	v_div_fmas_f32 v21, v21, v44, v45
	v_div_fixup_f32 v21, v21, v43, 0
	v_fmac_f32_e32 v43, 0, v21
	v_div_scale_f32 v22, s[26:27], v43, v43, 1.0
	v_div_scale_f32 v44, vcc, 1.0, v43, 1.0
	v_rcp_f32_e32 v45, v22
	v_fma_f32 v46, -v22, v45, 1.0
	v_fmac_f32_e32 v45, v46, v45
	v_mul_f32_e32 v46, v44, v45
	v_fma_f32 v47, -v22, v46, v44
	v_fmac_f32_e32 v46, v47, v45
	v_fma_f32 v22, -v22, v46, v44
	v_div_fmas_f32 v22, v22, v45, v46
	v_fma_f32 v44, v21, v2, v1
	v_fma_f32 v1, -v21, v1, v2
	v_div_fixup_f32 v2, v22, v43, 1.0
	v_mul_f32_e32 v21, v2, v44
	v_mul_f32_e32 v22, v2, v1
                                        ; implicit-def: $vgpr43
                                        ; implicit-def: $vgpr1
                                        ; implicit-def: $vgpr2
.LBB92_32:                              ;   in Loop: Header=BB92_10 Depth=1
	s_andn2_saveexec_b64 s[8:9], s[8:9]
	s_cbranch_execz .LBB92_34
; %bb.33:                               ;   in Loop: Header=BB92_10 Depth=1
	v_div_scale_f32 v21, s[26:27], 0, 0, v43
	v_div_scale_f32 v22, vcc, v43, 0, v43
	v_rcp_f32_e32 v44, v21
	v_fma_f32 v45, -v21, v44, 1.0
	v_fmac_f32_e32 v44, v45, v44
	v_mul_f32_e32 v45, v22, v44
	v_fma_f32 v46, -v21, v45, v22
	v_fmac_f32_e32 v45, v46, v44
	v_fma_f32 v21, -v21, v45, v22
	v_div_fmas_f32 v21, v21, v44, v45
	v_div_fixup_f32 v21, v21, 0, v43
	v_fma_f32 v22, v43, v21, 0
	v_div_scale_f32 v43, s[26:27], v22, v22, 1.0
	v_div_scale_f32 v44, vcc, 1.0, v22, 1.0
	v_rcp_f32_e32 v45, v43
	v_fma_f32 v46, -v43, v45, 1.0
	v_fmac_f32_e32 v45, v46, v45
	v_mul_f32_e32 v46, v44, v45
	v_fma_f32 v47, -v43, v46, v44
	v_fmac_f32_e32 v46, v47, v45
	v_fma_f32 v43, -v43, v46, v44
	v_div_fmas_f32 v43, v43, v45, v46
	v_fma_f32 v44, v21, v1, v2
	v_fma_f32 v1, v21, v2, -v1
	v_div_fixup_f32 v2, v43, v22, 1.0
	v_mul_f32_e32 v21, v2, v44
	v_mul_f32_e32 v22, v2, v1
.LBB92_34:                              ;   in Loop: Header=BB92_10 Depth=1
	s_or_b64 exec, exec, s[8:9]
.LBB92_35:                              ;   in Loop: Header=BB92_10 Depth=1
	s_or_b64 exec, exec, s[24:25]
	ds_write_b32 v32, v41
	ds_write2_b32 v33, v21, v22 offset1:1
.LBB92_36:                              ;   in Loop: Header=BB92_10 Depth=1
	s_or_b64 exec, exec, s[22:23]
	s_and_b64 s[8:9], s[2:3], s[6:7]
	s_waitcnt vmcnt(0) lgkmcnt(0)
	s_barrier
	s_and_saveexec_b64 s[22:23], s[8:9]
	s_cbranch_execz .LBB92_44
; %bb.37:                               ;   in Loop: Header=BB92_10 Depth=1
	ds_read_b32 v41, v32
	ds_read2_b32 v[21:22], v33 offset1:1
	s_andn2_b64 vcc, exec, s[16:17]
	s_cbranch_vccnz .LBB92_41
; %bb.38:                               ;   in Loop: Header=BB92_10 Depth=1
	v_add_u32_e32 v1, s12, v42
	v_add_u32_e32 v2, v1, v24
	v_lshlrev_b64 v[42:43], 3, v[2:3]
	v_mov_b32_e32 v2, s15
	v_add_co_u32_e32 v42, vcc, s14, v42
	v_addc_co_u32_e32 v43, vcc, v2, v43, vcc
	global_load_dwordx2 v[38:39], v[17:18], off
	global_load_dwordx2 v[44:45], v[42:43], off
	s_waitcnt vmcnt(0) lgkmcnt(0)
	v_mul_f32_e32 v46, v22, v45
	v_mul_f32_e32 v2, v22, v44
	v_fmac_f32_e32 v46, v44, v21
	v_fma_f32 v47, v45, v21, -v2
	v_fmac_f32_e32 v46, v41, v38
	v_fmac_f32_e32 v47, v41, v39
	v_mul_f32_e32 v2, v38, v21
	global_store_dwordx2 v[17:18], v[46:47], off
	v_fma_f32 v46, v22, v39, -v2
	v_mul_f32_e32 v2, v39, v21
	v_fma_f32 v47, v38, -v22, -v2
	v_fmac_f32_e32 v46, v41, v44
	v_fmac_f32_e32 v47, v41, v45
	global_store_dwordx2 v[42:43], v[46:47], off
	s_and_saveexec_b64 s[24:25], s[4:5]
	s_cbranch_execz .LBB92_40
; %bb.39:                               ;   in Loop: Header=BB92_10 Depth=1
	v_add_u32_e32 v2, v1, v31
	v_lshlrev_b64 v[1:2], 3, v[2:3]
	v_mov_b32_e32 v42, s15
	v_add_co_u32_e32 v1, vcc, s14, v1
	v_addc_co_u32_e32 v2, vcc, v42, v2, vcc
	global_load_dwordx2 v[38:39], v[15:16], off
	global_load_dwordx2 v[42:43], v[1:2], off
	s_waitcnt vmcnt(1)
	v_mul_f32_e32 v44, v38, v21
	s_waitcnt vmcnt(0)
	v_mul_f32_e32 v46, v22, v43
	v_mul_f32_e32 v47, v22, v42
	;; [unrolled: 1-line block ×3, first 2 shown]
	v_fmac_f32_e32 v46, v42, v21
	v_fma_f32 v47, v43, v21, -v47
	v_fma_f32 v44, v22, v39, -v44
	v_fma_f32 v45, v38, -v22, -v45
	v_fmac_f32_e32 v46, v41, v38
	v_fmac_f32_e32 v47, v41, v39
	;; [unrolled: 1-line block ×4, first 2 shown]
	global_store_dwordx2 v[15:16], v[46:47], off
	global_store_dwordx2 v[1:2], v[44:45], off
.LBB92_40:                              ;   in Loop: Header=BB92_10 Depth=1
	s_or_b64 exec, exec, s[24:25]
.LBB92_41:                              ;   in Loop: Header=BB92_10 Depth=1
	v_add_u32_e32 v38, v40, v23
	v_ashrrev_i32_e32 v39, 31, v38
	v_lshlrev_b64 v[38:39], 3, v[38:39]
	v_mov_b32_e32 v42, s33
	v_add_co_u32_e32 v38, vcc, s10, v38
	v_addc_co_u32_e32 v39, vcc, v42, v39, vcc
	global_load_dwordx2 v[1:2], v[7:8], off
	global_load_dwordx2 v[42:43], v[38:39], off
	s_waitcnt vmcnt(1) lgkmcnt(0)
	v_mul_f32_e32 v44, v1, v21
	s_waitcnt vmcnt(0)
	v_mul_f32_e32 v46, v22, v43
	v_mul_f32_e32 v47, v22, v42
	;; [unrolled: 1-line block ×3, first 2 shown]
	v_fmac_f32_e32 v46, v42, v21
	v_fma_f32 v47, v43, v21, -v47
	v_fma_f32 v44, v22, v2, -v44
	v_fma_f32 v45, v1, -v22, -v45
	v_fmac_f32_e32 v46, v41, v1
	v_fmac_f32_e32 v47, v41, v2
	;; [unrolled: 1-line block ×4, first 2 shown]
	global_store_dwordx2 v[7:8], v[46:47], off
	global_store_dwordx2 v[38:39], v[44:45], off
	s_and_saveexec_b64 s[24:25], s[4:5]
	s_cbranch_execz .LBB92_43
; %bb.42:                               ;   in Loop: Header=BB92_10 Depth=1
	v_add_u32_e32 v38, v40, v26
	v_ashrrev_i32_e32 v39, 31, v38
	v_lshlrev_b64 v[38:39], 3, v[38:39]
	v_mov_b32_e32 v40, s33
	v_add_co_u32_e32 v38, vcc, s10, v38
	global_load_dwordx2 v[1:2], v[9:10], off
	v_addc_co_u32_e32 v39, vcc, v40, v39, vcc
	global_load_dwordx2 v[42:43], v[38:39], off
	s_waitcnt vmcnt(1)
	v_mul_f32_e32 v40, v1, v21
	v_fma_f32 v44, v22, v2, -v40
	v_mul_f32_e32 v45, v2, v21
	s_waitcnt vmcnt(0)
	v_mul_f32_e32 v46, v22, v43
	v_mul_f32_e32 v40, v22, v42
	v_fmac_f32_e32 v46, v42, v21
	v_fma_f32 v47, v43, v21, -v40
	v_fma_f32 v45, v1, -v22, -v45
	v_fmac_f32_e32 v46, v41, v1
	v_fmac_f32_e32 v47, v41, v2
	;; [unrolled: 1-line block ×4, first 2 shown]
	global_store_dwordx2 v[9:10], v[46:47], off
	global_store_dwordx2 v[38:39], v[44:45], off
.LBB92_43:                              ;   in Loop: Header=BB92_10 Depth=1
	s_or_b64 exec, exec, s[24:25]
	v_xor_b32_e32 v38, 0x80000000, v22
	v_mov_b32_e32 v39, v21
.LBB92_44:                              ;   in Loop: Header=BB92_10 Depth=1
	s_or_b64 exec, exec, s[22:23]
	s_waitcnt vmcnt(0)
	s_barrier
	s_and_saveexec_b64 s[22:23], s[8:9]
	s_cbranch_execz .LBB92_47
; %bb.45:                               ;   in Loop: Header=BB92_10 Depth=1
	v_add_u32_e32 v42, v37, v27
	v_ashrrev_i32_e32 v43, 31, v42
	v_lshlrev_b64 v[42:43], 3, v[42:43]
	v_mov_b32_e32 v40, s33
	v_add_co_u32_e32 v42, vcc, s10, v42
	v_addc_co_u32_e32 v43, vcc, v40, v43, vcc
	global_load_dwordx2 v[1:2], v[11:12], off
	global_load_dwordx2 v[44:45], v[42:43], off
	s_waitcnt vmcnt(0)
	v_mul_f32_e32 v40, v22, v45
	v_mul_f32_e32 v47, v21, v45
	v_fma_f32 v46, v21, v44, -v40
	v_fmac_f32_e32 v47, v22, v44
	v_fmac_f32_e32 v46, v41, v1
	;; [unrolled: 1-line block ×3, first 2 shown]
	v_mul_f32_e32 v40, v39, v1
	global_store_dwordx2 v[11:12], v[46:47], off
	v_fma_f32 v46, v38, v2, -v40
	v_mul_f32_e32 v2, v39, v2
	v_fma_f32 v47, v1, -v38, -v2
	v_fmac_f32_e32 v46, v41, v44
	v_fmac_f32_e32 v47, v41, v45
	global_store_dwordx2 v[42:43], v[46:47], off
	s_and_b64 exec, exec, s[4:5]
	s_cbranch_execz .LBB92_47
; %bb.46:                               ;   in Loop: Header=BB92_10 Depth=1
	v_add_u32_e32 v42, v37, v28
	v_ashrrev_i32_e32 v43, 31, v42
	v_lshlrev_b64 v[42:43], 3, v[42:43]
	v_mov_b32_e32 v40, s33
	v_add_co_u32_e32 v42, vcc, s10, v42
	v_addc_co_u32_e32 v43, vcc, v40, v43, vcc
	global_load_dwordx2 v[1:2], v[13:14], off
	global_load_dwordx2 v[44:45], v[42:43], off
	s_waitcnt vmcnt(0)
	v_mul_f32_e32 v40, v22, v45
	v_mul_f32_e32 v47, v21, v45
	v_fma_f32 v46, v21, v44, -v40
	v_fmac_f32_e32 v47, v22, v44
	v_fmac_f32_e32 v46, v41, v1
	;; [unrolled: 1-line block ×3, first 2 shown]
	v_mul_f32_e32 v40, v39, v1
	global_store_dwordx2 v[13:14], v[46:47], off
	v_fma_f32 v46, v38, v2, -v40
	v_mul_f32_e32 v2, v39, v2
	v_fma_f32 v47, v1, -v38, -v2
	v_fmac_f32_e32 v46, v41, v44
	v_fmac_f32_e32 v47, v41, v45
	global_store_dwordx2 v[42:43], v[46:47], off
.LBB92_47:                              ;   in Loop: Header=BB92_10 Depth=1
	s_or_b64 exec, exec, s[22:23]
	s_and_b64 s[8:9], s[0:1], s[6:7]
	s_waitcnt vmcnt(0)
	s_barrier
	s_and_saveexec_b64 s[6:7], s[8:9]
	s_cbranch_execz .LBB92_9
; %bb.48:                               ;   in Loop: Header=BB92_10 Depth=1
	v_mad_u64_u32 v[1:2], s[8:9], v37, s11, v[4:5]
	s_mov_b32 s19, s18
	v_mov_b32_e32 v40, s33
	v_ashrrev_i32_e32 v2, 31, v1
	v_lshlrev_b64 v[1:2], 3, v[1:2]
	v_mov_b32_e32 v43, s19
	v_add_co_u32_e32 v1, vcc, s10, v1
	v_addc_co_u32_e32 v2, vcc, v40, v2, vcc
	v_mov_b32_e32 v42, s18
	global_store_dwordx2 v[1:2], v[42:43], off
	v_add_u32_e32 v1, v37, v25
	v_ashrrev_i32_e32 v2, 31, v1
	v_lshlrev_b64 v[1:2], 3, v[1:2]
	v_add_co_u32_e32 v1, vcc, s10, v1
	v_addc_co_u32_e32 v2, vcc, v40, v2, vcc
	global_store_dwordx2 v[1:2], v[42:43], off
	s_branch .LBB92_9
.LBB92_49:
	s_endpgm
	.section	.rodata,"a",@progbits
	.p2align	6, 0x0
	.amdhsa_kernel _ZN9rocsolver6v33100L21syevj_offd_kernel_orgI19rocblas_complex_numIfEfPS3_EEviiT1_iilT0_PT_PiS9_S9_
		.amdhsa_group_segment_fixed_size 0
		.amdhsa_private_segment_fixed_size 0
		.amdhsa_kernarg_size 328
		.amdhsa_user_sgpr_count 6
		.amdhsa_user_sgpr_private_segment_buffer 1
		.amdhsa_user_sgpr_dispatch_ptr 0
		.amdhsa_user_sgpr_queue_ptr 0
		.amdhsa_user_sgpr_kernarg_segment_ptr 1
		.amdhsa_user_sgpr_dispatch_id 0
		.amdhsa_user_sgpr_flat_scratch_init 0
		.amdhsa_user_sgpr_private_segment_size 0
		.amdhsa_uses_dynamic_stack 0
		.amdhsa_system_sgpr_private_segment_wavefront_offset 0
		.amdhsa_system_sgpr_workgroup_id_x 1
		.amdhsa_system_sgpr_workgroup_id_y 0
		.amdhsa_system_sgpr_workgroup_id_z 1
		.amdhsa_system_sgpr_workgroup_info 0
		.amdhsa_system_vgpr_workitem_id 1
		.amdhsa_next_free_vgpr 48
		.amdhsa_next_free_sgpr 38
		.amdhsa_reserve_vcc 1
		.amdhsa_reserve_flat_scratch 0
		.amdhsa_float_round_mode_32 0
		.amdhsa_float_round_mode_16_64 0
		.amdhsa_float_denorm_mode_32 3
		.amdhsa_float_denorm_mode_16_64 3
		.amdhsa_dx10_clamp 1
		.amdhsa_ieee_mode 1
		.amdhsa_fp16_overflow 0
		.amdhsa_exception_fp_ieee_invalid_op 0
		.amdhsa_exception_fp_denorm_src 0
		.amdhsa_exception_fp_ieee_div_zero 0
		.amdhsa_exception_fp_ieee_overflow 0
		.amdhsa_exception_fp_ieee_underflow 0
		.amdhsa_exception_fp_ieee_inexact 0
		.amdhsa_exception_int_div_zero 0
	.end_amdhsa_kernel
	.section	.text._ZN9rocsolver6v33100L21syevj_offd_kernel_orgI19rocblas_complex_numIfEfPS3_EEviiT1_iilT0_PT_PiS9_S9_,"axG",@progbits,_ZN9rocsolver6v33100L21syevj_offd_kernel_orgI19rocblas_complex_numIfEfPS3_EEviiT1_iilT0_PT_PiS9_S9_,comdat
.Lfunc_end92:
	.size	_ZN9rocsolver6v33100L21syevj_offd_kernel_orgI19rocblas_complex_numIfEfPS3_EEviiT1_iilT0_PT_PiS9_S9_, .Lfunc_end92-_ZN9rocsolver6v33100L21syevj_offd_kernel_orgI19rocblas_complex_numIfEfPS3_EEviiT1_iilT0_PT_PiS9_S9_
                                        ; -- End function
	.set _ZN9rocsolver6v33100L21syevj_offd_kernel_orgI19rocblas_complex_numIfEfPS3_EEviiT1_iilT0_PT_PiS9_S9_.num_vgpr, 48
	.set _ZN9rocsolver6v33100L21syevj_offd_kernel_orgI19rocblas_complex_numIfEfPS3_EEviiT1_iilT0_PT_PiS9_S9_.num_agpr, 0
	.set _ZN9rocsolver6v33100L21syevj_offd_kernel_orgI19rocblas_complex_numIfEfPS3_EEviiT1_iilT0_PT_PiS9_S9_.numbered_sgpr, 38
	.set _ZN9rocsolver6v33100L21syevj_offd_kernel_orgI19rocblas_complex_numIfEfPS3_EEviiT1_iilT0_PT_PiS9_S9_.num_named_barrier, 0
	.set _ZN9rocsolver6v33100L21syevj_offd_kernel_orgI19rocblas_complex_numIfEfPS3_EEviiT1_iilT0_PT_PiS9_S9_.private_seg_size, 0
	.set _ZN9rocsolver6v33100L21syevj_offd_kernel_orgI19rocblas_complex_numIfEfPS3_EEviiT1_iilT0_PT_PiS9_S9_.uses_vcc, 1
	.set _ZN9rocsolver6v33100L21syevj_offd_kernel_orgI19rocblas_complex_numIfEfPS3_EEviiT1_iilT0_PT_PiS9_S9_.uses_flat_scratch, 0
	.set _ZN9rocsolver6v33100L21syevj_offd_kernel_orgI19rocblas_complex_numIfEfPS3_EEviiT1_iilT0_PT_PiS9_S9_.has_dyn_sized_stack, 0
	.set _ZN9rocsolver6v33100L21syevj_offd_kernel_orgI19rocblas_complex_numIfEfPS3_EEviiT1_iilT0_PT_PiS9_S9_.has_recursion, 0
	.set _ZN9rocsolver6v33100L21syevj_offd_kernel_orgI19rocblas_complex_numIfEfPS3_EEviiT1_iilT0_PT_PiS9_S9_.has_indirect_call, 0
	.section	.AMDGPU.csdata,"",@progbits
; Kernel info:
; codeLenInByte = 3696
; TotalNumSgprs: 42
; NumVgprs: 48
; ScratchSize: 0
; MemoryBound: 0
; FloatMode: 240
; IeeeMode: 1
; LDSByteSize: 0 bytes/workgroup (compile time only)
; SGPRBlocks: 5
; VGPRBlocks: 11
; NumSGPRsForWavesPerEU: 42
; NumVGPRsForWavesPerEU: 48
; Occupancy: 5
; WaveLimiterHint : 0
; COMPUTE_PGM_RSRC2:SCRATCH_EN: 0
; COMPUTE_PGM_RSRC2:USER_SGPR: 6
; COMPUTE_PGM_RSRC2:TRAP_HANDLER: 0
; COMPUTE_PGM_RSRC2:TGID_X_EN: 1
; COMPUTE_PGM_RSRC2:TGID_Y_EN: 0
; COMPUTE_PGM_RSRC2:TGID_Z_EN: 1
; COMPUTE_PGM_RSRC2:TIDIG_COMP_CNT: 1
	.section	.text._ZN9rocsolver6v33100L17syevj_offd_kernelI19rocblas_complex_numIfEfPS3_EEviiT1_iilT0_PT_PiS9_S9_i,"axG",@progbits,_ZN9rocsolver6v33100L17syevj_offd_kernelI19rocblas_complex_numIfEfPS3_EEviiT1_iilT0_PT_PiS9_S9_i,comdat
	.globl	_ZN9rocsolver6v33100L17syevj_offd_kernelI19rocblas_complex_numIfEfPS3_EEviiT1_iilT0_PT_PiS9_S9_i ; -- Begin function _ZN9rocsolver6v33100L17syevj_offd_kernelI19rocblas_complex_numIfEfPS3_EEviiT1_iilT0_PT_PiS9_S9_i
	.p2align	8
	.type	_ZN9rocsolver6v33100L17syevj_offd_kernelI19rocblas_complex_numIfEfPS3_EEviiT1_iilT0_PT_PiS9_S9_i,@function
_ZN9rocsolver6v33100L17syevj_offd_kernelI19rocblas_complex_numIfEfPS3_EEviiT1_iilT0_PT_PiS9_S9_i: ; @_ZN9rocsolver6v33100L17syevj_offd_kernelI19rocblas_complex_numIfEfPS3_EEviiT1_iilT0_PT_PiS9_S9_i
; %bb.0:
	s_mov_b32 s20, s7
	s_load_dwordx2 s[22:23], s[4:5], 0x0
	s_load_dword s7, s[4:5], 0x48
	s_waitcnt lgkmcnt(0)
	s_abs_i32 s0, s22
	v_cvt_f32_u32_e32 v2, s0
	s_cmp_ge_u32 s20, s7
	v_rcp_iflag_f32_e32 v2, v2
	v_mul_f32_e32 v2, 0x4f7ffffe, v2
	v_cvt_u32_f32_e32 v2, v2
	v_readfirstlane_b32 s1, v2
	s_cbranch_scc1 .LBB93_92
; %bb.1:
	s_sub_i32 s8, 0, s0
	s_mov_b64 s[2:3], src_shared_base
	s_mul_i32 s8, s8, s1
	s_add_i32 s2, s23, -1
	s_mul_hi_u32 s8, s1, s8
	s_ashr_i32 s21, s2, 31
	s_abs_i32 s2, s2
	s_add_i32 s1, s1, s8
	s_ashr_i32 s25, s22, 31
	s_mul_hi_u32 s1, s2, s1
	s_xor_b32 s21, s21, s25
	s_mul_i32 s25, s1, s0
	s_sub_i32 s2, s2, s25
	s_add_i32 s25, s1, 1
	s_sub_i32 s28, s2, s0
	s_cmp_ge_u32 s2, s0
	s_cselect_b32 s1, s25, s1
	s_cselect_b32 s2, s28, s2
	s_add_i32 s25, s1, 1
	s_cmp_ge_u32 s2, s0
	s_cselect_b32 s0, s25, s1
	s_xor_b32 s0, s0, s21
	s_sub_i32 s33, s0, s21
	s_add_i32 s0, s33, 1
	s_lshr_b32 s1, s0, 31
	s_add_i32 s1, s0, s1
	s_and_b32 s1, s1, -2
	s_sub_i32 s1, s0, s1
	s_load_dwordx4 s[8:11], s[4:5], 0x8
	s_load_dwordx2 s[26:27], s[4:5], 0x18
	s_load_dword s38, s[4:5], 0x20
	s_load_dwordx8 s[12:19], s[4:5], 0x28
	s_add_i32 s0, s1, s0
	s_lshr_b32 s1, s0, 31
	s_add_i32 s0, s0, s1
	s_lshl_b32 s73, s22, 2
	s_ashr_i32 s63, s0, 1
	s_add_i32 s21, s73, 0
	s_lshl_b32 s0, s22, 3
	v_mov_b32_e32 v4, 0x800000
	s_add_i32 s65, s21, s0
	s_waitcnt lgkmcnt(0)
	v_div_scale_f32 v5, s[0:1], s38, s38, v4
	s_mov_b32 s0, 0x800000
	v_mov_b32_e32 v2, s38
	v_div_scale_f32 v6, vcc, s0, v2, s0
	s_load_dword s62, s[4:5], 0x50
	s_load_dwordx2 s[28:29], s[4:5], 0x58
	s_lshl_b32 s67, s22, 1
	s_mul_hi_i32 s1, s67, s67
	s_mul_i32 s0, s67, s67
	s_mov_b32 s66, s3
	s_waitcnt lgkmcnt(0)
	s_lshr_b32 s64, s29, 16
	s_and_b32 s29, s29, 0xffff
	s_mul_i32 s3, s22, 12
	s_lshl_b64 s[0:1], s[0:1], 3
	s_mul_hi_i32 s2, s22, 12
	s_add_u32 s0, s0, s3
	v_mov_b32_e32 v2, 0x10001
	v_mov_b32_e32 v3, 0
	s_addc_u32 s1, s1, s2
	v_cmp_lt_u64_e64 s[0:1], s[0:1], v[2:3]
	v_rcp_f32_e32 v2, v5
	s_ashr_i32 s3, s10, 31
	s_cmp_lt_u32 s6, s63
	s_mul_i32 s4, s33, s22
	v_fma_f32 v3, -v5, v2, 1.0
	v_fmac_f32_e32 v2, v3, v2
	v_mul_f32_e32 v3, v6, v2
	v_fma_f32 v7, -v5, v3, v6
	v_fmac_f32_e32 v3, v7, v2
	v_fma_f32 v5, -v5, v3, v6
	v_div_fmas_f32 v2, v5, v2, v3
	v_cvt_f32_u32_e32 v3, s22
	s_cselect_b64 s[30:31], -1, 0
	s_sub_i32 s68, s23, s4
	s_cmp_lg_u64 s[12:13], 0
	v_rcp_iflag_f32_e32 v3, v3
	s_mov_b32 s2, s10
	s_cselect_b64 s[34:35], -1, 0
	s_cmp_gt_i32 s22, 0
	v_mul_f32_e32 v3, 0x4f7ffffe, v3
	v_cvt_u32_f32_e32 v3, v3
	s_cselect_b64 s[36:37], -1, 0
	s_ashr_i32 s69, s11, 31
	s_lshl_b64 s[2:3], s[2:3], 3
	s_add_u32 s70, s8, s2
	s_addc_u32 s71, s9, s3
	s_sub_i32 s72, 0, s22
	v_mul_lo_u32 v5, s72, v3
	v_div_fixup_f32 v10, v2, s38, v4
	v_mul_lo_u32 v4, v1, s22
	s_mul_i32 s8, s22, s64
	v_mul_hi_u32 v2, v3, v5
	s_mov_b32 s24, 0
	s_mul_i32 s73, s73, s22
	v_cmp_gt_u32_e64 s[2:3], s22, v1
	v_add_u32_e32 v11, v3, v2
	v_add_u32_e32 v2, s22, v1
	v_mul_lo_u32 v2, s22, v2
	v_cmp_gt_u32_e64 s[4:5], s22, v0
	s_mov_b32 s74, s11
	v_mov_b32_e32 v3, 0
	v_lshlrev_b32_e32 v12, 1, v4
	s_lshl_b32 s75, s8, 1
	v_lshl_add_u32 v13, v0, 2, 0
	s_lshl_b32 s76, s29, 2
	v_lshl_add_u32 v14, v0, 3, s21
	;; [unrolled: 2-line block ×3, first 2 shown]
	s_mov_b32 s78, 0xf800000
	v_mov_b32_e32 v16, 0x260
	s_mov_b32 s79, 0x7f800000
	s_branch .LBB93_3
.LBB93_2:                               ;   in Loop: Header=BB93_3 Depth=1
	s_add_i32 s20, s20, s28
	s_cmp_ge_u32 s20, s7
	s_cbranch_scc1 .LBB93_92
.LBB93_3:                               ; =>This Loop Header: Depth=1
                                        ;     Child Loop BB93_8 Depth 2
                                        ;       Child Loop BB93_16 Depth 3
                                        ;         Child Loop BB93_18 Depth 4
                                        ;       Child Loop BB93_23 Depth 3
                                        ;         Child Loop BB93_26 Depth 4
                                        ;           Child Loop BB93_31 Depth 5
                                        ;         Child Loop BB93_58 Depth 4
                                        ;           Child Loop BB93_61 Depth 5
	;; [unrolled: 2-line block ×4, first 2 shown]
                                        ;       Child Loop BB93_89 Depth 3
                                        ;         Child Loop BB93_91 Depth 4
	s_mov_b32 s21, s24
	s_lshl_b64 s[8:9], s[20:21], 2
	s_add_u32 s8, s18, s8
	s_addc_u32 s9, s19, s9
	global_load_dword v2, v3, s[8:9] offset:4
	s_waitcnt vmcnt(0)
	v_cmp_ne_u32_e32 vcc, 0, v2
	s_cbranch_vccnz .LBB93_2
; %bb.4:                                ;   in Loop: Header=BB93_3 Depth=1
	s_andn2_b64 vcc, exec, s[30:31]
	s_cbranch_vccnz .LBB93_2
; %bb.5:                                ;   in Loop: Header=BB93_3 Depth=1
	s_mul_i32 s8, s27, s20
	s_mul_hi_u32 s9, s26, s20
	s_add_i32 s9, s9, s8
	s_mul_i32 s8, s26, s20
	s_lshl_b64 s[8:9], s[8:9], 3
	s_add_u32 s21, s70, s8
	s_addc_u32 s80, s71, s9
	s_mul_i32 s81, s20, s63
	s_mov_b32 s38, s6
	s_branch .LBB93_8
.LBB93_6:                               ;   in Loop: Header=BB93_8 Depth=2
	s_or_b64 exec, exec, s[10:11]
	s_waitcnt vmcnt(0)
	s_barrier
.LBB93_7:                               ;   in Loop: Header=BB93_8 Depth=2
	s_add_i32 s38, s38, s62
	s_cmp_lt_u32 s38, s63
	s_cbranch_scc0 .LBB93_2
.LBB93_8:                               ;   Parent Loop BB93_3 Depth=1
                                        ; =>  This Loop Header: Depth=2
                                        ;       Child Loop BB93_16 Depth 3
                                        ;         Child Loop BB93_18 Depth 4
                                        ;       Child Loop BB93_23 Depth 3
                                        ;         Child Loop BB93_26 Depth 4
                                        ;           Child Loop BB93_31 Depth 5
                                        ;         Child Loop BB93_58 Depth 4
                                        ;           Child Loop BB93_61 Depth 5
	;; [unrolled: 2-line block ×4, first 2 shown]
                                        ;       Child Loop BB93_89 Depth 3
                                        ;         Child Loop BB93_91 Depth 4
	s_mov_b32 s39, s24
	s_lshl_b64 s[8:9], s[38:39], 2
	s_add_u32 s10, s14, s8
	s_addc_u32 s11, s15, s9
	s_add_u32 s8, s16, s8
	s_addc_u32 s9, s17, s9
	global_load_dword v2, v3, s[10:11]
	global_load_dword v4, v3, s[8:9]
	s_waitcnt vmcnt(1)
	v_readfirstlane_b32 s8, v2
	s_waitcnt vmcnt(0)
	v_readfirstlane_b32 s9, v4
	s_max_i32 s83, s8, s9
	s_cmp_gt_i32 s83, s33
	s_cbranch_scc1 .LBB93_7
; %bb.9:                                ;   in Loop: Header=BB93_8 Depth=2
	s_andn2_b64 vcc, exec, s[34:35]
	s_cbranch_vccnz .LBB93_11
; %bb.10:                               ;   in Loop: Header=BB93_8 Depth=2
	s_add_i32 s8, s38, s81
	s_mul_i32 s8, s73, s8
	s_mov_b32 s9, s24
	s_lshl_b64 s[8:9], s[8:9], 3
	s_add_u32 s40, s12, s8
	s_addc_u32 s41, s13, s9
	s_branch .LBB93_12
.LBB93_11:                              ;   in Loop: Header=BB93_8 Depth=2
	s_mov_b64 s[40:41], 0
.LBB93_12:                              ;   in Loop: Header=BB93_8 Depth=2
	v_min_i32_e32 v4, v4, v2
	v_mov_b32_e32 v2, s22
	v_mov_b32_e32 v5, s68
	v_cmp_eq_u32_e32 vcc, s33, v4
	s_cmp_eq_u32 s83, s33
	v_cndmask_b32_e32 v2, v2, v5, vcc
	s_cselect_b32 s8, s68, s22
	v_add_u32_e32 v17, s8, v2
	s_and_b64 s[8:9], s[0:1], exec
	s_cselect_b32 s39, s66, s41
	s_cselect_b32 s82, s65, s40
	s_cmp_lg_u64 s[40:41], 0
	s_cselect_b64 s[42:43], -1, 0
	s_cmp_eq_u64 s[40:41], 0
	v_cmp_lt_u32_e32 vcc, v1, v17
	s_cbranch_scc1 .LBB93_20
; %bb.13:                               ;   in Loop: Header=BB93_8 Depth=2
	s_barrier
	s_and_saveexec_b64 s[10:11], vcc
	s_cbranch_execz .LBB93_19
; %bb.14:                               ;   in Loop: Header=BB93_8 Depth=2
	v_cmp_lt_u32_e32 vcc, v0, v17
	s_mov_b64 s[44:45], 0
	v_mov_b32_e32 v5, v12
	v_mov_b32_e32 v6, v1
	s_branch .LBB93_16
.LBB93_15:                              ;   in Loop: Header=BB93_16 Depth=3
	s_or_b64 exec, exec, s[46:47]
	v_add_u32_e32 v6, s64, v6
	v_cmp_ge_u32_e64 s[8:9], v6, v17
	s_or_b64 s[44:45], s[8:9], s[44:45]
	v_add_u32_e32 v5, s75, v5
	s_andn2_b64 exec, exec, s[44:45]
	s_cbranch_execz .LBB93_19
.LBB93_16:                              ;   Parent Loop BB93_3 Depth=1
                                        ;     Parent Loop BB93_8 Depth=2
                                        ; =>    This Loop Header: Depth=3
                                        ;         Child Loop BB93_18 Depth 4
	s_and_saveexec_b64 s[46:47], vcc
	s_cbranch_execz .LBB93_15
; %bb.17:                               ;   in Loop: Header=BB93_16 Depth=3
	s_mov_b64 s[48:49], 0
	v_mov_b32_e32 v7, v0
.LBB93_18:                              ;   Parent Loop BB93_3 Depth=1
                                        ;     Parent Loop BB93_8 Depth=2
                                        ;       Parent Loop BB93_16 Depth=3
                                        ; =>      This Inner Loop Header: Depth=4
	v_add_u32_e32 v2, v5, v7
	v_cmp_eq_u32_e64 s[8:9], v6, v7
	v_add_u32_e32 v7, s29, v7
	v_lshlrev_b64 v[18:19], 3, v[2:3]
	v_cndmask_b32_e64 v8, 0, 1.0, s[8:9]
	v_cmp_ge_u32_e64 s[8:9], v7, v17
	v_mov_b32_e32 v20, s39
	s_or_b64 s[48:49], s[8:9], s[48:49]
	v_add_co_u32_e64 v18, s[8:9], s82, v18
	v_mov_b32_e32 v9, v3
	v_addc_co_u32_e64 v19, s[8:9], v20, v19, s[8:9]
	flat_store_dwordx2 v[18:19], v[8:9]
	s_andn2_b64 exec, exec, s[48:49]
	s_cbranch_execnz .LBB93_18
	s_branch .LBB93_15
.LBB93_19:                              ;   in Loop: Header=BB93_8 Depth=2
	s_or_b64 exec, exec, s[10:11]
	s_waitcnt vmcnt(0) lgkmcnt(0)
	s_barrier
.LBB93_20:                              ;   in Loop: Header=BB93_8 Depth=2
	s_andn2_b64 vcc, exec, s[36:37]
	s_cbranch_vccnz .LBB93_85
; %bb.21:                               ;   in Loop: Header=BB93_8 Depth=2
	v_mul_lo_u32 v18, v4, s22
	s_mul_i32 s83, s83, s22
	s_mov_b32 s84, 0
	v_mov_b32_e32 v19, v0
	s_branch .LBB93_23
.LBB93_22:                              ;   in Loop: Header=BB93_23 Depth=3
	s_or_b64 exec, exec, s[10:11]
	s_add_i32 s84, s84, 1
	s_cmp_eq_u32 s84, s22
	v_add_u32_e32 v19, 1, v19
	s_cbranch_scc1 .LBB93_85
.LBB93_23:                              ;   Parent Loop BB93_3 Depth=1
                                        ;     Parent Loop BB93_8 Depth=2
                                        ; =>    This Loop Header: Depth=3
                                        ;         Child Loop BB93_26 Depth 4
                                        ;           Child Loop BB93_31 Depth 5
                                        ;         Child Loop BB93_58 Depth 4
                                        ;           Child Loop BB93_61 Depth 5
	;; [unrolled: 2-line block ×4, first 2 shown]
	s_and_saveexec_b64 s[44:45], s[2:3]
	s_cbranch_execz .LBB93_55
; %bb.24:                               ;   in Loop: Header=BB93_23 Depth=3
	s_mov_b64 s[46:47], 0
	v_mov_b32_e32 v20, v1
	s_branch .LBB93_26
.LBB93_25:                              ;   in Loop: Header=BB93_26 Depth=4
	s_or_b64 exec, exec, s[48:49]
	v_add_u32_e32 v20, s64, v20
	v_cmp_le_u32_e32 vcc, s22, v20
	s_or_b64 s[46:47], vcc, s[46:47]
	s_andn2_b64 exec, exec, s[46:47]
	s_cbranch_execz .LBB93_55
.LBB93_26:                              ;   Parent Loop BB93_3 Depth=1
                                        ;     Parent Loop BB93_8 Depth=2
                                        ;       Parent Loop BB93_23 Depth=3
                                        ; =>      This Loop Header: Depth=4
                                        ;           Child Loop BB93_31 Depth 5
	s_and_saveexec_b64 s[48:49], s[4:5]
	s_cbranch_execz .LBB93_25
; %bb.27:                               ;   in Loop: Header=BB93_26 Depth=4
	v_cmp_eq_u32_e64 s[8:9], 0, v20
	s_mov_b64 s[50:51], 0
	v_mov_b32_e32 v21, v14
	v_mov_b32_e32 v22, v13
	;; [unrolled: 1-line block ×4, first 2 shown]
	s_branch .LBB93_31
.LBB93_28:                              ;   in Loop: Header=BB93_31 Depth=5
	s_or_b64 exec, exec, s[10:11]
.LBB93_29:                              ;   in Loop: Header=BB93_31 Depth=5
	s_or_b64 exec, exec, s[54:55]
	ds_write_b32 v22, v7
	ds_write2_b32 v21, v29, v28 offset1:1
.LBB93_30:                              ;   in Loop: Header=BB93_31 Depth=5
	s_or_b64 exec, exec, s[52:53]
	v_add_u32_e32 v24, s29, v24
	v_cmp_le_u32_e32 vcc, s22, v24
	v_add_u32_e32 v23, s29, v23
	v_add_u32_e32 v22, s76, v22
	s_or_b64 s[50:51], vcc, s[50:51]
	v_add_u32_e32 v21, s77, v21
	s_andn2_b64 exec, exec, s[50:51]
	s_cbranch_execz .LBB93_25
.LBB93_31:                              ;   Parent Loop BB93_3 Depth=1
                                        ;     Parent Loop BB93_8 Depth=2
                                        ;       Parent Loop BB93_23 Depth=3
                                        ;         Parent Loop BB93_26 Depth=4
                                        ; =>        This Inner Loop Header: Depth=5
	v_mul_hi_u32 v4, v11, v23
	v_add_u32_e32 v2, s84, v24
	v_not_b32_e32 v6, v4
	v_mad_u64_u32 v[4:5], s[10:11], s72, v4, v[2:3]
	v_mad_u64_u32 v[5:6], s[10:11], s22, v6, v[2:3]
	v_cmp_le_u32_e32 vcc, s22, v4
	v_add_u32_e32 v2, v18, v24
	v_cndmask_b32_e32 v4, v4, v5, vcc
	v_subrev_u32_e32 v5, s22, v4
	v_cmp_le_u32_e32 vcc, s22, v4
	v_cndmask_b32_e32 v4, v4, v5, vcc
	v_add_u32_e32 v6, s83, v4
	v_cmp_gt_u32_e32 vcc, s23, v2
	s_and_b64 s[10:11], s[8:9], vcc
	v_cmp_gt_u32_e32 vcc, s23, v6
	s_and_b64 s[10:11], s[10:11], vcc
	s_and_saveexec_b64 s[52:53], s[10:11]
	s_cbranch_execz .LBB93_30
; %bb.32:                               ;   in Loop: Header=BB93_31 Depth=5
	v_mad_u64_u32 v[4:5], s[10:11], v6, s74, 0
	v_mov_b32_e32 v25, s80
	v_mad_u64_u32 v[7:8], s[10:11], v6, s69, v[5:6]
	v_lshlrev_b64 v[8:9], 3, v[2:3]
	v_mov_b32_e32 v5, v7
	v_lshlrev_b64 v[4:5], 3, v[4:5]
	v_add_co_u32_e32 v26, vcc, s21, v4
	v_addc_co_u32_e32 v27, vcc, v25, v5, vcc
	v_add_co_u32_e32 v4, vcc, v26, v8
	v_addc_co_u32_e32 v5, vcc, v27, v9, vcc
	global_load_dwordx2 v[4:5], v[4:5], off
                                        ; implicit-def: $vgpr25
	s_waitcnt vmcnt(0)
	v_cmp_gt_f32_e32 vcc, 0, v4
	v_cndmask_b32_e64 v7, v4, -v4, vcc
	v_cmp_gt_f32_e32 vcc, 0, v5
	v_cndmask_b32_e64 v28, v5, -v5, vcc
	v_cmp_ngt_f32_e32 vcc, v7, v28
	s_and_saveexec_b64 s[10:11], vcc
	s_xor_b64 s[54:55], exec, s[10:11]
	s_cbranch_execz .LBB93_36
; %bb.33:                               ;   in Loop: Header=BB93_31 Depth=5
	v_mov_b32_e32 v25, 0
	v_cmp_neq_f32_e32 vcc, 0, v5
	s_and_saveexec_b64 s[56:57], vcc
	s_cbranch_execz .LBB93_35
; %bb.34:                               ;   in Loop: Header=BB93_31 Depth=5
	v_div_scale_f32 v25, s[10:11], v28, v28, v7
	v_div_scale_f32 v29, vcc, v7, v28, v7
	v_rcp_f32_e32 v30, v25
	v_fma_f32 v31, -v25, v30, 1.0
	v_fmac_f32_e32 v30, v31, v30
	v_mul_f32_e32 v31, v29, v30
	v_fma_f32 v32, -v25, v31, v29
	v_fmac_f32_e32 v31, v32, v30
	v_fma_f32 v25, -v25, v31, v29
	v_div_fmas_f32 v25, v25, v30, v31
	v_div_fixup_f32 v7, v25, v28, v7
	v_fma_f32 v7, v7, v7, 1.0
	v_mul_f32_e32 v25, 0x4f800000, v7
	v_cmp_gt_f32_e32 vcc, s78, v7
	v_cndmask_b32_e32 v7, v7, v25, vcc
	v_sqrt_f32_e32 v25, v7
	v_add_u32_e32 v29, -1, v25
	v_add_u32_e32 v30, 1, v25
	v_fma_f32 v31, -v29, v25, v7
	v_fma_f32 v32, -v30, v25, v7
	v_cmp_ge_f32_e64 s[10:11], 0, v31
	v_cndmask_b32_e64 v25, v25, v29, s[10:11]
	v_cmp_lt_f32_e64 s[10:11], 0, v32
	v_cndmask_b32_e64 v25, v25, v30, s[10:11]
	v_mul_f32_e32 v29, 0x37800000, v25
	v_cndmask_b32_e32 v25, v25, v29, vcc
	v_cmp_class_f32_e32 vcc, v7, v16
	v_cndmask_b32_e32 v7, v25, v7, vcc
	v_mul_f32_e32 v25, v28, v7
.LBB93_35:                              ;   in Loop: Header=BB93_31 Depth=5
	s_or_b64 exec, exec, s[56:57]
                                        ; implicit-def: $vgpr7
                                        ; implicit-def: $vgpr28
.LBB93_36:                              ;   in Loop: Header=BB93_31 Depth=5
	s_andn2_saveexec_b64 s[54:55], s[54:55]
	s_cbranch_execz .LBB93_38
; %bb.37:                               ;   in Loop: Header=BB93_31 Depth=5
	v_div_scale_f32 v25, s[10:11], v7, v7, v28
	v_div_scale_f32 v29, vcc, v28, v7, v28
	v_rcp_f32_e32 v30, v25
	v_fma_f32 v31, -v25, v30, 1.0
	v_fmac_f32_e32 v30, v31, v30
	v_mul_f32_e32 v31, v29, v30
	v_fma_f32 v32, -v25, v31, v29
	v_fmac_f32_e32 v31, v32, v30
	v_fma_f32 v25, -v25, v31, v29
	v_div_fmas_f32 v25, v25, v30, v31
	v_div_fixup_f32 v25, v25, v7, v28
	v_fma_f32 v25, v25, v25, 1.0
	v_mul_f32_e32 v28, 0x4f800000, v25
	v_cmp_gt_f32_e32 vcc, s78, v25
	v_cndmask_b32_e32 v25, v25, v28, vcc
	v_sqrt_f32_e32 v28, v25
	v_add_u32_e32 v29, -1, v28
	v_add_u32_e32 v30, 1, v28
	v_fma_f32 v31, -v29, v28, v25
	v_fma_f32 v32, -v30, v28, v25
	v_cmp_ge_f32_e64 s[10:11], 0, v31
	v_cndmask_b32_e64 v28, v28, v29, s[10:11]
	v_cmp_lt_f32_e64 s[10:11], 0, v32
	v_cndmask_b32_e64 v28, v28, v30, s[10:11]
	v_mul_f32_e32 v29, 0x37800000, v28
	v_cndmask_b32_e32 v28, v28, v29, vcc
	v_cmp_class_f32_e32 vcc, v25, v16
	v_cndmask_b32_e32 v25, v28, v25, vcc
	v_mul_f32_e32 v25, v7, v25
.LBB93_38:                              ;   in Loop: Header=BB93_31 Depth=5
	s_or_b64 exec, exec, s[54:55]
	v_mul_f32_e32 v7, v25, v25
	v_cmp_nlt_f32_e32 vcc, v7, v10
	v_mov_b32_e32 v28, 0
	v_mov_b32_e32 v7, 1.0
	v_mov_b32_e32 v29, 0
	s_and_saveexec_b64 s[54:55], vcc
	s_cbranch_execz .LBB93_29
; %bb.39:                               ;   in Loop: Header=BB93_31 Depth=5
	v_mad_u64_u32 v[28:29], s[10:11], v2, s74, 0
	v_mov_b32_e32 v7, v3
	v_lshlrev_b64 v[6:7], 3, v[6:7]
	v_mad_u64_u32 v[29:30], s[10:11], v2, s69, v[29:30]
	v_add_co_u32_e32 v6, vcc, v26, v6
	v_addc_co_u32_e32 v7, vcc, v27, v7, vcc
	v_lshlrev_b64 v[26:27], 3, v[28:29]
	v_mov_b32_e32 v2, s80
	v_add_co_u32_e32 v26, vcc, s21, v26
	v_addc_co_u32_e32 v2, vcc, v2, v27, vcc
	v_add_co_u32_e32 v8, vcc, v26, v8
	v_addc_co_u32_e32 v9, vcc, v2, v9, vcc
	global_load_dword v6, v[6:7], off
	s_nop 0
	global_load_dword v7, v[8:9], off
	v_add_f32_e32 v2, v25, v25
	s_waitcnt vmcnt(0)
	v_sub_f32_e32 v6, v6, v7
	v_max_f32_e64 v7, |v6|, |v2|
	v_cvt_f64_f32_e32 v[8:9], v7
	v_cmp_ngt_f32_e32 vcc, 0, v6
	v_frexp_exp_i32_f64_e32 v8, v[8:9]
	v_sub_u32_e32 v9, 0, v8
	v_ldexp_f32 v26, |v6|, v9
	v_ldexp_f32 v9, |v2|, v9
	v_mul_f32_e32 v9, v9, v9
	v_fmac_f32_e32 v9, v26, v26
	v_sqrt_f32_e32 v26, v9
                                        ; implicit-def: $vgpr9
	s_and_saveexec_b64 s[10:11], vcc
	s_xor_b64 s[10:11], exec, s[10:11]
; %bb.40:                               ;   in Loop: Header=BB93_31 Depth=5
	v_ldexp_f32 v8, v26, v8
	v_mov_b32_e32 v9, 0x7f800000
	v_cmp_neq_f32_e32 vcc, s79, v7
	v_cndmask_b32_e32 v9, v9, v8, vcc
                                        ; implicit-def: $vgpr26
                                        ; implicit-def: $vgpr8
                                        ; implicit-def: $vgpr7
; %bb.41:                               ;   in Loop: Header=BB93_31 Depth=5
	s_andn2_saveexec_b64 s[10:11], s[10:11]
; %bb.42:                               ;   in Loop: Header=BB93_31 Depth=5
	v_ldexp_f32 v8, -v26, v8
	v_mov_b32_e32 v9, 0xff800000
	v_cmp_neq_f32_e32 vcc, s79, v7
	v_cndmask_b32_e32 v9, v9, v8, vcc
; %bb.43:                               ;   in Loop: Header=BB93_31 Depth=5
	s_or_b64 exec, exec, s[10:11]
	v_mov_b32_e32 v8, 0
	v_cmp_neq_f32_e32 vcc, 0, v2
	v_mov_b32_e32 v7, 1.0
	s_and_saveexec_b64 s[56:57], vcc
	s_cbranch_execz .LBB93_51
; %bb.44:                               ;   in Loop: Header=BB93_31 Depth=5
	v_add_f32_e32 v6, v6, v9
	v_mov_b32_e32 v7, 0
	v_cmp_neq_f32_e32 vcc, 0, v6
	v_mov_b32_e32 v8, 1.0
	s_and_saveexec_b64 s[58:59], vcc
	s_cbranch_execz .LBB93_50
; %bb.45:                               ;   in Loop: Header=BB93_31 Depth=5
	v_cmp_ngt_f32_e64 s[10:11], |v2|, |v6|
                                        ; implicit-def: $vgpr7
                                        ; implicit-def: $vgpr8
	s_and_saveexec_b64 s[60:61], s[10:11]
	s_xor_b64 s[60:61], exec, s[60:61]
	s_cbranch_execz .LBB93_47
; %bb.46:                               ;   in Loop: Header=BB93_31 Depth=5
	v_div_scale_f32 v7, s[10:11], v6, v6, -v2
	v_div_scale_f32 v8, vcc, -v2, v6, -v2
	v_rcp_f32_e32 v9, v7
	v_fma_f32 v26, -v7, v9, 1.0
	v_fmac_f32_e32 v9, v26, v9
	v_mul_f32_e32 v26, v8, v9
	v_fma_f32 v27, -v7, v26, v8
	v_fmac_f32_e32 v26, v27, v9
	v_fma_f32 v7, -v7, v26, v8
	v_div_fmas_f32 v7, v7, v9, v26
	v_div_fixup_f32 v2, v7, v6, -v2
	v_fma_f32 v6, v2, v2, 1.0
	v_mul_f32_e32 v7, 0x4f800000, v6
	v_cmp_gt_f32_e32 vcc, s78, v6
	v_cndmask_b32_e32 v6, v6, v7, vcc
	v_sqrt_f32_e32 v7, v6
	v_add_u32_e32 v8, -1, v7
	v_add_u32_e32 v9, 1, v7
	v_fma_f32 v26, -v8, v7, v6
	v_fma_f32 v27, -v9, v7, v6
	v_cmp_ge_f32_e64 s[10:11], 0, v26
	v_cndmask_b32_e64 v7, v7, v8, s[10:11]
	v_cmp_lt_f32_e64 s[10:11], 0, v27
	v_cndmask_b32_e64 v7, v7, v9, s[10:11]
	v_mul_f32_e32 v8, 0x37800000, v7
	v_cndmask_b32_e32 v7, v7, v8, vcc
	v_cmp_class_f32_e32 vcc, v6, v16
	v_cndmask_b32_e32 v6, v7, v6, vcc
	v_div_scale_f32 v7, s[10:11], v6, v6, 1.0
	v_div_scale_f32 v8, vcc, 1.0, v6, 1.0
	v_rcp_f32_e32 v9, v7
	v_fma_f32 v26, -v7, v9, 1.0
	v_fmac_f32_e32 v9, v26, v9
	v_mul_f32_e32 v26, v8, v9
	v_fma_f32 v27, -v7, v26, v8
	v_fmac_f32_e32 v26, v27, v9
	v_fma_f32 v7, -v7, v26, v8
	v_div_fmas_f32 v7, v7, v9, v26
	v_div_fixup_f32 v7, v7, v6, 1.0
	v_mul_f32_e32 v8, v2, v7
                                        ; implicit-def: $vgpr2
                                        ; implicit-def: $vgpr6
.LBB93_47:                              ;   in Loop: Header=BB93_31 Depth=5
	s_andn2_saveexec_b64 s[60:61], s[60:61]
	s_cbranch_execz .LBB93_49
; %bb.48:                               ;   in Loop: Header=BB93_31 Depth=5
	v_div_scale_f32 v7, s[10:11], v2, v2, -v6
	v_div_scale_f32 v8, vcc, -v6, v2, -v6
	v_rcp_f32_e32 v9, v7
	v_fma_f32 v26, -v7, v9, 1.0
	v_fmac_f32_e32 v9, v26, v9
	v_mul_f32_e32 v26, v8, v9
	v_fma_f32 v27, -v7, v26, v8
	v_fmac_f32_e32 v26, v27, v9
	v_fma_f32 v7, -v7, v26, v8
	v_div_fmas_f32 v7, v7, v9, v26
	v_div_fixup_f32 v2, v7, v2, -v6
	v_fma_f32 v6, v2, v2, 1.0
	v_mul_f32_e32 v7, 0x4f800000, v6
	v_cmp_gt_f32_e32 vcc, s78, v6
	v_cndmask_b32_e32 v6, v6, v7, vcc
	v_sqrt_f32_e32 v7, v6
	v_add_u32_e32 v8, -1, v7
	v_add_u32_e32 v9, 1, v7
	v_fma_f32 v26, -v8, v7, v6
	v_fma_f32 v27, -v9, v7, v6
	v_cmp_ge_f32_e64 s[10:11], 0, v26
	v_cndmask_b32_e64 v7, v7, v8, s[10:11]
	v_cmp_lt_f32_e64 s[10:11], 0, v27
	v_cndmask_b32_e64 v7, v7, v9, s[10:11]
	v_mul_f32_e32 v8, 0x37800000, v7
	v_cndmask_b32_e32 v7, v7, v8, vcc
	v_cmp_class_f32_e32 vcc, v6, v16
	v_cndmask_b32_e32 v6, v7, v6, vcc
	v_div_scale_f32 v7, s[10:11], v6, v6, 1.0
	v_div_scale_f32 v8, vcc, 1.0, v6, 1.0
	v_rcp_f32_e32 v9, v7
	v_fma_f32 v26, -v7, v9, 1.0
	v_fmac_f32_e32 v9, v26, v9
	v_mul_f32_e32 v26, v8, v9
	v_fma_f32 v27, -v7, v26, v8
	v_fmac_f32_e32 v26, v27, v9
	v_fma_f32 v7, -v7, v26, v8
	v_div_fmas_f32 v7, v7, v9, v26
	v_div_fixup_f32 v8, v7, v6, 1.0
	v_mul_f32_e32 v7, v2, v8
.LBB93_49:                              ;   in Loop: Header=BB93_31 Depth=5
	s_or_b64 exec, exec, s[60:61]
.LBB93_50:                              ;   in Loop: Header=BB93_31 Depth=5
	s_or_b64 exec, exec, s[58:59]
.LBB93_51:                              ;   in Loop: Header=BB93_31 Depth=5
	s_or_b64 exec, exec, s[56:57]
	v_mul_f32_e32 v2, v4, v8
	v_mul_f32_e32 v4, v5, v8
	v_cmp_lg_f32_e32 vcc, 0, v25
                                        ; implicit-def: $vgpr29
                                        ; implicit-def: $vgpr28
	s_and_saveexec_b64 s[10:11], vcc
	s_xor_b64 s[10:11], exec, s[10:11]
	s_cbranch_execz .LBB93_53
; %bb.52:                               ;   in Loop: Header=BB93_31 Depth=5
	v_div_scale_f32 v5, s[56:57], v25, v25, 0
	v_div_scale_f32 v6, vcc, 0, v25, 0
	v_rcp_f32_e32 v8, v5
	v_fma_f32 v9, -v5, v8, 1.0
	v_fmac_f32_e32 v8, v9, v8
	v_mul_f32_e32 v9, v6, v8
	v_fma_f32 v26, -v5, v9, v6
	v_fmac_f32_e32 v9, v26, v8
	v_fma_f32 v5, -v5, v9, v6
	v_div_fmas_f32 v5, v5, v8, v9
	v_div_fixup_f32 v5, v5, v25, 0
	v_fmac_f32_e32 v25, 0, v5
	v_div_scale_f32 v6, s[56:57], v25, v25, 1.0
	v_div_scale_f32 v8, vcc, 1.0, v25, 1.0
	v_rcp_f32_e32 v9, v6
	v_fma_f32 v26, -v6, v9, 1.0
	v_fmac_f32_e32 v9, v26, v9
	v_mul_f32_e32 v26, v8, v9
	v_fma_f32 v27, -v6, v26, v8
	v_fmac_f32_e32 v26, v27, v9
	v_fma_f32 v6, -v6, v26, v8
	v_div_fmas_f32 v6, v6, v9, v26
	v_fma_f32 v8, v5, v4, v2
	v_fma_f32 v2, -v5, v2, v4
	v_div_fixup_f32 v4, v6, v25, 1.0
	v_mul_f32_e32 v29, v4, v8
	v_mul_f32_e32 v28, v4, v2
                                        ; implicit-def: $vgpr25
                                        ; implicit-def: $vgpr2
                                        ; implicit-def: $vgpr4
.LBB93_53:                              ;   in Loop: Header=BB93_31 Depth=5
	s_andn2_saveexec_b64 s[10:11], s[10:11]
	s_cbranch_execz .LBB93_28
; %bb.54:                               ;   in Loop: Header=BB93_31 Depth=5
	v_div_scale_f32 v5, s[56:57], 0, 0, v25
	v_div_scale_f32 v6, vcc, v25, 0, v25
	v_rcp_f32_e32 v8, v5
	v_fma_f32 v9, -v5, v8, 1.0
	v_fmac_f32_e32 v8, v9, v8
	v_mul_f32_e32 v9, v6, v8
	v_fma_f32 v26, -v5, v9, v6
	v_fmac_f32_e32 v9, v26, v8
	v_fma_f32 v5, -v5, v9, v6
	v_div_fmas_f32 v5, v5, v8, v9
	v_div_fixup_f32 v5, v5, 0, v25
	v_fma_f32 v6, v25, v5, 0
	v_div_scale_f32 v8, s[56:57], v6, v6, 1.0
	v_div_scale_f32 v9, vcc, 1.0, v6, 1.0
	v_rcp_f32_e32 v25, v8
	v_fma_f32 v26, -v8, v25, 1.0
	v_fmac_f32_e32 v25, v26, v25
	v_mul_f32_e32 v26, v9, v25
	v_fma_f32 v27, -v8, v26, v9
	v_fmac_f32_e32 v26, v27, v25
	v_fma_f32 v8, -v8, v26, v9
	v_div_fmas_f32 v8, v8, v25, v26
	v_fma_f32 v9, v5, v2, v4
	v_fma_f32 v2, v5, v4, -v2
	v_div_fixup_f32 v4, v8, v6, 1.0
	v_mul_f32_e32 v29, v4, v9
	v_mul_f32_e32 v28, v4, v2
	s_branch .LBB93_28
.LBB93_55:                              ;   in Loop: Header=BB93_23 Depth=3
	s_or_b64 exec, exec, s[44:45]
	s_waitcnt vmcnt(0) lgkmcnt(0)
	s_barrier
	s_and_saveexec_b64 s[10:11], s[2:3]
	s_cbranch_execz .LBB93_68
; %bb.56:                               ;   in Loop: Header=BB93_23 Depth=3
	s_mov_b64 s[44:45], 0
	v_mov_b32_e32 v20, v15
	v_add_u32_e32 v21, v0, v12
	v_mov_b32_e32 v22, v1
	s_branch .LBB93_58
.LBB93_57:                              ;   in Loop: Header=BB93_58 Depth=4
	s_or_b64 exec, exec, s[46:47]
	v_add_u32_e32 v22, s64, v22
	v_cmp_le_u32_e32 vcc, s22, v22
	v_add_u32_e32 v21, s75, v21
	s_or_b64 s[44:45], vcc, s[44:45]
	v_add_u32_e32 v20, s75, v20
	s_andn2_b64 exec, exec, s[44:45]
	s_cbranch_execz .LBB93_68
.LBB93_58:                              ;   Parent Loop BB93_3 Depth=1
                                        ;     Parent Loop BB93_8 Depth=2
                                        ;       Parent Loop BB93_23 Depth=3
                                        ; =>      This Loop Header: Depth=4
                                        ;           Child Loop BB93_61 Depth 5
	s_and_saveexec_b64 s[46:47], s[4:5]
	s_cbranch_execz .LBB93_57
; %bb.59:                               ;   in Loop: Header=BB93_58 Depth=4
	v_add_u32_e32 v4, s22, v22
	v_mul_lo_u32 v23, v22, s67
	v_mul_lo_u32 v24, v4, s67
	v_add_u32_e32 v2, v22, v18
	v_add_u32_e32 v6, s83, v22
	v_mov_b32_e32 v7, v3
	v_cmp_gt_u32_e64 s[8:9], s23, v6
	v_lshlrev_b64 v[4:5], 3, v[2:3]
	v_lshlrev_b64 v[6:7], 3, v[6:7]
	s_mov_b32 s25, 0
	s_mov_b64 s[48:49], 0
	v_mov_b32_e32 v25, v14
	v_mov_b32_e32 v26, v13
	;; [unrolled: 1-line block ×3, first 2 shown]
	s_branch .LBB93_61
.LBB93_60:                              ;   in Loop: Header=BB93_61 Depth=5
	s_or_b64 exec, exec, s[50:51]
	s_add_i32 s25, s25, s29
	v_add_u32_e32 v2, s25, v0
	v_cmp_le_u32_e32 vcc, s22, v2
	v_add_u32_e32 v27, s29, v27
	v_add_u32_e32 v26, s76, v26
	s_or_b64 s[48:49], vcc, s[48:49]
	v_add_u32_e32 v25, s77, v25
	s_andn2_b64 exec, exec, s[48:49]
	s_cbranch_execz .LBB93_57
.LBB93_61:                              ;   Parent Loop BB93_3 Depth=1
                                        ;     Parent Loop BB93_8 Depth=2
                                        ;       Parent Loop BB93_23 Depth=3
                                        ;         Parent Loop BB93_58 Depth=4
                                        ; =>        This Inner Loop Header: Depth=5
	v_mul_hi_u32 v2, v11, v27
	v_add_u32_e32 v8, v0, v18
	v_add_u32_e32 v9, s25, v0
	;; [unrolled: 1-line block ×3, first 2 shown]
	v_mul_lo_u32 v28, s22, v2
	v_not_b32_e32 v2, v2
	v_mul_lo_u32 v2, s22, v2
	v_sub_u32_e32 v8, s84, v28
	v_add_u32_e32 v8, v9, v8
	v_add3_u32 v2, s84, v2, v9
	v_cmp_le_u32_e32 vcc, s22, v8
	v_cndmask_b32_e32 v2, v8, v2, vcc
	v_subrev_u32_e32 v8, s22, v2
	v_cmp_le_u32_e32 vcc, s22, v2
	v_cndmask_b32_e32 v2, v2, v8, vcc
	v_add_u32_e32 v30, s83, v2
	v_max_u32_e32 v8, v29, v30
	v_cmp_gt_u32_e32 vcc, s23, v8
	s_and_saveexec_b64 s[50:51], vcc
	s_cbranch_execz .LBB93_60
; %bb.62:                               ;   in Loop: Header=BB93_61 Depth=5
	ds_read_b32 v28, v26
	ds_read2_b32 v[8:9], v25 offset1:1
	s_andn2_b64 vcc, exec, s[42:43]
	s_cbranch_vccnz .LBB93_66
; %bb.63:                               ;   in Loop: Header=BB93_61 Depth=5
	v_add_u32_e32 v31, s22, v2
	v_add_u32_e32 v2, s25, v21
	v_lshlrev_b64 v[32:33], 3, v[2:3]
	v_mov_b32_e32 v2, s39
	v_add_co_u32_e32 v32, vcc, s82, v32
	v_addc_co_u32_e32 v33, vcc, v2, v33, vcc
	v_add_u32_e32 v2, v31, v23
	v_lshlrev_b64 v[36:37], 3, v[2:3]
	v_mov_b32_e32 v2, s39
	v_add_co_u32_e32 v36, vcc, s82, v36
	v_addc_co_u32_e32 v37, vcc, v2, v37, vcc
	flat_load_dwordx2 v[34:35], v[32:33]
	flat_load_dwordx2 v[38:39], v[36:37]
	s_waitcnt vmcnt(0) lgkmcnt(0)
	v_mul_f32_e32 v41, v35, v8
	v_mul_f32_e32 v40, v9, v39
	;; [unrolled: 1-line block ×4, first 2 shown]
	v_fma_f32 v43, v34, -v9, -v41
	v_fmac_f32_e32 v40, v38, v8
	v_fma_f32 v41, v39, v8, -v44
	v_fma_f32 v42, v9, v35, -v2
	v_fmac_f32_e32 v40, v28, v34
	v_fmac_f32_e32 v41, v28, v35
	;; [unrolled: 1-line block ×4, first 2 shown]
	flat_store_dwordx2 v[32:33], v[40:41]
	flat_store_dwordx2 v[36:37], v[42:43]
	s_and_saveexec_b64 s[52:53], s[8:9]
	s_cbranch_execz .LBB93_65
; %bb.64:                               ;   in Loop: Header=BB93_61 Depth=5
	v_add_u32_e32 v2, s25, v20
	v_lshlrev_b64 v[32:33], 3, v[2:3]
	v_mov_b32_e32 v2, s39
	v_add_co_u32_e32 v32, vcc, s82, v32
	v_addc_co_u32_e32 v33, vcc, v2, v33, vcc
	v_add_u32_e32 v2, v31, v24
	v_lshlrev_b64 v[36:37], 3, v[2:3]
	v_mov_b32_e32 v2, s39
	v_add_co_u32_e32 v36, vcc, s82, v36
	v_addc_co_u32_e32 v37, vcc, v2, v37, vcc
	flat_load_dwordx2 v[34:35], v[32:33]
	flat_load_dwordx2 v[38:39], v[36:37]
	s_waitcnt vmcnt(0) lgkmcnt(0)
	v_mul_f32_e32 v2, v34, v8
	v_mul_f32_e32 v40, v9, v39
	v_mul_f32_e32 v41, v9, v38
	v_mul_f32_e32 v31, v35, v8
	v_fmac_f32_e32 v40, v38, v8
	v_fma_f32 v41, v39, v8, -v41
	v_fma_f32 v42, v9, v35, -v2
	v_fma_f32 v43, v34, -v9, -v31
	v_fmac_f32_e32 v40, v28, v34
	v_fmac_f32_e32 v41, v28, v35
	;; [unrolled: 1-line block ×4, first 2 shown]
	flat_store_dwordx2 v[32:33], v[40:41]
	flat_store_dwordx2 v[36:37], v[42:43]
.LBB93_65:                              ;   in Loop: Header=BB93_61 Depth=5
	s_or_b64 exec, exec, s[52:53]
.LBB93_66:                              ;   in Loop: Header=BB93_61 Depth=5
	v_mad_u64_u32 v[31:32], s[52:53], v29, s74, 0
	v_mad_u64_u32 v[33:34], s[52:53], v30, s74, 0
	v_mov_b32_e32 v2, v32
	v_mad_u64_u32 v[35:36], s[52:53], v29, s69, v[2:3]
	v_mov_b32_e32 v2, v34
	v_mov_b32_e32 v29, s80
	;; [unrolled: 1-line block ×3, first 2 shown]
	v_mad_u64_u32 v[34:35], s[52:53], v30, s69, v[2:3]
	v_lshlrev_b64 v[31:32], 3, v[31:32]
	v_add_co_u32_e32 v2, vcc, s21, v31
	v_lshlrev_b64 v[30:31], 3, v[33:34]
	v_addc_co_u32_e32 v29, vcc, v29, v32, vcc
	v_mov_b32_e32 v32, s80
	v_add_co_u32_e32 v30, vcc, s21, v30
	v_addc_co_u32_e32 v31, vcc, v32, v31, vcc
	v_add_co_u32_e32 v32, vcc, v30, v4
	v_addc_co_u32_e32 v33, vcc, v31, v5, vcc
	v_add_co_u32_e32 v36, vcc, v2, v4
	global_load_dwordx2 v[34:35], v[32:33], off
	v_addc_co_u32_e32 v37, vcc, v29, v5, vcc
	global_load_dwordx2 v[38:39], v[36:37], off
	s_waitcnt vmcnt(0) lgkmcnt(0)
	v_mul_f32_e32 v40, v9, v35
	v_mul_f32_e32 v41, v9, v34
	v_fmac_f32_e32 v40, v34, v8
	v_mul_f32_e32 v42, v38, v8
	v_mul_f32_e32 v43, v39, v8
	v_fma_f32 v41, v35, v8, -v41
	v_fma_f32 v42, v9, v39, -v42
	v_fma_f32 v43, v38, -v9, -v43
	v_fmac_f32_e32 v40, v28, v38
	v_fmac_f32_e32 v41, v28, v39
	;; [unrolled: 1-line block ×4, first 2 shown]
	global_store_dwordx2 v[36:37], v[40:41], off
	global_store_dwordx2 v[32:33], v[42:43], off
	s_and_b64 exec, exec, s[8:9]
	s_cbranch_execz .LBB93_60
; %bb.67:                               ;   in Loop: Header=BB93_61 Depth=5
	v_add_co_u32_e32 v30, vcc, v30, v6
	v_addc_co_u32_e32 v31, vcc, v31, v7, vcc
	v_add_co_u32_e32 v34, vcc, v2, v6
	global_load_dwordx2 v[32:33], v[30:31], off
	v_addc_co_u32_e32 v35, vcc, v29, v7, vcc
	global_load_dwordx2 v[36:37], v[34:35], off
	s_waitcnt vmcnt(1)
	v_mul_f32_e32 v38, v9, v33
	v_mul_f32_e32 v2, v9, v32
	v_fmac_f32_e32 v38, v32, v8
	s_waitcnt vmcnt(0)
	v_mul_f32_e32 v29, v36, v8
	v_mul_f32_e32 v40, v37, v8
	v_fma_f32 v39, v33, v8, -v2
	v_fma_f32 v8, v9, v37, -v29
	v_fma_f32 v9, v36, -v9, -v40
	v_fmac_f32_e32 v38, v28, v36
	v_fmac_f32_e32 v39, v28, v37
	;; [unrolled: 1-line block ×4, first 2 shown]
	global_store_dwordx2 v[34:35], v[38:39], off
	global_store_dwordx2 v[30:31], v[8:9], off
	s_branch .LBB93_60
.LBB93_68:                              ;   in Loop: Header=BB93_23 Depth=3
	s_or_b64 exec, exec, s[10:11]
	s_waitcnt vmcnt(0)
	s_barrier
	s_and_saveexec_b64 s[10:11], s[2:3]
	s_cbranch_execz .LBB93_77
; %bb.69:                               ;   in Loop: Header=BB93_23 Depth=3
	s_mov_b64 s[44:45], 0
	v_mov_b32_e32 v20, v1
	s_branch .LBB93_71
.LBB93_70:                              ;   in Loop: Header=BB93_71 Depth=4
	s_or_b64 exec, exec, s[46:47]
	v_add_u32_e32 v20, s64, v20
	v_cmp_le_u32_e32 vcc, s22, v20
	s_or_b64 s[44:45], vcc, s[44:45]
	s_andn2_b64 exec, exec, s[44:45]
	s_cbranch_execz .LBB93_77
.LBB93_71:                              ;   Parent Loop BB93_3 Depth=1
                                        ;     Parent Loop BB93_8 Depth=2
                                        ;       Parent Loop BB93_23 Depth=3
                                        ; =>      This Loop Header: Depth=4
                                        ;           Child Loop BB93_74 Depth 5
	s_and_saveexec_b64 s[46:47], s[4:5]
	s_cbranch_execz .LBB93_70
; %bb.72:                               ;   in Loop: Header=BB93_71 Depth=4
	v_add_u32_e32 v6, v20, v18
	v_mad_u64_u32 v[4:5], s[8:9], v6, s74, 0
	v_add_u32_e32 v9, s83, v20
	v_mov_b32_e32 v22, s80
	v_mov_b32_e32 v2, v5
	v_mad_u64_u32 v[5:6], s[8:9], v6, s69, v[2:3]
	v_mad_u64_u32 v[6:7], s[8:9], v9, s74, 0
	v_lshlrev_b64 v[4:5], 3, v[4:5]
	s_mov_b64 s[48:49], 0
	v_mov_b32_e32 v2, v7
	v_mad_u64_u32 v[7:8], s[8:9], v9, s69, v[2:3]
	v_add_co_u32_e32 v21, vcc, s21, v4
	v_addc_co_u32_e32 v22, vcc, v22, v5, vcc
	v_lshlrev_b64 v[4:5], 3, v[6:7]
	v_mov_b32_e32 v2, s80
	v_add_co_u32_e64 v23, s[8:9], s21, v4
	v_cmp_gt_u32_e32 vcc, s23, v9
	v_addc_co_u32_e64 v24, s[8:9], v2, v5, s[8:9]
	v_mov_b32_e32 v25, v14
	v_mov_b32_e32 v26, v13
	;; [unrolled: 1-line block ×4, first 2 shown]
	s_branch .LBB93_74
.LBB93_73:                              ;   in Loop: Header=BB93_74 Depth=5
	s_or_b64 exec, exec, s[50:51]
	v_add_u32_e32 v28, s29, v28
	v_cmp_le_u32_e64 s[8:9], s22, v28
	v_add_u32_e32 v27, s29, v27
	v_add_u32_e32 v26, s76, v26
	s_or_b64 s[48:49], s[8:9], s[48:49]
	v_add_u32_e32 v25, s77, v25
	s_andn2_b64 exec, exec, s[48:49]
	s_cbranch_execz .LBB93_70
.LBB93_74:                              ;   Parent Loop BB93_3 Depth=1
                                        ;     Parent Loop BB93_8 Depth=2
                                        ;       Parent Loop BB93_23 Depth=3
                                        ;         Parent Loop BB93_71 Depth=4
                                        ; =>        This Inner Loop Header: Depth=5
	v_mul_hi_u32 v4, v11, v27
	v_add_u32_e32 v2, s84, v28
	v_not_b32_e32 v6, v4
	v_mad_u64_u32 v[4:5], s[8:9], s72, v4, v[2:3]
	v_mad_u64_u32 v[5:6], s[8:9], s22, v6, v[2:3]
	v_cmp_le_u32_e64 s[8:9], s22, v4
	v_add_u32_e32 v2, v18, v28
	v_cndmask_b32_e64 v4, v4, v5, s[8:9]
	v_subrev_u32_e32 v5, s22, v4
	v_cmp_le_u32_e64 s[8:9], s22, v4
	v_cndmask_b32_e64 v4, v4, v5, s[8:9]
	v_add_u32_e32 v4, s83, v4
	v_max_u32_e32 v5, v2, v4
	v_cmp_gt_u32_e64 s[8:9], s23, v5
	s_and_saveexec_b64 s[50:51], s[8:9]
	s_cbranch_execz .LBB93_73
; %bb.75:                               ;   in Loop: Header=BB93_74 Depth=5
	v_lshlrev_b64 v[6:7], 3, v[2:3]
	v_mov_b32_e32 v5, v3
	v_add_co_u32_e64 v29, s[8:9], v21, v6
	v_lshlrev_b64 v[8:9], 3, v[4:5]
	v_addc_co_u32_e64 v30, s[8:9], v22, v7, s[8:9]
	v_add_co_u32_e64 v33, s[8:9], v21, v8
	v_addc_co_u32_e64 v34, s[8:9], v22, v9, s[8:9]
	global_load_dwordx2 v[31:32], v[29:30], off
	global_load_dwordx2 v[35:36], v[33:34], off
	ds_read2_b32 v[4:5], v25 offset1:1
	ds_read_b32 v2, v26
	s_waitcnt vmcnt(1) lgkmcnt(1)
	v_mul_f32_e32 v37, v32, v5
	s_waitcnt vmcnt(0)
	v_mul_f32_e32 v41, v36, v5
	v_mul_f32_e32 v38, v36, v4
	v_mul_f32_e32 v40, v32, v4
	v_fma_f32 v39, v31, -v4, -v37
	v_fma_f32 v37, v35, v4, -v41
	v_fmac_f32_e32 v38, v35, v5
	v_fma_f32 v40, v31, v5, -v40
	s_waitcnt lgkmcnt(0)
	v_fmac_f32_e32 v37, v2, v31
	v_fmac_f32_e32 v38, v2, v32
	v_fmac_f32_e32 v39, v2, v35
	v_fmac_f32_e32 v40, v2, v36
	global_store_dwordx2 v[29:30], v[37:38], off
	global_store_dwordx2 v[33:34], v[39:40], off
	s_and_b64 exec, exec, vcc
	s_cbranch_execz .LBB93_73
; %bb.76:                               ;   in Loop: Header=BB93_74 Depth=5
	v_add_co_u32_e64 v8, s[8:9], v23, v8
	v_addc_co_u32_e64 v9, s[8:9], v24, v9, s[8:9]
	v_add_co_u32_e64 v6, s[8:9], v23, v6
	global_load_dwordx2 v[29:30], v[8:9], off
	v_addc_co_u32_e64 v7, s[8:9], v24, v7, s[8:9]
	global_load_dwordx2 v[31:32], v[6:7], off
	s_waitcnt vmcnt(1)
	v_mul_f32_e32 v33, v30, v5
	v_mul_f32_e32 v34, v30, v4
	v_fma_f32 v33, v29, v4, -v33
	s_waitcnt vmcnt(0)
	v_mul_f32_e32 v35, v32, v5
	v_mul_f32_e32 v36, v32, v4
	v_fmac_f32_e32 v34, v29, v5
	v_fma_f32 v4, v31, -v4, -v35
	v_fma_f32 v5, v31, v5, -v36
	v_fmac_f32_e32 v33, v2, v31
	v_fmac_f32_e32 v34, v2, v32
	;; [unrolled: 1-line block ×4, first 2 shown]
	global_store_dwordx2 v[6:7], v[33:34], off
	global_store_dwordx2 v[8:9], v[4:5], off
	s_branch .LBB93_73
.LBB93_77:                              ;   in Loop: Header=BB93_23 Depth=3
	s_or_b64 exec, exec, s[10:11]
	s_waitcnt vmcnt(0)
	s_barrier
	s_and_saveexec_b64 s[10:11], s[2:3]
	s_cbranch_execz .LBB93_22
; %bb.78:                               ;   in Loop: Header=BB93_23 Depth=3
	s_mov_b64 s[44:45], 0
	v_mov_b32_e32 v6, v1
	s_branch .LBB93_80
.LBB93_79:                              ;   in Loop: Header=BB93_80 Depth=4
	s_or_b64 exec, exec, s[46:47]
	v_add_u32_e32 v6, s64, v6
	v_cmp_le_u32_e32 vcc, s22, v6
	s_or_b64 s[44:45], vcc, s[44:45]
	s_andn2_b64 exec, exec, s[44:45]
	s_cbranch_execz .LBB93_22
.LBB93_80:                              ;   Parent Loop BB93_3 Depth=1
                                        ;     Parent Loop BB93_8 Depth=2
                                        ;       Parent Loop BB93_23 Depth=3
                                        ; =>      This Loop Header: Depth=4
                                        ;           Child Loop BB93_83 Depth 5
	s_and_saveexec_b64 s[46:47], s[4:5]
	s_cbranch_execz .LBB93_79
; %bb.81:                               ;   in Loop: Header=BB93_80 Depth=4
	v_cmp_eq_u32_e32 vcc, 0, v6
	s_mov_b64 s[48:49], 0
	v_mov_b32_e32 v7, v19
	v_mov_b32_e32 v8, v0
	s_branch .LBB93_83
.LBB93_82:                              ;   in Loop: Header=BB93_83 Depth=5
	s_or_b64 exec, exec, s[50:51]
	v_add_u32_e32 v8, s29, v8
	v_cmp_le_u32_e64 s[8:9], s22, v8
	s_or_b64 s[48:49], s[8:9], s[48:49]
	v_add_u32_e32 v7, s29, v7
	s_andn2_b64 exec, exec, s[48:49]
	s_cbranch_execz .LBB93_79
.LBB93_83:                              ;   Parent Loop BB93_3 Depth=1
                                        ;     Parent Loop BB93_8 Depth=2
                                        ;       Parent Loop BB93_23 Depth=3
                                        ;         Parent Loop BB93_80 Depth=4
                                        ; =>        This Inner Loop Header: Depth=5
	v_mul_hi_u32 v4, v11, v7
	v_add_u32_e32 v2, s84, v8
	v_not_b32_e32 v9, v4
	v_mad_u64_u32 v[4:5], s[8:9], s72, v4, v[2:3]
	v_mad_u64_u32 v[20:21], s[8:9], s22, v9, v[2:3]
	v_cmp_le_u32_e64 s[8:9], s22, v4
	v_cndmask_b32_e64 v2, v4, v20, s[8:9]
	v_subrev_u32_e32 v4, s22, v2
	v_cmp_le_u32_e64 s[8:9], s22, v2
	v_cndmask_b32_e64 v2, v2, v4, s[8:9]
	v_add_u32_e32 v4, s83, v2
	v_cmp_gt_u32_e64 s[8:9], s23, v4
	s_and_b64 s[8:9], vcc, s[8:9]
	s_and_saveexec_b64 s[50:51], s[8:9]
	s_cbranch_execz .LBB93_82
; %bb.84:                               ;   in Loop: Header=BB93_83 Depth=5
	v_mad_u64_u32 v[20:21], s[8:9], v4, s74, 0
	v_mov_b32_e32 v9, s80
	s_mov_b32 s25, s24
	v_mov_b32_e32 v2, v21
	v_mad_u64_u32 v[21:22], s[8:9], v4, s69, v[2:3]
	v_add_u32_e32 v2, v18, v8
	v_mov_b32_e32 v5, v3
	v_lshlrev_b64 v[20:21], 3, v[20:21]
	v_lshlrev_b64 v[4:5], 3, v[4:5]
	v_add_co_u32_e64 v24, s[8:9], s21, v20
	v_addc_co_u32_e64 v9, s[8:9], v9, v21, s[8:9]
	v_mad_u64_u32 v[22:23], s[8:9], v2, s74, 0
	v_lshlrev_b64 v[20:21], 3, v[2:3]
	v_add_co_u32_e64 v20, s[8:9], v24, v20
	v_addc_co_u32_e64 v21, s[8:9], v9, v21, s[8:9]
	v_mov_b32_e32 v9, v23
	v_mad_u64_u32 v[23:24], s[8:9], v2, s69, v[9:10]
	v_mov_b32_e32 v24, s24
	v_mov_b32_e32 v25, s25
	global_store_dwordx2 v[20:21], v[24:25], off
	v_lshlrev_b64 v[20:21], 3, v[22:23]
	v_mov_b32_e32 v2, s80
	v_add_co_u32_e64 v9, s[8:9], s21, v20
	v_addc_co_u32_e64 v2, s[8:9], v2, v21, s[8:9]
	v_add_co_u32_e64 v4, s[8:9], v9, v4
	v_addc_co_u32_e64 v5, s[8:9], v2, v5, s[8:9]
	global_store_dwordx2 v[4:5], v[24:25], off
	s_branch .LBB93_82
.LBB93_85:                              ;   in Loop: Header=BB93_8 Depth=2
	s_and_b64 s[8:9], s[42:43], s[0:1]
	s_and_b64 vcc, exec, s[8:9]
	s_cbranch_vccz .LBB93_7
; %bb.86:                               ;   in Loop: Header=BB93_8 Depth=2
	v_cmp_lt_u32_e32 vcc, v1, v17
	s_waitcnt vmcnt(0)
	s_barrier
	s_and_saveexec_b64 s[10:11], vcc
	s_cbranch_execz .LBB93_6
; %bb.87:                               ;   in Loop: Header=BB93_8 Depth=2
	v_cmp_lt_u32_e32 vcc, v0, v17
	s_mov_b64 s[42:43], 0
	v_mov_b32_e32 v4, v12
	v_mov_b32_e32 v5, v1
	s_branch .LBB93_89
.LBB93_88:                              ;   in Loop: Header=BB93_89 Depth=3
	s_or_b64 exec, exec, s[44:45]
	v_add_u32_e32 v5, s64, v5
	v_cmp_ge_u32_e64 s[8:9], v5, v17
	s_or_b64 s[42:43], s[8:9], s[42:43]
	v_add_u32_e32 v4, s75, v4
	s_andn2_b64 exec, exec, s[42:43]
	s_cbranch_execz .LBB93_6
.LBB93_89:                              ;   Parent Loop BB93_3 Depth=1
                                        ;     Parent Loop BB93_8 Depth=2
                                        ; =>    This Loop Header: Depth=3
                                        ;         Child Loop BB93_91 Depth 4
	s_and_saveexec_b64 s[44:45], vcc
	s_cbranch_execz .LBB93_88
; %bb.90:                               ;   in Loop: Header=BB93_89 Depth=3
	s_mov_b64 s[46:47], 0
	v_mov_b32_e32 v6, v0
.LBB93_91:                              ;   Parent Loop BB93_3 Depth=1
                                        ;     Parent Loop BB93_8 Depth=2
                                        ;       Parent Loop BB93_89 Depth=3
                                        ; =>      This Inner Loop Header: Depth=4
	v_add_u32_e32 v2, v4, v6
	v_lshlrev_b64 v[7:8], 3, v[2:3]
	v_mov_b32_e32 v9, s39
	v_add_co_u32_e64 v18, s[8:9], s82, v7
	v_addc_co_u32_e64 v19, s[8:9], v9, v8, s[8:9]
	flat_load_dwordx2 v[18:19], v[18:19]
	v_add_u32_e32 v6, s29, v6
	v_cmp_ge_u32_e64 s[8:9], v6, v17
	v_mov_b32_e32 v2, s41
	s_or_b64 s[46:47], s[8:9], s[46:47]
	v_add_co_u32_e64 v7, s[8:9], s40, v7
	v_addc_co_u32_e64 v8, s[8:9], v2, v8, s[8:9]
	s_waitcnt vmcnt(0) lgkmcnt(0)
	global_store_dwordx2 v[7:8], v[18:19], off
	s_andn2_b64 exec, exec, s[46:47]
	s_cbranch_execnz .LBB93_91
	s_branch .LBB93_88
.LBB93_92:
	s_endpgm
	.section	.rodata,"a",@progbits
	.p2align	6, 0x0
	.amdhsa_kernel _ZN9rocsolver6v33100L17syevj_offd_kernelI19rocblas_complex_numIfEfPS3_EEviiT1_iilT0_PT_PiS9_S9_i
		.amdhsa_group_segment_fixed_size 0
		.amdhsa_private_segment_fixed_size 0
		.amdhsa_kernarg_size 336
		.amdhsa_user_sgpr_count 6
		.amdhsa_user_sgpr_private_segment_buffer 1
		.amdhsa_user_sgpr_dispatch_ptr 0
		.amdhsa_user_sgpr_queue_ptr 0
		.amdhsa_user_sgpr_kernarg_segment_ptr 1
		.amdhsa_user_sgpr_dispatch_id 0
		.amdhsa_user_sgpr_flat_scratch_init 0
		.amdhsa_user_sgpr_private_segment_size 0
		.amdhsa_uses_dynamic_stack 0
		.amdhsa_system_sgpr_private_segment_wavefront_offset 0
		.amdhsa_system_sgpr_workgroup_id_x 1
		.amdhsa_system_sgpr_workgroup_id_y 0
		.amdhsa_system_sgpr_workgroup_id_z 1
		.amdhsa_system_sgpr_workgroup_info 0
		.amdhsa_system_vgpr_workitem_id 1
		.amdhsa_next_free_vgpr 45
		.amdhsa_next_free_sgpr 85
		.amdhsa_reserve_vcc 1
		.amdhsa_reserve_flat_scratch 0
		.amdhsa_float_round_mode_32 0
		.amdhsa_float_round_mode_16_64 0
		.amdhsa_float_denorm_mode_32 3
		.amdhsa_float_denorm_mode_16_64 3
		.amdhsa_dx10_clamp 1
		.amdhsa_ieee_mode 1
		.amdhsa_fp16_overflow 0
		.amdhsa_exception_fp_ieee_invalid_op 0
		.amdhsa_exception_fp_denorm_src 0
		.amdhsa_exception_fp_ieee_div_zero 0
		.amdhsa_exception_fp_ieee_overflow 0
		.amdhsa_exception_fp_ieee_underflow 0
		.amdhsa_exception_fp_ieee_inexact 0
		.amdhsa_exception_int_div_zero 0
	.end_amdhsa_kernel
	.section	.text._ZN9rocsolver6v33100L17syevj_offd_kernelI19rocblas_complex_numIfEfPS3_EEviiT1_iilT0_PT_PiS9_S9_i,"axG",@progbits,_ZN9rocsolver6v33100L17syevj_offd_kernelI19rocblas_complex_numIfEfPS3_EEviiT1_iilT0_PT_PiS9_S9_i,comdat
.Lfunc_end93:
	.size	_ZN9rocsolver6v33100L17syevj_offd_kernelI19rocblas_complex_numIfEfPS3_EEviiT1_iilT0_PT_PiS9_S9_i, .Lfunc_end93-_ZN9rocsolver6v33100L17syevj_offd_kernelI19rocblas_complex_numIfEfPS3_EEviiT1_iilT0_PT_PiS9_S9_i
                                        ; -- End function
	.set _ZN9rocsolver6v33100L17syevj_offd_kernelI19rocblas_complex_numIfEfPS3_EEviiT1_iilT0_PT_PiS9_S9_i.num_vgpr, 45
	.set _ZN9rocsolver6v33100L17syevj_offd_kernelI19rocblas_complex_numIfEfPS3_EEviiT1_iilT0_PT_PiS9_S9_i.num_agpr, 0
	.set _ZN9rocsolver6v33100L17syevj_offd_kernelI19rocblas_complex_numIfEfPS3_EEviiT1_iilT0_PT_PiS9_S9_i.numbered_sgpr, 85
	.set _ZN9rocsolver6v33100L17syevj_offd_kernelI19rocblas_complex_numIfEfPS3_EEviiT1_iilT0_PT_PiS9_S9_i.num_named_barrier, 0
	.set _ZN9rocsolver6v33100L17syevj_offd_kernelI19rocblas_complex_numIfEfPS3_EEviiT1_iilT0_PT_PiS9_S9_i.private_seg_size, 0
	.set _ZN9rocsolver6v33100L17syevj_offd_kernelI19rocblas_complex_numIfEfPS3_EEviiT1_iilT0_PT_PiS9_S9_i.uses_vcc, 1
	.set _ZN9rocsolver6v33100L17syevj_offd_kernelI19rocblas_complex_numIfEfPS3_EEviiT1_iilT0_PT_PiS9_S9_i.uses_flat_scratch, 0
	.set _ZN9rocsolver6v33100L17syevj_offd_kernelI19rocblas_complex_numIfEfPS3_EEviiT1_iilT0_PT_PiS9_S9_i.has_dyn_sized_stack, 0
	.set _ZN9rocsolver6v33100L17syevj_offd_kernelI19rocblas_complex_numIfEfPS3_EEviiT1_iilT0_PT_PiS9_S9_i.has_recursion, 0
	.set _ZN9rocsolver6v33100L17syevj_offd_kernelI19rocblas_complex_numIfEfPS3_EEviiT1_iilT0_PT_PiS9_S9_i.has_indirect_call, 0
	.section	.AMDGPU.csdata,"",@progbits
; Kernel info:
; codeLenInByte = 5292
; TotalNumSgprs: 89
; NumVgprs: 45
; ScratchSize: 0
; MemoryBound: 0
; FloatMode: 240
; IeeeMode: 1
; LDSByteSize: 0 bytes/workgroup (compile time only)
; SGPRBlocks: 11
; VGPRBlocks: 11
; NumSGPRsForWavesPerEU: 89
; NumVGPRsForWavesPerEU: 45
; Occupancy: 5
; WaveLimiterHint : 1
; COMPUTE_PGM_RSRC2:SCRATCH_EN: 0
; COMPUTE_PGM_RSRC2:USER_SGPR: 6
; COMPUTE_PGM_RSRC2:TRAP_HANDLER: 0
; COMPUTE_PGM_RSRC2:TGID_X_EN: 1
; COMPUTE_PGM_RSRC2:TGID_Y_EN: 0
; COMPUTE_PGM_RSRC2:TGID_Z_EN: 1
; COMPUTE_PGM_RSRC2:TIDIG_COMP_CNT: 1
	.section	.text._ZN9rocsolver6v33100L21syevj_offd_rotate_orgILb0E19rocblas_complex_numIfEfPS3_EEvbiiT2_iilPT0_PiS8_S8_,"axG",@progbits,_ZN9rocsolver6v33100L21syevj_offd_rotate_orgILb0E19rocblas_complex_numIfEfPS3_EEvbiiT2_iilPT0_PiS8_S8_,comdat
	.globl	_ZN9rocsolver6v33100L21syevj_offd_rotate_orgILb0E19rocblas_complex_numIfEfPS3_EEvbiiT2_iilPT0_PiS8_S8_ ; -- Begin function _ZN9rocsolver6v33100L21syevj_offd_rotate_orgILb0E19rocblas_complex_numIfEfPS3_EEvbiiT2_iilPT0_PiS8_S8_
	.p2align	8
	.type	_ZN9rocsolver6v33100L21syevj_offd_rotate_orgILb0E19rocblas_complex_numIfEfPS3_EEvbiiT2_iilPT0_PiS8_S8_,@function
_ZN9rocsolver6v33100L21syevj_offd_rotate_orgILb0E19rocblas_complex_numIfEfPS3_EEvbiiT2_iilPT0_PiS8_S8_: ; @_ZN9rocsolver6v33100L21syevj_offd_rotate_orgILb0E19rocblas_complex_numIfEfPS3_EEvbiiT2_iilPT0_PiS8_S8_
; %bb.0:
	s_load_dwordx2 s[0:1], s[4:5], 0x40
	s_ashr_i32 s9, s8, 31
	s_lshl_b64 s[2:3], s[8:9], 2
	s_waitcnt lgkmcnt(0)
	s_add_u32 s0, s0, s2
	s_addc_u32 s1, s1, s3
	s_load_dword s0, s[0:1], 0x4
	s_waitcnt lgkmcnt(0)
	s_cmp_lg_u32 s0, 0
	s_cbranch_scc0 .LBB94_2
.LBB94_1:
	s_endpgm
.LBB94_2:
	s_load_dwordx8 s[12:19], s[4:5], 0x20
	s_mov_b32 s10, s7
	s_ashr_i32 s7, s6, 31
	s_lshl_b64 s[0:1], s[6:7], 2
	s_waitcnt lgkmcnt(0)
	s_add_u32 s2, s16, s0
	s_addc_u32 s3, s17, s1
	s_add_u32 s0, s18, s0
	s_load_dword s11, s[2:3], 0x0
	s_addc_u32 s1, s19, s1
	s_load_dword s20, s[0:1], 0x0
	s_load_dwordx4 s[16:19], s[4:5], 0x0
	s_waitcnt lgkmcnt(0)
	s_max_i32 s7, s11, s20
	s_cmp_ge_i32 s7, s17
	s_cbranch_scc1 .LBB94_1
; %bb.3:
	s_add_u32 s0, s4, 0x48
	s_addc_u32 s1, s5, 0
	s_bitcmp1_b32 s16, 0
	s_cselect_b64 s[2:3], -1, 0
	s_xor_b64 s[2:3], s[2:3], -1
	s_min_i32 s17, s11, s20
	s_and_b64 vcc, exec, s[2:3]
	s_mov_b32 s16, s10
	s_cbranch_vccnz .LBB94_5
; %bb.4:
	s_lshr_b32 s2, s16, 31
	s_add_i32 s2, s16, s2
	s_ashr_i32 s10, s2, 1
	s_cmp_lg_u32 s10, s17
	s_cselect_b64 s[2:3], -1, 0
	s_cmp_lg_u32 s10, s7
	s_cselect_b64 s[10:11], -1, 0
	s_and_b64 s[2:3], s[2:3], s[10:11]
.LBB94_5:
	s_andn2_b64 vcc, exec, s[2:3]
	s_cbranch_vccnz .LBB94_1
; %bb.6:
	s_load_dword s19, s[0:1], 0xc
	s_waitcnt lgkmcnt(0)
	s_bfe_u32 s10, s19, 0xf0001
	s_mul_i32 s11, s7, s10
	s_mul_i32 s1, s17, s10
	s_sub_i32 s2, s11, s10
	s_lshr_b32 s0, s19, 16
	v_mov_b32_e32 v2, s1
	v_mov_b32_e32 v3, s2
	v_cmp_gt_u32_e32 vcc, s10, v0
	v_cndmask_b32_e32 v2, v3, v2, vcc
	s_mul_i32 s16, s16, s0
	v_add_u32_e32 v9, v2, v0
	v_add_u32_e32 v2, s16, v1
	v_max_i32_e32 v3, v9, v2
	v_cmp_gt_i32_e32 vcc, s18, v3
	s_and_saveexec_b64 s[0:1], vcc
	s_cbranch_execz .LBB94_1
; %bb.7:
	s_load_dword s20, s[4:5], 0x48
	s_load_dwordx4 s[0:3], s[4:5], 0x10
	s_lshl_b32 s4, s10, 1
	v_mov_b32_e32 v4, 0
	v_mov_b32_e32 v3, 0
	s_waitcnt lgkmcnt(0)
	s_mul_i32 s5, s20, s8
	s_ashr_i32 s21, s2, 31
	s_mov_b32 s20, s2
	s_add_i32 s2, s5, s6
	s_mul_i32 s5, s12, s9
	s_mul_hi_u32 s6, s12, s8
	s_add_i32 s5, s6, s5
	s_mul_i32 s6, s13, s8
	s_add_i32 s9, s5, s6
	s_mul_i32 s8, s12, s8
	s_lshl_b64 s[8:9], s[8:9], 3
	s_add_u32 s5, s0, s8
	s_addc_u32 s6, s1, s9
	s_lshl_b64 s[0:1], s[20:21], 3
	s_mul_i32 s2, s2, s10
	s_add_u32 s0, s5, s0
	s_mul_i32 s2, s2, s10
	s_addc_u32 s1, s6, s1
	s_lshl_b32 s8, s2, 2
	s_ashr_i32 s9, s8, 31
	s_lshl_b64 s[8:9], s[8:9], 3
	s_add_u32 s2, s14, s8
	s_addc_u32 s5, s15, s9
	s_and_b32 s6, 0xffff, s19
	s_cmp_lt_u32 s6, 2
	s_cbranch_scc1 .LBB94_10
; %bb.8:
	s_mul_i32 s6, s3, s17
	s_mul_i32 s6, s6, s10
	s_add_i32 s6, s16, s6
	v_mov_b32_e32 v8, 0
	v_add_u32_e32 v5, s6, v1
	v_mov_b32_e32 v10, s5
	v_mov_b32_e32 v11, s1
	;; [unrolled: 1-line block ×3, first 2 shown]
	s_mov_b32 s6, s10
	v_mov_b32_e32 v4, v8
	v_mov_b32_e32 v3, v8
.LBB94_9:                               ; =>This Inner Loop Header: Depth=1
	v_lshlrev_b64 v[12:13], 3, v[7:8]
	v_ashrrev_i32_e32 v6, 31, v5
	v_lshlrev_b64 v[14:15], 3, v[5:6]
	v_add_co_u32_e32 v12, vcc, s2, v12
	v_addc_co_u32_e32 v13, vcc, v10, v13, vcc
	v_add_co_u32_e32 v14, vcc, s0, v14
	v_addc_co_u32_e32 v15, vcc, v11, v15, vcc
	global_load_dwordx2 v[16:17], v[12:13], off
	global_load_dwordx2 v[18:19], v[14:15], off
	s_add_i32 s6, s6, -1
	v_add_u32_e32 v7, s4, v7
	v_add_u32_e32 v5, s3, v5
	s_cmp_eq_u32 s6, 0
	s_waitcnt vmcnt(0)
	v_mul_f32_e32 v6, v19, v17
	v_mul_f32_e32 v12, v18, v17
	v_fma_f32 v6, v18, v16, -v6
	v_fmac_f32_e32 v12, v19, v16
	v_add_f32_e32 v3, v3, v6
	v_add_f32_e32 v4, v4, v12
	s_cbranch_scc0 .LBB94_9
.LBB94_10:
	s_sub_i32 s6, s18, s11
	s_min_i32 s6, s6, s10
	s_cmp_lt_i32 s6, 1
	s_cbranch_scc1 .LBB94_13
; %bb.11:
	s_mul_i32 s7, s3, s7
	s_mul_i32 s7, s7, s10
	s_add_i32 s16, s16, s7
	s_mul_i32 s10, s10, s10
	v_add_u32_e32 v5, s16, v1
	v_lshl_add_u32 v0, s10, 1, v0
	v_mov_b32_e32 v1, 0
	v_mov_b32_e32 v7, s5
	;; [unrolled: 1-line block ×3, first 2 shown]
.LBB94_12:                              ; =>This Inner Loop Header: Depth=1
	v_lshlrev_b64 v[10:11], 3, v[0:1]
	v_ashrrev_i32_e32 v6, 31, v5
	v_lshlrev_b64 v[12:13], 3, v[5:6]
	v_add_co_u32_e32 v10, vcc, s2, v10
	v_addc_co_u32_e32 v11, vcc, v7, v11, vcc
	v_add_co_u32_e32 v12, vcc, s0, v12
	v_addc_co_u32_e32 v13, vcc, v8, v13, vcc
	global_load_dwordx2 v[14:15], v[10:11], off
	global_load_dwordx2 v[16:17], v[12:13], off
	s_add_i32 s6, s6, -1
	v_add_u32_e32 v0, s4, v0
	v_add_u32_e32 v5, s3, v5
	s_cmp_lg_u32 s6, 0
	s_waitcnt vmcnt(0)
	v_mul_f32_e32 v6, v17, v15
	v_mul_f32_e32 v10, v16, v15
	v_fma_f32 v6, v16, v14, -v6
	v_fmac_f32_e32 v10, v17, v14
	v_add_f32_e32 v3, v3, v6
	v_add_f32_e32 v4, v4, v10
	s_cbranch_scc1 .LBB94_12
.LBB94_13:
	v_mad_u64_u32 v[0:1], s[2:3], v9, s3, v[2:3]
	v_mov_b32_e32 v2, s1
	v_ashrrev_i32_e32 v1, 31, v0
	v_lshlrev_b64 v[0:1], 3, v[0:1]
	s_barrier
	v_add_co_u32_e32 v0, vcc, s0, v0
	v_addc_co_u32_e32 v1, vcc, v2, v1, vcc
	global_store_dwordx2 v[0:1], v[3:4], off
	s_endpgm
	.section	.rodata,"a",@progbits
	.p2align	6, 0x0
	.amdhsa_kernel _ZN9rocsolver6v33100L21syevj_offd_rotate_orgILb0E19rocblas_complex_numIfEfPS3_EEvbiiT2_iilPT0_PiS8_S8_
		.amdhsa_group_segment_fixed_size 0
		.amdhsa_private_segment_fixed_size 0
		.amdhsa_kernarg_size 328
		.amdhsa_user_sgpr_count 6
		.amdhsa_user_sgpr_private_segment_buffer 1
		.amdhsa_user_sgpr_dispatch_ptr 0
		.amdhsa_user_sgpr_queue_ptr 0
		.amdhsa_user_sgpr_kernarg_segment_ptr 1
		.amdhsa_user_sgpr_dispatch_id 0
		.amdhsa_user_sgpr_flat_scratch_init 0
		.amdhsa_user_sgpr_private_segment_size 0
		.amdhsa_uses_dynamic_stack 0
		.amdhsa_system_sgpr_private_segment_wavefront_offset 0
		.amdhsa_system_sgpr_workgroup_id_x 1
		.amdhsa_system_sgpr_workgroup_id_y 1
		.amdhsa_system_sgpr_workgroup_id_z 1
		.amdhsa_system_sgpr_workgroup_info 0
		.amdhsa_system_vgpr_workitem_id 1
		.amdhsa_next_free_vgpr 20
		.amdhsa_next_free_sgpr 22
		.amdhsa_reserve_vcc 1
		.amdhsa_reserve_flat_scratch 0
		.amdhsa_float_round_mode_32 0
		.amdhsa_float_round_mode_16_64 0
		.amdhsa_float_denorm_mode_32 3
		.amdhsa_float_denorm_mode_16_64 3
		.amdhsa_dx10_clamp 1
		.amdhsa_ieee_mode 1
		.amdhsa_fp16_overflow 0
		.amdhsa_exception_fp_ieee_invalid_op 0
		.amdhsa_exception_fp_denorm_src 0
		.amdhsa_exception_fp_ieee_div_zero 0
		.amdhsa_exception_fp_ieee_overflow 0
		.amdhsa_exception_fp_ieee_underflow 0
		.amdhsa_exception_fp_ieee_inexact 0
		.amdhsa_exception_int_div_zero 0
	.end_amdhsa_kernel
	.section	.text._ZN9rocsolver6v33100L21syevj_offd_rotate_orgILb0E19rocblas_complex_numIfEfPS3_EEvbiiT2_iilPT0_PiS8_S8_,"axG",@progbits,_ZN9rocsolver6v33100L21syevj_offd_rotate_orgILb0E19rocblas_complex_numIfEfPS3_EEvbiiT2_iilPT0_PiS8_S8_,comdat
.Lfunc_end94:
	.size	_ZN9rocsolver6v33100L21syevj_offd_rotate_orgILb0E19rocblas_complex_numIfEfPS3_EEvbiiT2_iilPT0_PiS8_S8_, .Lfunc_end94-_ZN9rocsolver6v33100L21syevj_offd_rotate_orgILb0E19rocblas_complex_numIfEfPS3_EEvbiiT2_iilPT0_PiS8_S8_
                                        ; -- End function
	.set _ZN9rocsolver6v33100L21syevj_offd_rotate_orgILb0E19rocblas_complex_numIfEfPS3_EEvbiiT2_iilPT0_PiS8_S8_.num_vgpr, 20
	.set _ZN9rocsolver6v33100L21syevj_offd_rotate_orgILb0E19rocblas_complex_numIfEfPS3_EEvbiiT2_iilPT0_PiS8_S8_.num_agpr, 0
	.set _ZN9rocsolver6v33100L21syevj_offd_rotate_orgILb0E19rocblas_complex_numIfEfPS3_EEvbiiT2_iilPT0_PiS8_S8_.numbered_sgpr, 22
	.set _ZN9rocsolver6v33100L21syevj_offd_rotate_orgILb0E19rocblas_complex_numIfEfPS3_EEvbiiT2_iilPT0_PiS8_S8_.num_named_barrier, 0
	.set _ZN9rocsolver6v33100L21syevj_offd_rotate_orgILb0E19rocblas_complex_numIfEfPS3_EEvbiiT2_iilPT0_PiS8_S8_.private_seg_size, 0
	.set _ZN9rocsolver6v33100L21syevj_offd_rotate_orgILb0E19rocblas_complex_numIfEfPS3_EEvbiiT2_iilPT0_PiS8_S8_.uses_vcc, 1
	.set _ZN9rocsolver6v33100L21syevj_offd_rotate_orgILb0E19rocblas_complex_numIfEfPS3_EEvbiiT2_iilPT0_PiS8_S8_.uses_flat_scratch, 0
	.set _ZN9rocsolver6v33100L21syevj_offd_rotate_orgILb0E19rocblas_complex_numIfEfPS3_EEvbiiT2_iilPT0_PiS8_S8_.has_dyn_sized_stack, 0
	.set _ZN9rocsolver6v33100L21syevj_offd_rotate_orgILb0E19rocblas_complex_numIfEfPS3_EEvbiiT2_iilPT0_PiS8_S8_.has_recursion, 0
	.set _ZN9rocsolver6v33100L21syevj_offd_rotate_orgILb0E19rocblas_complex_numIfEfPS3_EEvbiiT2_iilPT0_PiS8_S8_.has_indirect_call, 0
	.section	.AMDGPU.csdata,"",@progbits
; Kernel info:
; codeLenInByte = 788
; TotalNumSgprs: 26
; NumVgprs: 20
; ScratchSize: 0
; MemoryBound: 0
; FloatMode: 240
; IeeeMode: 1
; LDSByteSize: 0 bytes/workgroup (compile time only)
; SGPRBlocks: 3
; VGPRBlocks: 4
; NumSGPRsForWavesPerEU: 26
; NumVGPRsForWavesPerEU: 20
; Occupancy: 10
; WaveLimiterHint : 0
; COMPUTE_PGM_RSRC2:SCRATCH_EN: 0
; COMPUTE_PGM_RSRC2:USER_SGPR: 6
; COMPUTE_PGM_RSRC2:TRAP_HANDLER: 0
; COMPUTE_PGM_RSRC2:TGID_X_EN: 1
; COMPUTE_PGM_RSRC2:TGID_Y_EN: 1
; COMPUTE_PGM_RSRC2:TGID_Z_EN: 1
; COMPUTE_PGM_RSRC2:TIDIG_COMP_CNT: 1
	.section	.text._ZN9rocsolver6v33100L17syevj_offd_rotateILb0E19rocblas_complex_numIfEfPS3_EEvbiiT2_iilPT0_PiS8_S8_i,"axG",@progbits,_ZN9rocsolver6v33100L17syevj_offd_rotateILb0E19rocblas_complex_numIfEfPS3_EEvbiiT2_iilPT0_PiS8_S8_i,comdat
	.globl	_ZN9rocsolver6v33100L17syevj_offd_rotateILb0E19rocblas_complex_numIfEfPS3_EEvbiiT2_iilPT0_PiS8_S8_i ; -- Begin function _ZN9rocsolver6v33100L17syevj_offd_rotateILb0E19rocblas_complex_numIfEfPS3_EEvbiiT2_iilPT0_PiS8_S8_i
	.p2align	8
	.type	_ZN9rocsolver6v33100L17syevj_offd_rotateILb0E19rocblas_complex_numIfEfPS3_EEvbiiT2_iilPT0_PiS8_S8_i,@function
_ZN9rocsolver6v33100L17syevj_offd_rotateILb0E19rocblas_complex_numIfEfPS3_EEvbiiT2_iilPT0_PiS8_S8_i: ; @_ZN9rocsolver6v33100L17syevj_offd_rotateILb0E19rocblas_complex_numIfEfPS3_EEvbiiT2_iilPT0_PiS8_S8_i
; %bb.0:
	s_load_dwordx4 s[20:23], s[4:5], 0x0
	s_load_dword s33, s[4:5], 0x48
	s_waitcnt lgkmcnt(0)
	s_abs_i32 s2, s21
	v_cvt_f32_u32_e32 v2, s2
	s_cmp_ge_u32 s8, s33
	v_rcp_iflag_f32_e32 v2, v2
	v_mul_f32_e32 v2, 0x4f7ffffe, v2
	v_cvt_u32_f32_e32 v2, v2
	v_readfirstlane_b32 s3, v2
	s_cbranch_scc1 .LBB95_36
; %bb.1:
	s_sub_i32 s10, 0, s2
	s_mov_b64 s[0:1], src_shared_base
	s_mul_i32 s10, s10, s3
	s_add_i32 s0, s22, -1
	s_mul_hi_u32 s10, s3, s10
	s_ashr_i32 s9, s0, 31
	s_ashr_i32 s24, s21, 31
	s_abs_i32 s0, s0
	s_add_i32 s3, s3, s10
	s_bitcmp1_b32 s20, 0
	s_mul_hi_u32 s3, s0, s3
	s_cselect_b64 s[10:11], -1, 0
	v_cndmask_b32_e64 v7, 0, 1, s[10:11]
	s_xor_b64 s[34:35], s[10:11], -1
	s_mul_i32 s10, s3, s2
	s_sub_i32 s0, s0, s10
	s_xor_b32 s9, s9, s24
	s_add_i32 s10, s3, 1
	s_sub_i32 s11, s0, s2
	s_cmp_ge_u32 s0, s2
	s_cselect_b32 s3, s10, s3
	s_cselect_b32 s0, s11, s0
	s_add_i32 s10, s3, 1
	s_cmp_ge_u32 s0, s2
	s_cselect_b32 s0, s10, s3
	s_xor_b32 s0, s0, s9
	s_sub_i32 s20, s0, s9
	s_add_i32 s48, s20, 1
	s_lshr_b32 s0, s48, 31
	s_add_i32 s0, s48, s0
	s_and_b32 s0, s0, -2
	s_sub_i32 s0, s48, s0
	s_load_dwordx4 s[28:31], s[4:5], 0x10
	s_load_dwordx8 s[12:19], s[4:5], 0x20
	s_load_dwordx2 s[36:37], s[4:5], 0x40
	s_load_dwordx4 s[24:27], s[4:5], 0x50
	s_add_i32 s0, s0, s48
	s_lshr_b32 s2, s0, 31
	s_add_i32 s0, s0, s2
	s_lshl_b32 s51, s21, 1
	s_ashr_i32 s49, s0, 1
	s_mul_i32 s0, s51, s21
	s_lshl_b32 s2, s0, 3
	s_waitcnt lgkmcnt(0)
	s_lshr_b32 s50, s27, 16
	s_and_b32 s27, s27, 0xffff
	s_add_i32 s52, s2, 0
	s_mul_i32 s0, s0, 3
	s_cmpk_lt_u32 s0, 0x2001
	s_mul_i32 s9, s21, s21
	s_cselect_b64 s[38:39], -1, 0
	s_ashr_i32 s3, s30, 31
	s_lshl_b32 s54, s9, 2
	s_cmp_lt_u32 s6, s49
	s_mul_i32 s0, s20, s21
	s_cselect_b64 s[4:5], -1, 0
	s_sub_i32 s55, s22, s0
	s_mov_b32 s2, s30
	s_cmp_lt_u32 s7, s48
	s_cselect_b64 s[40:41], -1, 0
	s_ashr_i32 s57, s31, 31
	s_lshl_b64 s[2:3], s[2:3], 3
	s_add_u32 s59, s28, s2
	s_addc_u32 s60, s29, s3
	s_lshl_b32 s2, s9, 4
	v_mad_u32_u24 v8, v1, s27, v0
	s_mul_i32 s56, s50, s27
	s_add_i32 s2, s2, 0
	v_cndmask_b32_e64 v3, 0, 1, s[4:5]
	s_mov_b32 s23, 0
	s_mov_b32 s53, s1
	v_cmp_gt_u32_e64 s[0:1], s54, v8
	s_mov_b32 s58, s31
	v_lshl_add_u32 v9, v8, 3, s2
	s_lshl_b32 s61, s56, 3
	v_lshl_add_u32 v2, v0, 3, 0
	v_lshlrev_b32_e32 v10, 3, v1
	s_lshl_b32 s62, s50, 3
	s_lshl_b32 s63, s27, 3
	s_mul_i32 s64, s7, s21
	s_mul_i32 s65, s25, s21
	v_mov_b32_e32 v4, 0
	v_cmp_ne_u32_e64 s[2:3], 1, v3
	s_branch .LBB95_3
.LBB95_2:                               ;   in Loop: Header=BB95_3 Depth=1
	s_add_i32 s8, s8, s26
	s_cmp_ge_u32 s8, s33
	s_cbranch_scc1 .LBB95_36
.LBB95_3:                               ; =>This Loop Header: Depth=1
                                        ;     Child Loop BB95_7 Depth 2
                                        ;       Child Loop BB95_11 Depth 3
                                        ;       Child Loop BB95_17 Depth 3
                                        ;         Child Loop BB95_23 Depth 4
                                        ;           Child Loop BB95_25 Depth 5
                                        ;         Child Loop BB95_29 Depth 4
                                        ;           Child Loop BB95_33 Depth 5
                                        ;             Child Loop BB95_35 Depth 6
	s_mov_b32 s9, s23
	s_lshl_b64 s[4:5], s[8:9], 2
	s_add_u32 s4, s36, s4
	s_addc_u32 s5, s37, s5
	global_load_dword v3, v4, s[4:5] offset:4
	s_waitcnt vmcnt(0)
	v_cmp_ne_u32_e32 vcc, 0, v3
	s_cbranch_vccnz .LBB95_2
; %bb.4:                                ;   in Loop: Header=BB95_3 Depth=1
	s_and_b64 vcc, exec, s[2:3]
	s_cbranch_vccnz .LBB95_2
; %bb.5:                                ;   in Loop: Header=BB95_3 Depth=1
	s_mul_i32 s4, s13, s8
	s_mul_hi_u32 s5, s12, s8
	s_add_i32 s5, s5, s4
	s_mul_i32 s4, s12, s8
	s_lshl_b64 s[4:5], s[4:5], 3
	s_add_u32 s9, s59, s4
	s_addc_u32 s66, s60, s5
	s_mul_i32 s67, s8, s49
	s_mov_b32 s22, s6
	s_branch .LBB95_7
.LBB95_6:                               ;   in Loop: Header=BB95_7 Depth=2
	s_add_i32 s22, s22, s24
	s_cmp_lt_u32 s22, s49
	s_cbranch_scc0 .LBB95_2
.LBB95_7:                               ;   Parent Loop BB95_3 Depth=1
                                        ; =>  This Loop Header: Depth=2
                                        ;       Child Loop BB95_11 Depth 3
                                        ;       Child Loop BB95_17 Depth 3
                                        ;         Child Loop BB95_23 Depth 4
                                        ;           Child Loop BB95_25 Depth 5
                                        ;         Child Loop BB95_29 Depth 4
                                        ;           Child Loop BB95_33 Depth 5
                                        ;             Child Loop BB95_35 Depth 6
	s_lshl_b64 s[4:5], s[22:23], 2
	s_add_u32 s10, s16, s4
	s_addc_u32 s11, s17, s5
	s_add_u32 s4, s18, s4
	s_addc_u32 s5, s19, s5
	global_load_dword v3, v4, s[4:5]
	global_load_dword v5, v4, s[10:11]
	s_waitcnt vmcnt(1)
	v_readfirstlane_b32 s28, v3
	s_waitcnt vmcnt(0)
	v_readfirstlane_b32 s29, v5
	s_max_i32 s68, s29, s28
	s_cmp_gt_i32 s68, s20
	s_cbranch_scc1 .LBB95_6
; %bb.8:                                ;   in Loop: Header=BB95_7 Depth=2
	s_add_i32 s4, s22, s67
	s_mul_i32 s4, s54, s4
	s_mov_b32 s5, s23
	s_lshl_b64 s[4:5], s[4:5], 3
	s_add_u32 s30, s14, s4
	s_addc_u32 s31, s15, s5
	s_andn2_b64 vcc, exec, s[38:39]
	s_cbranch_vccnz .LBB95_13
; %bb.9:                                ;   in Loop: Header=BB95_7 Depth=2
	s_barrier
	s_and_saveexec_b64 s[4:5], s[0:1]
	s_cbranch_execz .LBB95_12
; %bb.10:                               ;   in Loop: Header=BB95_7 Depth=2
	s_mov_b64 s[10:11], 0
	v_mov_b32_e32 v5, s31
	v_mov_b32_e32 v6, v9
	;; [unrolled: 1-line block ×3, first 2 shown]
.LBB95_11:                              ;   Parent Loop BB95_3 Depth=1
                                        ;     Parent Loop BB95_7 Depth=2
                                        ; =>    This Inner Loop Header: Depth=3
	v_lshlrev_b64 v[11:12], 3, v[3:4]
	v_add_u32_e32 v3, s56, v3
	v_add_co_u32_e32 v11, vcc, s30, v11
	v_addc_co_u32_e32 v12, vcc, v5, v12, vcc
	global_load_dwordx2 v[11:12], v[11:12], off
	v_cmp_le_u32_e32 vcc, s54, v3
	s_or_b64 s[10:11], vcc, s[10:11]
	s_waitcnt vmcnt(0)
	ds_write_b64 v6, v[11:12]
	v_add_u32_e32 v6, s61, v6
	s_andn2_b64 exec, exec, s[10:11]
	s_cbranch_execnz .LBB95_11
.LBB95_12:                              ;   in Loop: Header=BB95_7 Depth=2
	s_or_b64 exec, exec, s[4:5]
	s_waitcnt lgkmcnt(0)
	s_barrier
.LBB95_13:                              ;   in Loop: Header=BB95_7 Depth=2
	s_andn2_b64 vcc, exec, s[40:41]
	s_cbranch_vccnz .LBB95_6
; %bb.14:                               ;   in Loop: Header=BB95_7 Depth=2
	s_min_i32 s69, s28, s29
	s_cmp_eq_u32 s69, s20
	s_cselect_b32 s71, s55, s21
	s_cmp_eq_u32 s68, s20
	s_cselect_b32 s4, s55, s21
	s_add_i32 s72, s71, s4
	s_mul_i32 s10, s68, s21
	s_and_b64 s[4:5], s[38:39], exec
	s_cselect_b32 s73, s53, s31
	s_cselect_b32 s74, s52, s30
	s_sub_i32 s75, s10, s71
	s_cmp_gt_i32 s72, 0
	s_mul_i32 s70, s69, s21
	v_cmp_gt_u32_e64 s[4:5], s72, v1
	s_cselect_b64 s[28:29], -1, 0
	s_mov_b32 s76, s64
	s_mov_b32 s77, s7
	s_branch .LBB95_17
.LBB95_15:                              ;   in Loop: Header=BB95_17 Depth=3
	s_or_b64 exec, exec, s[30:31]
	s_waitcnt vmcnt(0)
	s_barrier
.LBB95_16:                              ;   in Loop: Header=BB95_17 Depth=3
	s_add_i32 s77, s77, s25
	s_add_i32 s76, s76, s65
	s_cmp_lt_u32 s77, s48
	s_cbranch_scc0 .LBB95_6
.LBB95_17:                              ;   Parent Loop BB95_3 Depth=1
                                        ;     Parent Loop BB95_7 Depth=2
                                        ; =>    This Loop Header: Depth=3
                                        ;         Child Loop BB95_23 Depth 4
                                        ;           Child Loop BB95_25 Depth 5
                                        ;         Child Loop BB95_29 Depth 4
                                        ;           Child Loop BB95_33 Depth 5
                                        ;             Child Loop BB95_35 Depth 6
	v_cmp_ne_u32_e32 vcc, 1, v7
	s_mov_b64 s[10:11], s[34:35]
	s_cbranch_vccz .LBB95_19
; %bb.18:                               ;   in Loop: Header=BB95_17 Depth=3
	s_andn2_b64 vcc, exec, s[10:11]
	s_cbranch_vccnz .LBB95_16
	s_branch .LBB95_20
.LBB95_19:                              ;   in Loop: Header=BB95_17 Depth=3
	s_cmp_lg_u32 s77, s69
	s_cselect_b64 s[10:11], -1, 0
	s_cmp_lg_u32 s77, s68
	s_cselect_b64 s[30:31], -1, 0
	s_and_b64 s[10:11], s[10:11], s[30:31]
	s_andn2_b64 vcc, exec, s[10:11]
	s_cbranch_vccnz .LBB95_16
.LBB95_20:                              ;   in Loop: Header=BB95_17 Depth=3
	s_cmp_eq_u32 s77, s20
	s_cselect_b32 s78, s55, s21
	s_barrier
	s_and_saveexec_b64 s[30:31], s[4:5]
	s_cbranch_execz .LBB95_26
; %bb.21:                               ;   in Loop: Header=BB95_17 Depth=3
	v_mad_u64_u32 v[5:6], s[10:11], v10, s78, v[2:3]
	v_cmp_gt_u32_e32 vcc, s78, v0
	s_mul_i32 s79, s62, s78
	s_mov_b64 s[42:43], 0
	v_mov_b32_e32 v6, v1
	s_branch .LBB95_23
.LBB95_22:                              ;   in Loop: Header=BB95_23 Depth=4
	s_or_b64 exec, exec, s[44:45]
	v_add_u32_e32 v6, s50, v6
	v_cmp_le_u32_e64 s[10:11], s72, v6
	s_or_b64 s[42:43], s[10:11], s[42:43]
	v_add_u32_e32 v5, s79, v5
	s_andn2_b64 exec, exec, s[42:43]
	s_cbranch_execz .LBB95_26
.LBB95_23:                              ;   Parent Loop BB95_3 Depth=1
                                        ;     Parent Loop BB95_7 Depth=2
                                        ;       Parent Loop BB95_17 Depth=3
                                        ; =>      This Loop Header: Depth=4
                                        ;           Child Loop BB95_25 Depth 5
	s_and_saveexec_b64 s[44:45], vcc
	s_cbranch_execz .LBB95_22
; %bb.24:                               ;   in Loop: Header=BB95_23 Depth=4
	v_mov_b32_e32 v3, s75
	v_mov_b32_e32 v11, s70
	v_cmp_gt_u32_e64 s[10:11], s71, v6
	v_cndmask_b32_e64 v3, v3, v11, s[10:11]
	v_add_u32_e32 v13, v6, v3
	v_mad_u64_u32 v[11:12], s[10:11], v13, s58, 0
	s_mov_b64 s[46:47], 0
	v_mov_b32_e32 v14, v0
	v_mov_b32_e32 v3, v12
	v_mad_u64_u32 v[12:13], s[10:11], v13, s57, v[3:4]
	v_mov_b32_e32 v3, s66
	v_mov_b32_e32 v13, v5
	v_lshlrev_b64 v[11:12], 3, v[11:12]
	v_add_co_u32_e64 v11, s[10:11], s9, v11
	v_addc_co_u32_e64 v12, s[10:11], v3, v12, s[10:11]
.LBB95_25:                              ;   Parent Loop BB95_3 Depth=1
                                        ;     Parent Loop BB95_7 Depth=2
                                        ;       Parent Loop BB95_17 Depth=3
                                        ;         Parent Loop BB95_23 Depth=4
                                        ; =>        This Inner Loop Header: Depth=5
	v_add_u32_e32 v3, s76, v14
	v_lshlrev_b64 v[15:16], 3, v[3:4]
	v_add_u32_e32 v14, s27, v14
	v_add_co_u32_e64 v15, s[10:11], v11, v15
	v_addc_co_u32_e64 v16, s[10:11], v12, v16, s[10:11]
	global_load_dwordx2 v[15:16], v[15:16], off
	v_cmp_le_u32_e64 s[10:11], s78, v14
	s_or_b64 s[46:47], s[10:11], s[46:47]
	s_waitcnt vmcnt(0)
	ds_write_b64 v13, v[15:16]
	v_add_u32_e32 v13, s63, v13
	s_andn2_b64 exec, exec, s[46:47]
	s_cbranch_execnz .LBB95_25
	s_branch .LBB95_22
.LBB95_26:                              ;   in Loop: Header=BB95_17 Depth=3
	s_or_b64 exec, exec, s[30:31]
	s_waitcnt lgkmcnt(0)
	s_barrier
	s_and_saveexec_b64 s[30:31], s[4:5]
	s_cbranch_execz .LBB95_15
; %bb.27:                               ;   in Loop: Header=BB95_17 Depth=3
	s_mul_i32 s79, s77, s21
	v_cmp_gt_u32_e64 s[10:11], s78, v0
	s_lshl_b32 s80, s78, 3
	s_mov_b64 s[42:43], 0
	v_mov_b32_e32 v11, v1
	s_branch .LBB95_29
.LBB95_28:                              ;   in Loop: Header=BB95_29 Depth=4
	s_or_b64 exec, exec, s[44:45]
	v_add_u32_e32 v11, s50, v11
	v_cmp_le_u32_e32 vcc, s72, v11
	s_or_b64 s[42:43], vcc, s[42:43]
	s_andn2_b64 exec, exec, s[42:43]
	s_cbranch_execz .LBB95_15
.LBB95_29:                              ;   Parent Loop BB95_3 Depth=1
                                        ;     Parent Loop BB95_7 Depth=2
                                        ;       Parent Loop BB95_17 Depth=3
                                        ; =>      This Loop Header: Depth=4
                                        ;           Child Loop BB95_33 Depth 5
                                        ;             Child Loop BB95_35 Depth 6
	s_and_saveexec_b64 s[44:45], s[10:11]
	s_cbranch_execz .LBB95_28
; %bb.30:                               ;   in Loop: Header=BB95_29 Depth=4
	v_mov_b32_e32 v3, s75
	v_mov_b32_e32 v5, s70
	v_cmp_gt_u32_e32 vcc, s71, v11
	v_cndmask_b32_e32 v3, v3, v5, vcc
	v_add_u32_e32 v12, v11, v3
	v_mad_u64_u32 v[5:6], s[46:47], v12, s58, 0
	v_mov_b32_e32 v14, v2
	v_mov_b32_e32 v15, v0
	;; [unrolled: 1-line block ×3, first 2 shown]
	v_mad_u64_u32 v[12:13], s[46:47], v12, s57, v[3:4]
	v_mov_b32_e32 v3, s66
	s_mov_b64 s[46:47], 0
	v_mov_b32_e32 v6, v12
	v_lshlrev_b64 v[5:6], 3, v[5:6]
	v_add_co_u32_e32 v12, vcc, s9, v5
	v_addc_co_u32_e32 v13, vcc, v3, v6, vcc
	s_branch .LBB95_33
.LBB95_31:                              ;   in Loop: Header=BB95_33 Depth=5
	v_mov_b32_e32 v5, v6
.LBB95_32:                              ;   in Loop: Header=BB95_33 Depth=5
	v_add_u32_e32 v3, s79, v15
	v_lshlrev_b64 v[16:17], 3, v[3:4]
	v_add_u32_e32 v15, s27, v15
	v_add_co_u32_e32 v16, vcc, v12, v16
	v_addc_co_u32_e32 v17, vcc, v13, v17, vcc
	v_cmp_le_u32_e32 vcc, s78, v15
	s_or_b64 s[46:47], vcc, s[46:47]
	v_add_u32_e32 v14, s63, v14
	global_store_dwordx2 v[16:17], v[5:6], off
	s_andn2_b64 exec, exec, s[46:47]
	s_cbranch_execz .LBB95_28
.LBB95_33:                              ;   Parent Loop BB95_3 Depth=1
                                        ;     Parent Loop BB95_7 Depth=2
                                        ;       Parent Loop BB95_17 Depth=3
                                        ;         Parent Loop BB95_29 Depth=4
                                        ; =>        This Loop Header: Depth=5
                                        ;             Child Loop BB95_35 Depth 6
	v_mov_b32_e32 v6, 0
	s_andn2_b64 vcc, exec, s[28:29]
	s_cbranch_vccnz .LBB95_31
; %bb.34:                               ;   in Loop: Header=BB95_33 Depth=5
	v_mov_b32_e32 v3, v11
	v_mov_b32_e32 v16, v14
	s_mov_b32 s81, s72
	v_mov_b32_e32 v5, v6
.LBB95_35:                              ;   Parent Loop BB95_3 Depth=1
                                        ;     Parent Loop BB95_7 Depth=2
                                        ;       Parent Loop BB95_17 Depth=3
                                        ;         Parent Loop BB95_29 Depth=4
                                        ;           Parent Loop BB95_33 Depth=5
                                        ; =>          This Inner Loop Header: Depth=6
	v_lshlrev_b64 v[17:18], 3, v[3:4]
	v_mov_b32_e32 v19, s73
	v_add_co_u32_e32 v17, vcc, s74, v17
	v_addc_co_u32_e32 v18, vcc, v19, v18, vcc
	flat_load_dwordx2 v[17:18], v[17:18]
	ds_read_b64 v[19:20], v16
	s_add_i32 s81, s81, -1
	v_add_u32_e32 v16, s80, v16
	v_add_u32_e32 v3, s51, v3
	s_cmp_eq_u32 s81, 0
	s_waitcnt vmcnt(0) lgkmcnt(0)
	v_mul_f32_e32 v21, v18, v20
	v_mul_f32_e32 v20, v17, v20
	v_fma_f32 v17, v17, v19, -v21
	v_fmac_f32_e32 v20, v18, v19
	v_add_f32_e32 v5, v5, v17
	v_add_f32_e32 v6, v6, v20
	s_cbranch_scc0 .LBB95_35
	s_branch .LBB95_32
.LBB95_36:
	s_endpgm
	.section	.rodata,"a",@progbits
	.p2align	6, 0x0
	.amdhsa_kernel _ZN9rocsolver6v33100L17syevj_offd_rotateILb0E19rocblas_complex_numIfEfPS3_EEvbiiT2_iilPT0_PiS8_S8_i
		.amdhsa_group_segment_fixed_size 0
		.amdhsa_private_segment_fixed_size 0
		.amdhsa_kernarg_size 336
		.amdhsa_user_sgpr_count 6
		.amdhsa_user_sgpr_private_segment_buffer 1
		.amdhsa_user_sgpr_dispatch_ptr 0
		.amdhsa_user_sgpr_queue_ptr 0
		.amdhsa_user_sgpr_kernarg_segment_ptr 1
		.amdhsa_user_sgpr_dispatch_id 0
		.amdhsa_user_sgpr_flat_scratch_init 0
		.amdhsa_user_sgpr_private_segment_size 0
		.amdhsa_uses_dynamic_stack 0
		.amdhsa_system_sgpr_private_segment_wavefront_offset 0
		.amdhsa_system_sgpr_workgroup_id_x 1
		.amdhsa_system_sgpr_workgroup_id_y 1
		.amdhsa_system_sgpr_workgroup_id_z 1
		.amdhsa_system_sgpr_workgroup_info 0
		.amdhsa_system_vgpr_workitem_id 1
		.amdhsa_next_free_vgpr 22
		.amdhsa_next_free_sgpr 82
		.amdhsa_reserve_vcc 1
		.amdhsa_reserve_flat_scratch 0
		.amdhsa_float_round_mode_32 0
		.amdhsa_float_round_mode_16_64 0
		.amdhsa_float_denorm_mode_32 3
		.amdhsa_float_denorm_mode_16_64 3
		.amdhsa_dx10_clamp 1
		.amdhsa_ieee_mode 1
		.amdhsa_fp16_overflow 0
		.amdhsa_exception_fp_ieee_invalid_op 0
		.amdhsa_exception_fp_denorm_src 0
		.amdhsa_exception_fp_ieee_div_zero 0
		.amdhsa_exception_fp_ieee_overflow 0
		.amdhsa_exception_fp_ieee_underflow 0
		.amdhsa_exception_fp_ieee_inexact 0
		.amdhsa_exception_int_div_zero 0
	.end_amdhsa_kernel
	.section	.text._ZN9rocsolver6v33100L17syevj_offd_rotateILb0E19rocblas_complex_numIfEfPS3_EEvbiiT2_iilPT0_PiS8_S8_i,"axG",@progbits,_ZN9rocsolver6v33100L17syevj_offd_rotateILb0E19rocblas_complex_numIfEfPS3_EEvbiiT2_iilPT0_PiS8_S8_i,comdat
.Lfunc_end95:
	.size	_ZN9rocsolver6v33100L17syevj_offd_rotateILb0E19rocblas_complex_numIfEfPS3_EEvbiiT2_iilPT0_PiS8_S8_i, .Lfunc_end95-_ZN9rocsolver6v33100L17syevj_offd_rotateILb0E19rocblas_complex_numIfEfPS3_EEvbiiT2_iilPT0_PiS8_S8_i
                                        ; -- End function
	.set _ZN9rocsolver6v33100L17syevj_offd_rotateILb0E19rocblas_complex_numIfEfPS3_EEvbiiT2_iilPT0_PiS8_S8_i.num_vgpr, 22
	.set _ZN9rocsolver6v33100L17syevj_offd_rotateILb0E19rocblas_complex_numIfEfPS3_EEvbiiT2_iilPT0_PiS8_S8_i.num_agpr, 0
	.set _ZN9rocsolver6v33100L17syevj_offd_rotateILb0E19rocblas_complex_numIfEfPS3_EEvbiiT2_iilPT0_PiS8_S8_i.numbered_sgpr, 82
	.set _ZN9rocsolver6v33100L17syevj_offd_rotateILb0E19rocblas_complex_numIfEfPS3_EEvbiiT2_iilPT0_PiS8_S8_i.num_named_barrier, 0
	.set _ZN9rocsolver6v33100L17syevj_offd_rotateILb0E19rocblas_complex_numIfEfPS3_EEvbiiT2_iilPT0_PiS8_S8_i.private_seg_size, 0
	.set _ZN9rocsolver6v33100L17syevj_offd_rotateILb0E19rocblas_complex_numIfEfPS3_EEvbiiT2_iilPT0_PiS8_S8_i.uses_vcc, 1
	.set _ZN9rocsolver6v33100L17syevj_offd_rotateILb0E19rocblas_complex_numIfEfPS3_EEvbiiT2_iilPT0_PiS8_S8_i.uses_flat_scratch, 0
	.set _ZN9rocsolver6v33100L17syevj_offd_rotateILb0E19rocblas_complex_numIfEfPS3_EEvbiiT2_iilPT0_PiS8_S8_i.has_dyn_sized_stack, 0
	.set _ZN9rocsolver6v33100L17syevj_offd_rotateILb0E19rocblas_complex_numIfEfPS3_EEvbiiT2_iilPT0_PiS8_S8_i.has_recursion, 0
	.set _ZN9rocsolver6v33100L17syevj_offd_rotateILb0E19rocblas_complex_numIfEfPS3_EEvbiiT2_iilPT0_PiS8_S8_i.has_indirect_call, 0
	.section	.AMDGPU.csdata,"",@progbits
; Kernel info:
; codeLenInByte = 1504
; TotalNumSgprs: 86
; NumVgprs: 22
; ScratchSize: 0
; MemoryBound: 0
; FloatMode: 240
; IeeeMode: 1
; LDSByteSize: 0 bytes/workgroup (compile time only)
; SGPRBlocks: 10
; VGPRBlocks: 5
; NumSGPRsForWavesPerEU: 86
; NumVGPRsForWavesPerEU: 22
; Occupancy: 9
; WaveLimiterHint : 1
; COMPUTE_PGM_RSRC2:SCRATCH_EN: 0
; COMPUTE_PGM_RSRC2:USER_SGPR: 6
; COMPUTE_PGM_RSRC2:TRAP_HANDLER: 0
; COMPUTE_PGM_RSRC2:TGID_X_EN: 1
; COMPUTE_PGM_RSRC2:TGID_Y_EN: 1
; COMPUTE_PGM_RSRC2:TGID_Z_EN: 1
; COMPUTE_PGM_RSRC2:TIDIG_COMP_CNT: 1
	.section	.text._ZN9rocsolver6v33100L21syevj_offd_rotate_orgILb1E19rocblas_complex_numIfEfPS3_EEvbiiT2_iilPT0_PiS8_S8_,"axG",@progbits,_ZN9rocsolver6v33100L21syevj_offd_rotate_orgILb1E19rocblas_complex_numIfEfPS3_EEvbiiT2_iilPT0_PiS8_S8_,comdat
	.globl	_ZN9rocsolver6v33100L21syevj_offd_rotate_orgILb1E19rocblas_complex_numIfEfPS3_EEvbiiT2_iilPT0_PiS8_S8_ ; -- Begin function _ZN9rocsolver6v33100L21syevj_offd_rotate_orgILb1E19rocblas_complex_numIfEfPS3_EEvbiiT2_iilPT0_PiS8_S8_
	.p2align	8
	.type	_ZN9rocsolver6v33100L21syevj_offd_rotate_orgILb1E19rocblas_complex_numIfEfPS3_EEvbiiT2_iilPT0_PiS8_S8_,@function
_ZN9rocsolver6v33100L21syevj_offd_rotate_orgILb1E19rocblas_complex_numIfEfPS3_EEvbiiT2_iilPT0_PiS8_S8_: ; @_ZN9rocsolver6v33100L21syevj_offd_rotate_orgILb1E19rocblas_complex_numIfEfPS3_EEvbiiT2_iilPT0_PiS8_S8_
; %bb.0:
	s_load_dwordx2 s[0:1], s[4:5], 0x40
	s_ashr_i32 s9, s8, 31
	s_lshl_b64 s[2:3], s[8:9], 2
	s_waitcnt lgkmcnt(0)
	s_add_u32 s0, s0, s2
	s_addc_u32 s1, s1, s3
	s_load_dword s0, s[0:1], 0x4
	s_waitcnt lgkmcnt(0)
	s_cmp_lg_u32 s0, 0
	s_cbranch_scc0 .LBB96_2
.LBB96_1:
	s_endpgm
.LBB96_2:
	s_load_dwordx8 s[12:19], s[4:5], 0x20
	s_mov_b32 s20, s7
	s_ashr_i32 s7, s6, 31
	s_lshl_b64 s[0:1], s[6:7], 2
	s_waitcnt lgkmcnt(0)
	s_add_u32 s2, s16, s0
	s_addc_u32 s3, s17, s1
	s_add_u32 s10, s18, s0
	s_load_dword s7, s[2:3], 0x0
	s_addc_u32 s11, s19, s1
	s_load_dword s16, s[10:11], 0x0
	s_load_dwordx4 s[0:3], s[4:5], 0x0
	s_waitcnt lgkmcnt(0)
	s_max_i32 s3, s7, s16
	s_cmp_ge_i32 s3, s1
	s_cbranch_scc1 .LBB96_1
; %bb.3:
	s_add_u32 s10, s4, 0x48
	s_addc_u32 s11, s5, 0
	s_bitcmp1_b32 s0, 0
	s_cselect_b64 s[0:1], -1, 0
	s_xor_b64 s[0:1], s[0:1], -1
	s_min_i32 s17, s7, s16
	s_and_b64 vcc, exec, s[0:1]
	s_mov_b32 s16, s20
	s_cbranch_vccnz .LBB96_5
; %bb.4:
	s_lshr_b32 s0, s16, 31
	s_add_i32 s0, s16, s0
	s_ashr_i32 s7, s0, 1
	s_cmp_lg_u32 s7, s17
	s_cselect_b64 s[0:1], -1, 0
	s_cmp_lg_u32 s7, s3
	s_cselect_b64 s[18:19], -1, 0
	s_and_b64 s[0:1], s[0:1], s[18:19]
.LBB96_5:
	s_andn2_b64 vcc, exec, s[0:1]
	s_cbranch_vccnz .LBB96_1
; %bb.6:
	s_load_dword s1, s[10:11], 0xc
	s_waitcnt lgkmcnt(0)
	s_bfe_u32 s7, s1, 0xf0001
	s_mul_i32 s10, s3, s7
	s_mul_i32 s0, s17, s7
	s_sub_i32 s3, s10, s7
	s_lshr_b32 s11, s1, 16
	v_mov_b32_e32 v2, s0
	v_mov_b32_e32 v3, s3
	v_cmp_gt_u32_e32 vcc, s7, v0
	v_cndmask_b32_e32 v2, v3, v2, vcc
	s_mul_i32 s3, s16, s11
	v_add_u32_e32 v7, v2, v0
	v_add_u32_e32 v1, s3, v1
	v_max_i32_e32 v2, v7, v1
	v_cmp_gt_i32_e32 vcc, s2, v2
	s_and_saveexec_b64 s[16:17], vcc
	s_cbranch_execz .LBB96_1
; %bb.7:
	s_load_dword s3, s[4:5], 0x48
	s_load_dwordx4 s[16:19], s[4:5], 0x10
	s_mul_hi_u32 s4, s12, s8
	s_lshl_b32 s5, s7, 1
	s_waitcnt lgkmcnt(0)
	s_mul_i32 s3, s3, s8
	s_add_i32 s6, s3, s6
	s_mul_i32 s3, s12, s9
	s_add_i32 s3, s4, s3
	;; [unrolled: 2-line block ×3, first 2 shown]
	s_mul_i32 s8, s12, s8
	s_ashr_i32 s21, s18, 31
	s_lshl_b64 s[8:9], s[8:9], 3
	s_mov_b32 s20, s18
	s_add_u32 s3, s16, s8
	s_addc_u32 s4, s17, s9
	s_lshl_b64 s[8:9], s[20:21], 3
	s_mul_i32 s6, s6, s7
	s_add_u32 s3, s3, s8
	s_mul_i32 s6, s6, s7
	s_addc_u32 s4, s4, s9
	s_lshl_b32 s8, s6, 2
	s_ashr_i32 s9, s8, 31
	s_lshl_b64 s[8:9], s[8:9], 3
	v_mul_lo_u32 v9, v1, s19
	s_add_u32 s6, s14, s8
	s_addc_u32 s8, s15, s9
	s_and_b32 s1, 0xffff, s1
	s_cmp_gt_u32 s1, 1
	s_cbranch_scc0 .LBB96_11
; %bb.8:
	v_mul_lo_u32 v8, v1, s19
	v_mov_b32_e32 v4, 0
	v_mov_b32_e32 v10, s8
	;; [unrolled: 1-line block ×3, first 2 shown]
	v_add_u32_e32 v5, s0, v8
	v_mov_b32_e32 v3, v0
	s_mov_b32 s0, s7
	v_mov_b32_e32 v2, v4
	v_mov_b32_e32 v1, v4
.LBB96_9:                               ; =>This Inner Loop Header: Depth=1
	v_lshlrev_b64 v[12:13], 3, v[3:4]
	v_ashrrev_i32_e32 v6, 31, v5
	v_lshlrev_b64 v[14:15], 3, v[5:6]
	v_add_co_u32_e32 v12, vcc, s6, v12
	v_addc_co_u32_e32 v13, vcc, v10, v13, vcc
	v_add_co_u32_e32 v14, vcc, s3, v14
	v_addc_co_u32_e32 v15, vcc, v11, v15, vcc
	global_load_dwordx2 v[12:13], v[12:13], off
	s_add_i32 s0, s0, -1
	global_load_dwordx2 v[14:15], v[14:15], off
	v_add_u32_e32 v3, s5, v3
	v_add_u32_e32 v5, 1, v5
	s_cmp_eq_u32 s0, 0
	s_waitcnt vmcnt(0)
	v_mul_f32_e32 v6, v13, v15
	v_mul_f32_e32 v13, v13, v14
	v_fmac_f32_e32 v6, v12, v14
	v_fma_f32 v12, v12, v15, -v13
	v_add_f32_e32 v1, v1, v6
	v_add_f32_e32 v2, v2, v12
	s_cbranch_scc0 .LBB96_9
; %bb.10:
	s_mov_b64 s[0:1], 0
	s_branch .LBB96_12
.LBB96_11:
	s_mov_b64 s[0:1], -1
                                        ; implicit-def: $vgpr2
                                        ; implicit-def: $vgpr8
.LBB96_12:
	s_and_b64 vcc, exec, s[0:1]
	s_cbranch_vccz .LBB96_14
; %bb.13:
	v_mov_b32_e32 v1, 0
	v_mov_b32_e32 v8, v9
	;; [unrolled: 1-line block ×3, first 2 shown]
.LBB96_14:
	s_sub_i32 s0, s2, s10
	s_min_i32 s0, s0, s7
	s_cmp_lt_i32 s0, 1
	s_cbranch_scc1 .LBB96_17
; %bb.15:
	s_mul_i32 s7, s7, s7
	v_lshl_add_u32 v3, s7, 1, v0
	v_add_u32_e32 v5, s10, v8
	v_mov_b32_e32 v4, 0
	v_mov_b32_e32 v0, s8
	;; [unrolled: 1-line block ×3, first 2 shown]
.LBB96_16:                              ; =>This Inner Loop Header: Depth=1
	v_lshlrev_b64 v[10:11], 3, v[3:4]
	v_ashrrev_i32_e32 v6, 31, v5
	v_lshlrev_b64 v[12:13], 3, v[5:6]
	v_add_co_u32_e32 v10, vcc, s6, v10
	v_addc_co_u32_e32 v11, vcc, v0, v11, vcc
	v_add_co_u32_e32 v12, vcc, s3, v12
	v_addc_co_u32_e32 v13, vcc, v9, v13, vcc
	global_load_dwordx2 v[10:11], v[10:11], off
	s_add_i32 s0, s0, -1
	global_load_dwordx2 v[12:13], v[12:13], off
	v_add_u32_e32 v3, s5, v3
	v_add_u32_e32 v5, 1, v5
	s_cmp_lg_u32 s0, 0
	s_waitcnt vmcnt(0)
	v_mul_f32_e32 v6, v11, v13
	v_mul_f32_e32 v11, v11, v12
	v_fmac_f32_e32 v6, v10, v12
	v_fma_f32 v10, v10, v13, -v11
	v_add_f32_e32 v1, v1, v6
	v_add_f32_e32 v2, v2, v10
	s_cbranch_scc1 .LBB96_16
.LBB96_17:
	v_add_u32_e32 v3, v7, v8
	v_ashrrev_i32_e32 v4, 31, v3
	v_lshlrev_b64 v[3:4], 3, v[3:4]
	v_mov_b32_e32 v0, s4
	v_add_co_u32_e32 v3, vcc, s3, v3
	v_addc_co_u32_e32 v4, vcc, v0, v4, vcc
	s_barrier
	global_store_dwordx2 v[3:4], v[1:2], off
	s_endpgm
	.section	.rodata,"a",@progbits
	.p2align	6, 0x0
	.amdhsa_kernel _ZN9rocsolver6v33100L21syevj_offd_rotate_orgILb1E19rocblas_complex_numIfEfPS3_EEvbiiT2_iilPT0_PiS8_S8_
		.amdhsa_group_segment_fixed_size 0
		.amdhsa_private_segment_fixed_size 0
		.amdhsa_kernarg_size 328
		.amdhsa_user_sgpr_count 6
		.amdhsa_user_sgpr_private_segment_buffer 1
		.amdhsa_user_sgpr_dispatch_ptr 0
		.amdhsa_user_sgpr_queue_ptr 0
		.amdhsa_user_sgpr_kernarg_segment_ptr 1
		.amdhsa_user_sgpr_dispatch_id 0
		.amdhsa_user_sgpr_flat_scratch_init 0
		.amdhsa_user_sgpr_private_segment_size 0
		.amdhsa_uses_dynamic_stack 0
		.amdhsa_system_sgpr_private_segment_wavefront_offset 0
		.amdhsa_system_sgpr_workgroup_id_x 1
		.amdhsa_system_sgpr_workgroup_id_y 1
		.amdhsa_system_sgpr_workgroup_id_z 1
		.amdhsa_system_sgpr_workgroup_info 0
		.amdhsa_system_vgpr_workitem_id 1
		.amdhsa_next_free_vgpr 16
		.amdhsa_next_free_sgpr 22
		.amdhsa_reserve_vcc 1
		.amdhsa_reserve_flat_scratch 0
		.amdhsa_float_round_mode_32 0
		.amdhsa_float_round_mode_16_64 0
		.amdhsa_float_denorm_mode_32 3
		.amdhsa_float_denorm_mode_16_64 3
		.amdhsa_dx10_clamp 1
		.amdhsa_ieee_mode 1
		.amdhsa_fp16_overflow 0
		.amdhsa_exception_fp_ieee_invalid_op 0
		.amdhsa_exception_fp_denorm_src 0
		.amdhsa_exception_fp_ieee_div_zero 0
		.amdhsa_exception_fp_ieee_overflow 0
		.amdhsa_exception_fp_ieee_underflow 0
		.amdhsa_exception_fp_ieee_inexact 0
		.amdhsa_exception_int_div_zero 0
	.end_amdhsa_kernel
	.section	.text._ZN9rocsolver6v33100L21syevj_offd_rotate_orgILb1E19rocblas_complex_numIfEfPS3_EEvbiiT2_iilPT0_PiS8_S8_,"axG",@progbits,_ZN9rocsolver6v33100L21syevj_offd_rotate_orgILb1E19rocblas_complex_numIfEfPS3_EEvbiiT2_iilPT0_PiS8_S8_,comdat
.Lfunc_end96:
	.size	_ZN9rocsolver6v33100L21syevj_offd_rotate_orgILb1E19rocblas_complex_numIfEfPS3_EEvbiiT2_iilPT0_PiS8_S8_, .Lfunc_end96-_ZN9rocsolver6v33100L21syevj_offd_rotate_orgILb1E19rocblas_complex_numIfEfPS3_EEvbiiT2_iilPT0_PiS8_S8_
                                        ; -- End function
	.set _ZN9rocsolver6v33100L21syevj_offd_rotate_orgILb1E19rocblas_complex_numIfEfPS3_EEvbiiT2_iilPT0_PiS8_S8_.num_vgpr, 16
	.set _ZN9rocsolver6v33100L21syevj_offd_rotate_orgILb1E19rocblas_complex_numIfEfPS3_EEvbiiT2_iilPT0_PiS8_S8_.num_agpr, 0
	.set _ZN9rocsolver6v33100L21syevj_offd_rotate_orgILb1E19rocblas_complex_numIfEfPS3_EEvbiiT2_iilPT0_PiS8_S8_.numbered_sgpr, 22
	.set _ZN9rocsolver6v33100L21syevj_offd_rotate_orgILb1E19rocblas_complex_numIfEfPS3_EEvbiiT2_iilPT0_PiS8_S8_.num_named_barrier, 0
	.set _ZN9rocsolver6v33100L21syevj_offd_rotate_orgILb1E19rocblas_complex_numIfEfPS3_EEvbiiT2_iilPT0_PiS8_S8_.private_seg_size, 0
	.set _ZN9rocsolver6v33100L21syevj_offd_rotate_orgILb1E19rocblas_complex_numIfEfPS3_EEvbiiT2_iilPT0_PiS8_S8_.uses_vcc, 1
	.set _ZN9rocsolver6v33100L21syevj_offd_rotate_orgILb1E19rocblas_complex_numIfEfPS3_EEvbiiT2_iilPT0_PiS8_S8_.uses_flat_scratch, 0
	.set _ZN9rocsolver6v33100L21syevj_offd_rotate_orgILb1E19rocblas_complex_numIfEfPS3_EEvbiiT2_iilPT0_PiS8_S8_.has_dyn_sized_stack, 0
	.set _ZN9rocsolver6v33100L21syevj_offd_rotate_orgILb1E19rocblas_complex_numIfEfPS3_EEvbiiT2_iilPT0_PiS8_S8_.has_recursion, 0
	.set _ZN9rocsolver6v33100L21syevj_offd_rotate_orgILb1E19rocblas_complex_numIfEfPS3_EEvbiiT2_iilPT0_PiS8_S8_.has_indirect_call, 0
	.section	.AMDGPU.csdata,"",@progbits
; Kernel info:
; codeLenInByte = 800
; TotalNumSgprs: 26
; NumVgprs: 16
; ScratchSize: 0
; MemoryBound: 0
; FloatMode: 240
; IeeeMode: 1
; LDSByteSize: 0 bytes/workgroup (compile time only)
; SGPRBlocks: 3
; VGPRBlocks: 3
; NumSGPRsForWavesPerEU: 26
; NumVGPRsForWavesPerEU: 16
; Occupancy: 10
; WaveLimiterHint : 0
; COMPUTE_PGM_RSRC2:SCRATCH_EN: 0
; COMPUTE_PGM_RSRC2:USER_SGPR: 6
; COMPUTE_PGM_RSRC2:TRAP_HANDLER: 0
; COMPUTE_PGM_RSRC2:TGID_X_EN: 1
; COMPUTE_PGM_RSRC2:TGID_Y_EN: 1
; COMPUTE_PGM_RSRC2:TGID_Z_EN: 1
; COMPUTE_PGM_RSRC2:TIDIG_COMP_CNT: 1
	.section	.text._ZN9rocsolver6v33100L17syevj_offd_rotateILb1E19rocblas_complex_numIfEfPS3_EEvbiiT2_iilPT0_PiS8_S8_i,"axG",@progbits,_ZN9rocsolver6v33100L17syevj_offd_rotateILb1E19rocblas_complex_numIfEfPS3_EEvbiiT2_iilPT0_PiS8_S8_i,comdat
	.globl	_ZN9rocsolver6v33100L17syevj_offd_rotateILb1E19rocblas_complex_numIfEfPS3_EEvbiiT2_iilPT0_PiS8_S8_i ; -- Begin function _ZN9rocsolver6v33100L17syevj_offd_rotateILb1E19rocblas_complex_numIfEfPS3_EEvbiiT2_iilPT0_PiS8_S8_i
	.p2align	8
	.type	_ZN9rocsolver6v33100L17syevj_offd_rotateILb1E19rocblas_complex_numIfEfPS3_EEvbiiT2_iilPT0_PiS8_S8_i,@function
_ZN9rocsolver6v33100L17syevj_offd_rotateILb1E19rocblas_complex_numIfEfPS3_EEvbiiT2_iilPT0_PiS8_S8_i: ; @_ZN9rocsolver6v33100L17syevj_offd_rotateILb1E19rocblas_complex_numIfEfPS3_EEvbiiT2_iilPT0_PiS8_S8_i
; %bb.0:
	s_load_dwordx4 s[20:23], s[4:5], 0x0
	s_load_dword s33, s[4:5], 0x48
	s_waitcnt lgkmcnt(0)
	s_abs_i32 s2, s21
	v_cvt_f32_u32_e32 v2, s2
	s_cmp_ge_u32 s8, s33
	v_rcp_iflag_f32_e32 v2, v2
	v_mul_f32_e32 v2, 0x4f7ffffe, v2
	v_cvt_u32_f32_e32 v2, v2
	v_readfirstlane_b32 s3, v2
	s_cbranch_scc1 .LBB97_36
; %bb.1:
	s_sub_i32 s10, 0, s2
	s_mov_b64 s[0:1], src_shared_base
	s_mul_i32 s10, s10, s3
	s_add_i32 s0, s22, -1
	s_mul_hi_u32 s10, s3, s10
	s_ashr_i32 s9, s0, 31
	s_ashr_i32 s24, s21, 31
	s_abs_i32 s0, s0
	s_add_i32 s3, s3, s10
	s_bitcmp1_b32 s20, 0
	s_mul_hi_u32 s3, s0, s3
	s_cselect_b64 s[10:11], -1, 0
	v_cndmask_b32_e64 v6, 0, 1, s[10:11]
	s_xor_b64 s[34:35], s[10:11], -1
	s_mul_i32 s10, s3, s2
	s_sub_i32 s0, s0, s10
	s_xor_b32 s9, s9, s24
	s_add_i32 s10, s3, 1
	s_sub_i32 s11, s0, s2
	s_cmp_ge_u32 s0, s2
	s_cselect_b32 s3, s10, s3
	s_cselect_b32 s0, s11, s0
	s_add_i32 s10, s3, 1
	s_cmp_ge_u32 s0, s2
	s_cselect_b32 s0, s10, s3
	s_xor_b32 s0, s0, s9
	s_sub_i32 s20, s0, s9
	s_add_i32 s48, s20, 1
	s_lshr_b32 s0, s48, 31
	s_add_i32 s0, s48, s0
	s_and_b32 s0, s0, -2
	s_sub_i32 s0, s48, s0
	s_load_dwordx4 s[28:31], s[4:5], 0x10
	s_load_dwordx8 s[12:19], s[4:5], 0x20
	s_load_dwordx2 s[36:37], s[4:5], 0x40
	s_load_dwordx4 s[24:27], s[4:5], 0x50
	s_add_i32 s0, s0, s48
	s_lshr_b32 s2, s0, 31
	s_add_i32 s0, s0, s2
	s_lshl_b32 s51, s21, 1
	s_ashr_i32 s49, s0, 1
	s_mul_i32 s0, s51, s21
	s_lshl_b32 s2, s0, 3
	s_waitcnt lgkmcnt(0)
	s_lshr_b32 s50, s27, 16
	s_and_b32 s27, s27, 0xffff
	s_add_i32 s52, s2, 0
	s_mul_i32 s0, s0, 3
	s_cmpk_lt_u32 s0, 0x2001
	s_mul_i32 s9, s21, s21
	s_cselect_b64 s[38:39], -1, 0
	s_ashr_i32 s3, s30, 31
	s_lshl_b32 s54, s9, 2
	s_cmp_lt_u32 s6, s49
	s_mul_i32 s0, s20, s21
	s_cselect_b64 s[4:5], -1, 0
	s_sub_i32 s55, s22, s0
	s_mov_b32 s2, s30
	s_cmp_lt_u32 s7, s48
	s_cselect_b64 s[40:41], -1, 0
	s_ashr_i32 s57, s31, 31
	s_lshl_b64 s[2:3], s[2:3], 3
	s_add_u32 s59, s28, s2
	s_addc_u32 s60, s29, s3
	s_lshl_b32 s2, s9, 4
	v_mad_u32_u24 v7, v1, s27, v0
	s_mul_i32 s56, s50, s27
	s_add_i32 s2, s2, 0
	v_cndmask_b32_e64 v2, 0, 1, s[4:5]
	s_mov_b32 s23, 0
	s_mov_b32 s53, s1
	v_cmp_gt_u32_e64 s[0:1], s54, v7
	s_mov_b32 s58, s31
	v_lshl_add_u32 v8, v7, 3, s2
	s_lshl_b32 s61, s56, 3
	v_lshl_add_u32 v9, v0, 3, 0
	v_lshlrev_b32_e32 v10, 3, v1
	s_lshl_b32 s62, s50, 3
	s_lshl_b32 s63, s27, 3
	v_mov_b32_e32 v3, 0
	v_cmp_ne_u32_e64 s[2:3], 1, v2
	s_branch .LBB97_3
.LBB97_2:                               ;   in Loop: Header=BB97_3 Depth=1
	s_add_i32 s8, s8, s26
	s_cmp_ge_u32 s8, s33
	s_cbranch_scc1 .LBB97_36
.LBB97_3:                               ; =>This Loop Header: Depth=1
                                        ;     Child Loop BB97_7 Depth 2
                                        ;       Child Loop BB97_11 Depth 3
                                        ;       Child Loop BB97_17 Depth 3
                                        ;         Child Loop BB97_23 Depth 4
                                        ;           Child Loop BB97_25 Depth 5
                                        ;         Child Loop BB97_29 Depth 4
                                        ;           Child Loop BB97_33 Depth 5
                                        ;             Child Loop BB97_35 Depth 6
	s_mov_b32 s9, s23
	s_lshl_b64 s[4:5], s[8:9], 2
	s_add_u32 s4, s36, s4
	s_addc_u32 s5, s37, s5
	global_load_dword v2, v3, s[4:5] offset:4
	s_waitcnt vmcnt(0)
	v_cmp_ne_u32_e32 vcc, 0, v2
	s_cbranch_vccnz .LBB97_2
; %bb.4:                                ;   in Loop: Header=BB97_3 Depth=1
	s_and_b64 vcc, exec, s[2:3]
	s_cbranch_vccnz .LBB97_2
; %bb.5:                                ;   in Loop: Header=BB97_3 Depth=1
	s_mul_i32 s4, s13, s8
	s_mul_hi_u32 s5, s12, s8
	s_add_i32 s5, s5, s4
	s_mul_i32 s4, s12, s8
	s_lshl_b64 s[4:5], s[4:5], 3
	s_add_u32 s9, s59, s4
	s_addc_u32 s64, s60, s5
	s_mul_i32 s65, s8, s49
	s_mov_b32 s22, s6
	s_branch .LBB97_7
.LBB97_6:                               ;   in Loop: Header=BB97_7 Depth=2
	s_add_i32 s22, s22, s24
	s_cmp_lt_u32 s22, s49
	s_cbranch_scc0 .LBB97_2
.LBB97_7:                               ;   Parent Loop BB97_3 Depth=1
                                        ; =>  This Loop Header: Depth=2
                                        ;       Child Loop BB97_11 Depth 3
                                        ;       Child Loop BB97_17 Depth 3
                                        ;         Child Loop BB97_23 Depth 4
                                        ;           Child Loop BB97_25 Depth 5
                                        ;         Child Loop BB97_29 Depth 4
                                        ;           Child Loop BB97_33 Depth 5
                                        ;             Child Loop BB97_35 Depth 6
	s_lshl_b64 s[4:5], s[22:23], 2
	s_add_u32 s10, s16, s4
	s_addc_u32 s11, s17, s5
	s_add_u32 s4, s18, s4
	s_addc_u32 s5, s19, s5
	global_load_dword v2, v3, s[4:5]
	global_load_dword v4, v3, s[10:11]
	s_waitcnt vmcnt(1)
	v_readfirstlane_b32 s28, v2
	s_waitcnt vmcnt(0)
	v_readfirstlane_b32 s29, v4
	s_max_i32 s66, s29, s28
	s_cmp_gt_i32 s66, s20
	s_cbranch_scc1 .LBB97_6
; %bb.8:                                ;   in Loop: Header=BB97_7 Depth=2
	s_add_i32 s4, s22, s65
	s_mul_i32 s4, s54, s4
	s_mov_b32 s5, s23
	s_lshl_b64 s[4:5], s[4:5], 3
	s_add_u32 s30, s14, s4
	s_addc_u32 s31, s15, s5
	s_andn2_b64 vcc, exec, s[38:39]
	s_cbranch_vccnz .LBB97_13
; %bb.9:                                ;   in Loop: Header=BB97_7 Depth=2
	s_barrier
	s_and_saveexec_b64 s[4:5], s[0:1]
	s_cbranch_execz .LBB97_12
; %bb.10:                               ;   in Loop: Header=BB97_7 Depth=2
	s_mov_b64 s[10:11], 0
	v_mov_b32_e32 v4, s31
	v_mov_b32_e32 v5, v8
	v_mov_b32_e32 v2, v7
.LBB97_11:                              ;   Parent Loop BB97_3 Depth=1
                                        ;     Parent Loop BB97_7 Depth=2
                                        ; =>    This Inner Loop Header: Depth=3
	v_lshlrev_b64 v[11:12], 3, v[2:3]
	v_add_u32_e32 v2, s56, v2
	v_add_co_u32_e32 v11, vcc, s30, v11
	v_addc_co_u32_e32 v12, vcc, v4, v12, vcc
	global_load_dwordx2 v[11:12], v[11:12], off
	v_cmp_le_u32_e32 vcc, s54, v2
	s_or_b64 s[10:11], vcc, s[10:11]
	s_waitcnt vmcnt(0)
	ds_write_b64 v5, v[11:12]
	v_add_u32_e32 v5, s61, v5
	s_andn2_b64 exec, exec, s[10:11]
	s_cbranch_execnz .LBB97_11
.LBB97_12:                              ;   in Loop: Header=BB97_7 Depth=2
	s_or_b64 exec, exec, s[4:5]
	s_waitcnt lgkmcnt(0)
	s_barrier
.LBB97_13:                              ;   in Loop: Header=BB97_7 Depth=2
	s_andn2_b64 vcc, exec, s[40:41]
	s_cbranch_vccnz .LBB97_6
; %bb.14:                               ;   in Loop: Header=BB97_7 Depth=2
	s_min_i32 s67, s28, s29
	s_cmp_eq_u32 s67, s20
	s_cselect_b32 s69, s55, s21
	s_cmp_eq_u32 s66, s20
	s_cselect_b32 s4, s55, s21
	s_add_i32 s70, s69, s4
	v_mul_lo_u32 v2, v10, s70
	s_mul_i32 s10, s66, s21
	s_and_b64 s[4:5], s[38:39], exec
	s_cselect_b32 s71, s53, s31
	s_cselect_b32 s72, s52, s30
	s_sub_i32 s73, s10, s69
	s_cmp_gt_i32 s70, 0
	s_mul_i32 s68, s67, s21
	v_cmp_gt_u32_e64 s[4:5], s70, v0
	s_cselect_b64 s[28:29], -1, 0
	v_add_u32_e32 v11, v9, v2
	s_mul_i32 s74, s62, s70
	v_add_u32_e32 v12, 0, v2
	s_mov_b32 s75, s7
	s_branch .LBB97_17
.LBB97_15:                              ;   in Loop: Header=BB97_17 Depth=3
	s_or_b64 exec, exec, s[10:11]
	s_waitcnt vmcnt(0)
	s_barrier
.LBB97_16:                              ;   in Loop: Header=BB97_17 Depth=3
	s_add_i32 s75, s75, s25
	s_cmp_lt_u32 s75, s48
	s_cbranch_scc0 .LBB97_6
.LBB97_17:                              ;   Parent Loop BB97_3 Depth=1
                                        ;     Parent Loop BB97_7 Depth=2
                                        ; =>    This Loop Header: Depth=3
                                        ;         Child Loop BB97_23 Depth 4
                                        ;           Child Loop BB97_25 Depth 5
                                        ;         Child Loop BB97_29 Depth 4
                                        ;           Child Loop BB97_33 Depth 5
                                        ;             Child Loop BB97_35 Depth 6
	v_cmp_ne_u32_e32 vcc, 1, v6
	s_mov_b64 s[10:11], s[34:35]
	s_cbranch_vccz .LBB97_19
; %bb.18:                               ;   in Loop: Header=BB97_17 Depth=3
	s_andn2_b64 vcc, exec, s[10:11]
	s_cbranch_vccnz .LBB97_16
	s_branch .LBB97_20
.LBB97_19:                              ;   in Loop: Header=BB97_17 Depth=3
	s_cmp_lg_u32 s75, s67
	s_cselect_b64 s[10:11], -1, 0
	s_cmp_lg_u32 s75, s66
	s_cselect_b64 s[30:31], -1, 0
	s_and_b64 s[10:11], s[10:11], s[30:31]
	s_andn2_b64 vcc, exec, s[10:11]
	s_cbranch_vccnz .LBB97_16
.LBB97_20:                              ;   in Loop: Header=BB97_17 Depth=3
	s_cmp_eq_u32 s75, s20
	s_cselect_b32 s77, s55, s21
	s_mul_i32 s76, s75, s21
	v_cmp_gt_u32_e32 vcc, s77, v1
	s_barrier
	s_and_saveexec_b64 s[30:31], vcc
	s_cbranch_execz .LBB97_26
; %bb.21:                               ;   in Loop: Header=BB97_17 Depth=3
	s_mov_b64 s[42:43], 0
	v_mov_b32_e32 v4, v11
	v_mov_b32_e32 v5, v1
	s_branch .LBB97_23
.LBB97_22:                              ;   in Loop: Header=BB97_23 Depth=4
	s_or_b64 exec, exec, s[44:45]
	v_add_u32_e32 v5, s50, v5
	v_cmp_le_u32_e64 s[10:11], s77, v5
	s_or_b64 s[42:43], s[10:11], s[42:43]
	v_add_u32_e32 v4, s74, v4
	s_andn2_b64 exec, exec, s[42:43]
	s_cbranch_execz .LBB97_26
.LBB97_23:                              ;   Parent Loop BB97_3 Depth=1
                                        ;     Parent Loop BB97_7 Depth=2
                                        ;       Parent Loop BB97_17 Depth=3
                                        ; =>      This Loop Header: Depth=4
                                        ;           Child Loop BB97_25 Depth 5
	s_and_saveexec_b64 s[44:45], s[4:5]
	s_cbranch_execz .LBB97_22
; %bb.24:                               ;   in Loop: Header=BB97_23 Depth=4
	v_add_u32_e32 v15, s76, v5
	v_mad_u64_u32 v[13:14], s[10:11], v15, s58, 0
	s_mov_b64 s[46:47], 0
	v_mov_b32_e32 v16, v0
	v_mov_b32_e32 v2, v14
	v_mad_u64_u32 v[14:15], s[10:11], v15, s57, v[2:3]
	v_mov_b32_e32 v2, s64
	v_mov_b32_e32 v15, v4
	v_lshlrev_b64 v[13:14], 3, v[13:14]
	v_add_co_u32_e64 v13, s[10:11], s9, v13
	v_addc_co_u32_e64 v14, s[10:11], v2, v14, s[10:11]
.LBB97_25:                              ;   Parent Loop BB97_3 Depth=1
                                        ;     Parent Loop BB97_7 Depth=2
                                        ;       Parent Loop BB97_17 Depth=3
                                        ;         Parent Loop BB97_23 Depth=4
                                        ; =>        This Inner Loop Header: Depth=5
	v_mov_b32_e32 v2, s73
	v_mov_b32_e32 v17, s68
	v_cmp_gt_u32_e64 s[10:11], s69, v16
	v_cndmask_b32_e64 v2, v2, v17, s[10:11]
	v_add_u32_e32 v2, v2, v16
	v_lshlrev_b64 v[17:18], 3, v[2:3]
	v_add_u32_e32 v16, s27, v16
	v_add_co_u32_e64 v17, s[10:11], v13, v17
	v_addc_co_u32_e64 v18, s[10:11], v14, v18, s[10:11]
	global_load_dwordx2 v[17:18], v[17:18], off
	v_cmp_le_u32_e64 s[10:11], s70, v16
	s_or_b64 s[46:47], s[10:11], s[46:47]
	s_waitcnt vmcnt(0)
	ds_write_b64 v15, v[17:18]
	v_add_u32_e32 v15, s63, v15
	s_andn2_b64 exec, exec, s[46:47]
	s_cbranch_execnz .LBB97_25
	s_branch .LBB97_22
.LBB97_26:                              ;   in Loop: Header=BB97_17 Depth=3
	s_or_b64 exec, exec, s[30:31]
	s_waitcnt lgkmcnt(0)
	s_barrier
	s_and_saveexec_b64 s[10:11], vcc
	s_cbranch_execz .LBB97_15
; %bb.27:                               ;   in Loop: Header=BB97_17 Depth=3
	s_mov_b64 s[30:31], 0
	v_mov_b32_e32 v13, v12
	v_mov_b32_e32 v14, v1
	s_branch .LBB97_29
.LBB97_28:                              ;   in Loop: Header=BB97_29 Depth=4
	s_or_b64 exec, exec, s[42:43]
	v_add_u32_e32 v14, s50, v14
	v_cmp_le_u32_e32 vcc, s77, v14
	s_or_b64 s[30:31], vcc, s[30:31]
	v_add_u32_e32 v13, s74, v13
	s_andn2_b64 exec, exec, s[30:31]
	s_cbranch_execz .LBB97_15
.LBB97_29:                              ;   Parent Loop BB97_3 Depth=1
                                        ;     Parent Loop BB97_7 Depth=2
                                        ;       Parent Loop BB97_17 Depth=3
                                        ; =>      This Loop Header: Depth=4
                                        ;           Child Loop BB97_33 Depth 5
                                        ;             Child Loop BB97_35 Depth 6
	s_and_saveexec_b64 s[42:43], s[4:5]
	s_cbranch_execz .LBB97_28
; %bb.30:                               ;   in Loop: Header=BB97_29 Depth=4
	v_add_u32_e32 v15, s76, v14
	v_mad_u64_u32 v[4:5], s[44:45], v15, s58, 0
	v_mov_b32_e32 v17, v0
	v_mov_b32_e32 v2, v5
	v_mad_u64_u32 v[15:16], s[44:45], v15, s57, v[2:3]
	v_mov_b32_e32 v2, s64
	s_mov_b64 s[44:45], 0
	v_mov_b32_e32 v5, v15
	v_lshlrev_b64 v[4:5], 3, v[4:5]
	v_add_co_u32_e32 v15, vcc, s9, v4
	v_addc_co_u32_e32 v16, vcc, v2, v5, vcc
	s_branch .LBB97_33
.LBB97_31:                              ;   in Loop: Header=BB97_33 Depth=5
	v_mov_b32_e32 v4, v5
.LBB97_32:                              ;   in Loop: Header=BB97_33 Depth=5
	v_mov_b32_e32 v2, s73
	v_mov_b32_e32 v18, s68
	v_cmp_gt_u32_e32 vcc, s69, v17
	v_cndmask_b32_e32 v2, v2, v18, vcc
	v_add_u32_e32 v2, v17, v2
	v_lshlrev_b64 v[18:19], 3, v[2:3]
	v_add_u32_e32 v17, s27, v17
	v_add_co_u32_e32 v18, vcc, v15, v18
	v_addc_co_u32_e32 v19, vcc, v16, v19, vcc
	v_cmp_le_u32_e32 vcc, s70, v17
	s_or_b64 s[44:45], vcc, s[44:45]
	global_store_dwordx2 v[18:19], v[4:5], off
	s_andn2_b64 exec, exec, s[44:45]
	s_cbranch_execz .LBB97_28
.LBB97_33:                              ;   Parent Loop BB97_3 Depth=1
                                        ;     Parent Loop BB97_7 Depth=2
                                        ;       Parent Loop BB97_17 Depth=3
                                        ;         Parent Loop BB97_29 Depth=4
                                        ; =>        This Loop Header: Depth=5
                                        ;             Child Loop BB97_35 Depth 6
	v_mov_b32_e32 v5, 0
	s_andn2_b64 vcc, exec, s[28:29]
	s_cbranch_vccnz .LBB97_31
; %bb.34:                               ;   in Loop: Header=BB97_33 Depth=5
	v_mov_b32_e32 v2, v17
	s_mov_b32 s46, s70
	v_mov_b32_e32 v18, v13
	v_mov_b32_e32 v4, v5
.LBB97_35:                              ;   Parent Loop BB97_3 Depth=1
                                        ;     Parent Loop BB97_7 Depth=2
                                        ;       Parent Loop BB97_17 Depth=3
                                        ;         Parent Loop BB97_29 Depth=4
                                        ;           Parent Loop BB97_33 Depth=5
                                        ; =>          This Inner Loop Header: Depth=6
	v_lshlrev_b64 v[19:20], 3, v[2:3]
	v_mov_b32_e32 v21, s71
	v_add_co_u32_e32 v19, vcc, s72, v19
	v_addc_co_u32_e32 v20, vcc, v21, v20, vcc
	flat_load_dwordx2 v[19:20], v[19:20]
	ds_read_b64 v[21:22], v18
	s_add_i32 s46, s46, -1
	v_add_u32_e32 v18, 8, v18
	v_add_u32_e32 v2, s51, v2
	s_cmp_eq_u32 s46, 0
	s_waitcnt vmcnt(0) lgkmcnt(0)
	v_mul_f32_e32 v23, v20, v22
	v_mul_f32_e32 v20, v20, v21
	v_fmac_f32_e32 v23, v19, v21
	v_fma_f32 v19, v19, v22, -v20
	v_add_f32_e32 v4, v4, v23
	v_add_f32_e32 v5, v5, v19
	s_cbranch_scc0 .LBB97_35
	s_branch .LBB97_32
.LBB97_36:
	s_endpgm
	.section	.rodata,"a",@progbits
	.p2align	6, 0x0
	.amdhsa_kernel _ZN9rocsolver6v33100L17syevj_offd_rotateILb1E19rocblas_complex_numIfEfPS3_EEvbiiT2_iilPT0_PiS8_S8_i
		.amdhsa_group_segment_fixed_size 0
		.amdhsa_private_segment_fixed_size 0
		.amdhsa_kernarg_size 336
		.amdhsa_user_sgpr_count 6
		.amdhsa_user_sgpr_private_segment_buffer 1
		.amdhsa_user_sgpr_dispatch_ptr 0
		.amdhsa_user_sgpr_queue_ptr 0
		.amdhsa_user_sgpr_kernarg_segment_ptr 1
		.amdhsa_user_sgpr_dispatch_id 0
		.amdhsa_user_sgpr_flat_scratch_init 0
		.amdhsa_user_sgpr_private_segment_size 0
		.amdhsa_uses_dynamic_stack 0
		.amdhsa_system_sgpr_private_segment_wavefront_offset 0
		.amdhsa_system_sgpr_workgroup_id_x 1
		.amdhsa_system_sgpr_workgroup_id_y 1
		.amdhsa_system_sgpr_workgroup_id_z 1
		.amdhsa_system_sgpr_workgroup_info 0
		.amdhsa_system_vgpr_workitem_id 1
		.amdhsa_next_free_vgpr 24
		.amdhsa_next_free_sgpr 78
		.amdhsa_reserve_vcc 1
		.amdhsa_reserve_flat_scratch 0
		.amdhsa_float_round_mode_32 0
		.amdhsa_float_round_mode_16_64 0
		.amdhsa_float_denorm_mode_32 3
		.amdhsa_float_denorm_mode_16_64 3
		.amdhsa_dx10_clamp 1
		.amdhsa_ieee_mode 1
		.amdhsa_fp16_overflow 0
		.amdhsa_exception_fp_ieee_invalid_op 0
		.amdhsa_exception_fp_denorm_src 0
		.amdhsa_exception_fp_ieee_div_zero 0
		.amdhsa_exception_fp_ieee_overflow 0
		.amdhsa_exception_fp_ieee_underflow 0
		.amdhsa_exception_fp_ieee_inexact 0
		.amdhsa_exception_int_div_zero 0
	.end_amdhsa_kernel
	.section	.text._ZN9rocsolver6v33100L17syevj_offd_rotateILb1E19rocblas_complex_numIfEfPS3_EEvbiiT2_iilPT0_PiS8_S8_i,"axG",@progbits,_ZN9rocsolver6v33100L17syevj_offd_rotateILb1E19rocblas_complex_numIfEfPS3_EEvbiiT2_iilPT0_PiS8_S8_i,comdat
.Lfunc_end97:
	.size	_ZN9rocsolver6v33100L17syevj_offd_rotateILb1E19rocblas_complex_numIfEfPS3_EEvbiiT2_iilPT0_PiS8_S8_i, .Lfunc_end97-_ZN9rocsolver6v33100L17syevj_offd_rotateILb1E19rocblas_complex_numIfEfPS3_EEvbiiT2_iilPT0_PiS8_S8_i
                                        ; -- End function
	.set _ZN9rocsolver6v33100L17syevj_offd_rotateILb1E19rocblas_complex_numIfEfPS3_EEvbiiT2_iilPT0_PiS8_S8_i.num_vgpr, 24
	.set _ZN9rocsolver6v33100L17syevj_offd_rotateILb1E19rocblas_complex_numIfEfPS3_EEvbiiT2_iilPT0_PiS8_S8_i.num_agpr, 0
	.set _ZN9rocsolver6v33100L17syevj_offd_rotateILb1E19rocblas_complex_numIfEfPS3_EEvbiiT2_iilPT0_PiS8_S8_i.numbered_sgpr, 78
	.set _ZN9rocsolver6v33100L17syevj_offd_rotateILb1E19rocblas_complex_numIfEfPS3_EEvbiiT2_iilPT0_PiS8_S8_i.num_named_barrier, 0
	.set _ZN9rocsolver6v33100L17syevj_offd_rotateILb1E19rocblas_complex_numIfEfPS3_EEvbiiT2_iilPT0_PiS8_S8_i.private_seg_size, 0
	.set _ZN9rocsolver6v33100L17syevj_offd_rotateILb1E19rocblas_complex_numIfEfPS3_EEvbiiT2_iilPT0_PiS8_S8_i.uses_vcc, 1
	.set _ZN9rocsolver6v33100L17syevj_offd_rotateILb1E19rocblas_complex_numIfEfPS3_EEvbiiT2_iilPT0_PiS8_S8_i.uses_flat_scratch, 0
	.set _ZN9rocsolver6v33100L17syevj_offd_rotateILb1E19rocblas_complex_numIfEfPS3_EEvbiiT2_iilPT0_PiS8_S8_i.has_dyn_sized_stack, 0
	.set _ZN9rocsolver6v33100L17syevj_offd_rotateILb1E19rocblas_complex_numIfEfPS3_EEvbiiT2_iilPT0_PiS8_S8_i.has_recursion, 0
	.set _ZN9rocsolver6v33100L17syevj_offd_rotateILb1E19rocblas_complex_numIfEfPS3_EEvbiiT2_iilPT0_PiS8_S8_i.has_indirect_call, 0
	.section	.AMDGPU.csdata,"",@progbits
; Kernel info:
; codeLenInByte = 1488
; TotalNumSgprs: 82
; NumVgprs: 24
; ScratchSize: 0
; MemoryBound: 0
; FloatMode: 240
; IeeeMode: 1
; LDSByteSize: 0 bytes/workgroup (compile time only)
; SGPRBlocks: 10
; VGPRBlocks: 5
; NumSGPRsForWavesPerEU: 82
; NumVGPRsForWavesPerEU: 24
; Occupancy: 9
; WaveLimiterHint : 1
; COMPUTE_PGM_RSRC2:SCRATCH_EN: 0
; COMPUTE_PGM_RSRC2:USER_SGPR: 6
; COMPUTE_PGM_RSRC2:TRAP_HANDLER: 0
; COMPUTE_PGM_RSRC2:TGID_X_EN: 1
; COMPUTE_PGM_RSRC2:TGID_Y_EN: 1
; COMPUTE_PGM_RSRC2:TGID_Z_EN: 1
; COMPUTE_PGM_RSRC2:TIDIG_COMP_CNT: 1
	.section	.text._ZN9rocsolver6v33100L17syevj_cycle_pairsI19rocblas_complex_numIfEEEviPiS4_,"axG",@progbits,_ZN9rocsolver6v33100L17syevj_cycle_pairsI19rocblas_complex_numIfEEEviPiS4_,comdat
	.globl	_ZN9rocsolver6v33100L17syevj_cycle_pairsI19rocblas_complex_numIfEEEviPiS4_ ; -- Begin function _ZN9rocsolver6v33100L17syevj_cycle_pairsI19rocblas_complex_numIfEEEviPiS4_
	.p2align	8
	.type	_ZN9rocsolver6v33100L17syevj_cycle_pairsI19rocblas_complex_numIfEEEviPiS4_,@function
_ZN9rocsolver6v33100L17syevj_cycle_pairsI19rocblas_complex_numIfEEEviPiS4_: ; @_ZN9rocsolver6v33100L17syevj_cycle_pairsI19rocblas_complex_numIfEEEviPiS4_
; %bb.0:
	s_load_dword s8, s[4:5], 0x0
	s_load_dwordx4 s[0:3], s[4:5], 0x8
	s_load_dword s11, s[4:5], 0x24
	v_cmp_eq_u32_e32 vcc, 0, v0
	s_waitcnt lgkmcnt(0)
	s_add_i32 s9, s8, -1
	s_and_saveexec_b64 s[4:5], vcc
	s_cbranch_execz .LBB98_6
; %bb.1:
	s_lshl_b32 s6, s9, 1
	s_or_b32 s7, s6, 1
	s_bfe_i32 s10, s9, 0x1001e
	s_add_i32 s12, s7, s10
	s_xor_b32 s10, s12, s10
	v_cvt_f32_u32_e32 v1, s10
	s_load_dword s12, s[2:3], 0x0
	s_sub_i32 s14, 0, s10
	v_rcp_iflag_f32_e32 v1, v1
	s_waitcnt lgkmcnt(0)
	s_add_i32 s12, s12, -1
	s_ashr_i32 s13, s12, 31
	v_mul_f32_e32 v1, 0x4f7ffffe, v1
	v_cvt_u32_f32_e32 v1, v1
	s_abs_i32 s12, s12
	v_readfirstlane_b32 s15, v1
	s_mul_i32 s14, s14, s15
	s_mul_hi_u32 s14, s15, s14
	s_add_i32 s15, s15, s14
	s_mul_hi_u32 s14, s12, s15
	s_mul_i32 s14, s14, s10
	s_sub_i32 s12, s12, s14
	s_sub_i32 s14, s12, s10
	s_cmp_ge_u32 s12, s10
	s_cselect_b32 s12, s14, s12
	s_sub_i32 s14, s12, s10
	s_cmp_ge_u32 s12, s10
	s_cselect_b32 s10, s14, s12
	s_xor_b32 s10, s10, s13
	s_sub_i32 s10, s10, s13
	s_bitcmp0_b32 s10, 0
	s_cbranch_scc1 .LBB98_3
; %bb.2:
	s_add_i32 s12, s10, 3
	s_cmp_gt_i32 s12, s6
	s_cselect_b32 s12, s7, s12
	s_cbranch_execz .LBB98_4
	s_branch .LBB98_5
.LBB98_3:
                                        ; implicit-def: $sgpr12
.LBB98_4:
	s_add_i32 s6, s10, -1
	s_cmp_gt_i32 s10, 1
	s_cselect_b32 s12, s6, 2
.LBB98_5:
	v_mov_b32_e32 v1, 0
	v_mov_b32_e32 v2, s12
	global_store_dword v1, v2, s[2:3]
.LBB98_6:
	s_or_b64 exec, exec, s[4:5]
	v_add_u32_e32 v2, 1, v0
	v_cmp_gt_i32_e32 vcc, s8, v2
	s_and_saveexec_b64 s[4:5], vcc
	s_cbranch_execz .LBB98_17
; %bb.7:
	s_lshl_b32 s9, s9, 1
	s_or_b32 s10, s9, 1
	v_cvt_f32_u32_e32 v1, s10
	s_sub_i32 s4, 0, s10
	v_lshlrev_b32_e32 v0, 2, v0
	s_and_b32 s11, 0xffff, s11
	v_rcp_iflag_f32_e32 v1, v1
	v_mov_b32_e32 v3, s1
	s_lshl_b32 s1, s11, 2
	v_mov_b32_e32 v7, s3
	v_mul_f32_e32 v1, 0x4f7ffffe, v1
	v_cvt_u32_f32_e32 v1, v1
	v_mul_lo_u32 v4, s4, v1
	s_mov_b64 s[4:5], 0
	v_mul_hi_u32 v6, v1, v4
	v_add_co_u32_e32 v4, vcc, 4, v0
	v_addc_co_u32_e64 v5, s[6:7], 0, 0, vcc
	v_add_u32_e32 v6, v1, v6
	s_branch .LBB98_9
.LBB98_8:                               ;   in Loop: Header=BB98_9 Depth=1
	s_or_b64 exec, exec, s[6:7]
	v_add_u32_e32 v2, s11, v2
	v_cmp_le_i32_e32 vcc, s8, v2
	s_or_b64 s[4:5], vcc, s[4:5]
	v_add_co_u32_e32 v4, vcc, s1, v4
	v_addc_co_u32_e32 v5, vcc, 0, v5, vcc
	global_store_dword v[0:1], v8, off
	s_andn2_b64 exec, exec, s[4:5]
	s_cbranch_execz .LBB98_17
.LBB98_9:                               ; =>This Inner Loop Header: Depth=1
	v_add_co_u32_e32 v0, vcc, s0, v4
	v_addc_co_u32_e32 v1, vcc, v3, v5, vcc
	global_load_dword v8, v[0:1], off
	s_waitcnt vmcnt(0)
	v_add_u32_e32 v8, -1, v8
	v_sub_u32_e32 v9, 0, v8
	v_max_i32_e32 v9, v8, v9
	v_mul_hi_u32 v10, v9, v6
	v_ashrrev_i32_e32 v8, 31, v8
	v_mul_lo_u32 v10, v10, s10
	v_sub_u32_e32 v9, v9, v10
	v_subrev_u32_e32 v10, s10, v9
	v_cmp_le_u32_e32 vcc, s10, v9
	v_cndmask_b32_e32 v9, v9, v10, vcc
	v_subrev_u32_e32 v10, s10, v9
	v_cmp_le_u32_e32 vcc, s10, v9
	v_cndmask_b32_e32 v9, v9, v10, vcc
	v_xor_b32_e32 v9, v9, v8
	v_sub_u32_e32 v9, v9, v8
	v_and_b32_e32 v8, 1, v9
	v_cmp_eq_u32_e32 vcc, 1, v8
                                        ; implicit-def: $vgpr8
	s_and_saveexec_b64 s[6:7], vcc
	s_xor_b64 s[6:7], exec, s[6:7]
; %bb.10:                               ;   in Loop: Header=BB98_9 Depth=1
	v_add_u32_e32 v8, 3, v9
	v_mov_b32_e32 v9, s10
	v_cmp_lt_i32_e32 vcc, s9, v8
	v_cndmask_b32_e32 v8, v8, v9, vcc
                                        ; implicit-def: $vgpr9
; %bb.11:                               ;   in Loop: Header=BB98_9 Depth=1
	s_andn2_saveexec_b64 s[6:7], s[6:7]
; %bb.12:                               ;   in Loop: Header=BB98_9 Depth=1
	v_add_u32_e32 v8, -1, v9
	v_cmp_lt_i32_e32 vcc, 1, v9
	v_cndmask_b32_e32 v8, 2, v8, vcc
; %bb.13:                               ;   in Loop: Header=BB98_9 Depth=1
	s_or_b64 exec, exec, s[6:7]
	global_store_dword v[0:1], v8, off
	v_add_co_u32_e32 v0, vcc, s2, v4
	v_addc_co_u32_e32 v1, vcc, v7, v5, vcc
	global_load_dword v8, v[0:1], off
	s_waitcnt vmcnt(0)
	v_add_u32_e32 v8, -1, v8
	v_sub_u32_e32 v9, 0, v8
	v_max_i32_e32 v9, v8, v9
	v_mul_hi_u32 v10, v9, v6
	v_ashrrev_i32_e32 v8, 31, v8
	v_mul_lo_u32 v10, v10, s10
	v_sub_u32_e32 v9, v9, v10
	v_subrev_u32_e32 v10, s10, v9
	v_cmp_le_u32_e32 vcc, s10, v9
	v_cndmask_b32_e32 v9, v9, v10, vcc
	v_subrev_u32_e32 v10, s10, v9
	v_cmp_le_u32_e32 vcc, s10, v9
	v_cndmask_b32_e32 v9, v9, v10, vcc
	v_xor_b32_e32 v9, v9, v8
	v_sub_u32_e32 v9, v9, v8
	v_and_b32_e32 v8, 1, v9
	v_cmp_eq_u32_e32 vcc, 1, v8
                                        ; implicit-def: $vgpr8
	s_and_saveexec_b64 s[6:7], vcc
	s_xor_b64 s[6:7], exec, s[6:7]
; %bb.14:                               ;   in Loop: Header=BB98_9 Depth=1
	v_add_u32_e32 v8, 3, v9
	v_mov_b32_e32 v9, s10
	v_cmp_lt_i32_e32 vcc, s9, v8
	v_cndmask_b32_e32 v8, v8, v9, vcc
                                        ; implicit-def: $vgpr9
; %bb.15:                               ;   in Loop: Header=BB98_9 Depth=1
	s_andn2_saveexec_b64 s[6:7], s[6:7]
	s_cbranch_execz .LBB98_8
; %bb.16:                               ;   in Loop: Header=BB98_9 Depth=1
	v_add_u32_e32 v8, -1, v9
	v_cmp_lt_i32_e32 vcc, 1, v9
	v_cndmask_b32_e32 v8, 2, v8, vcc
	s_branch .LBB98_8
.LBB98_17:
	s_endpgm
	.section	.rodata,"a",@progbits
	.p2align	6, 0x0
	.amdhsa_kernel _ZN9rocsolver6v33100L17syevj_cycle_pairsI19rocblas_complex_numIfEEEviPiS4_
		.amdhsa_group_segment_fixed_size 0
		.amdhsa_private_segment_fixed_size 0
		.amdhsa_kernarg_size 280
		.amdhsa_user_sgpr_count 6
		.amdhsa_user_sgpr_private_segment_buffer 1
		.amdhsa_user_sgpr_dispatch_ptr 0
		.amdhsa_user_sgpr_queue_ptr 0
		.amdhsa_user_sgpr_kernarg_segment_ptr 1
		.amdhsa_user_sgpr_dispatch_id 0
		.amdhsa_user_sgpr_flat_scratch_init 0
		.amdhsa_user_sgpr_private_segment_size 0
		.amdhsa_uses_dynamic_stack 0
		.amdhsa_system_sgpr_private_segment_wavefront_offset 0
		.amdhsa_system_sgpr_workgroup_id_x 1
		.amdhsa_system_sgpr_workgroup_id_y 0
		.amdhsa_system_sgpr_workgroup_id_z 0
		.amdhsa_system_sgpr_workgroup_info 0
		.amdhsa_system_vgpr_workitem_id 0
		.amdhsa_next_free_vgpr 11
		.amdhsa_next_free_sgpr 16
		.amdhsa_reserve_vcc 1
		.amdhsa_reserve_flat_scratch 0
		.amdhsa_float_round_mode_32 0
		.amdhsa_float_round_mode_16_64 0
		.amdhsa_float_denorm_mode_32 3
		.amdhsa_float_denorm_mode_16_64 3
		.amdhsa_dx10_clamp 1
		.amdhsa_ieee_mode 1
		.amdhsa_fp16_overflow 0
		.amdhsa_exception_fp_ieee_invalid_op 0
		.amdhsa_exception_fp_denorm_src 0
		.amdhsa_exception_fp_ieee_div_zero 0
		.amdhsa_exception_fp_ieee_overflow 0
		.amdhsa_exception_fp_ieee_underflow 0
		.amdhsa_exception_fp_ieee_inexact 0
		.amdhsa_exception_int_div_zero 0
	.end_amdhsa_kernel
	.section	.text._ZN9rocsolver6v33100L17syevj_cycle_pairsI19rocblas_complex_numIfEEEviPiS4_,"axG",@progbits,_ZN9rocsolver6v33100L17syevj_cycle_pairsI19rocblas_complex_numIfEEEviPiS4_,comdat
.Lfunc_end98:
	.size	_ZN9rocsolver6v33100L17syevj_cycle_pairsI19rocblas_complex_numIfEEEviPiS4_, .Lfunc_end98-_ZN9rocsolver6v33100L17syevj_cycle_pairsI19rocblas_complex_numIfEEEviPiS4_
                                        ; -- End function
	.set _ZN9rocsolver6v33100L17syevj_cycle_pairsI19rocblas_complex_numIfEEEviPiS4_.num_vgpr, 11
	.set _ZN9rocsolver6v33100L17syevj_cycle_pairsI19rocblas_complex_numIfEEEviPiS4_.num_agpr, 0
	.set _ZN9rocsolver6v33100L17syevj_cycle_pairsI19rocblas_complex_numIfEEEviPiS4_.numbered_sgpr, 16
	.set _ZN9rocsolver6v33100L17syevj_cycle_pairsI19rocblas_complex_numIfEEEviPiS4_.num_named_barrier, 0
	.set _ZN9rocsolver6v33100L17syevj_cycle_pairsI19rocblas_complex_numIfEEEviPiS4_.private_seg_size, 0
	.set _ZN9rocsolver6v33100L17syevj_cycle_pairsI19rocblas_complex_numIfEEEviPiS4_.uses_vcc, 1
	.set _ZN9rocsolver6v33100L17syevj_cycle_pairsI19rocblas_complex_numIfEEEviPiS4_.uses_flat_scratch, 0
	.set _ZN9rocsolver6v33100L17syevj_cycle_pairsI19rocblas_complex_numIfEEEviPiS4_.has_dyn_sized_stack, 0
	.set _ZN9rocsolver6v33100L17syevj_cycle_pairsI19rocblas_complex_numIfEEEviPiS4_.has_recursion, 0
	.set _ZN9rocsolver6v33100L17syevj_cycle_pairsI19rocblas_complex_numIfEEEviPiS4_.has_indirect_call, 0
	.section	.AMDGPU.csdata,"",@progbits
; Kernel info:
; codeLenInByte = 684
; TotalNumSgprs: 20
; NumVgprs: 11
; ScratchSize: 0
; MemoryBound: 0
; FloatMode: 240
; IeeeMode: 1
; LDSByteSize: 0 bytes/workgroup (compile time only)
; SGPRBlocks: 2
; VGPRBlocks: 2
; NumSGPRsForWavesPerEU: 20
; NumVGPRsForWavesPerEU: 11
; Occupancy: 10
; WaveLimiterHint : 0
; COMPUTE_PGM_RSRC2:SCRATCH_EN: 0
; COMPUTE_PGM_RSRC2:USER_SGPR: 6
; COMPUTE_PGM_RSRC2:TRAP_HANDLER: 0
; COMPUTE_PGM_RSRC2:TGID_X_EN: 1
; COMPUTE_PGM_RSRC2:TGID_Y_EN: 0
; COMPUTE_PGM_RSRC2:TGID_Z_EN: 0
; COMPUTE_PGM_RSRC2:TIDIG_COMP_CNT: 0
	.section	.text._ZN9rocsolver6v33100L15syevj_calc_normI19rocblas_complex_numIfEfEEviiPT0_PT_S5_Pi,"axG",@progbits,_ZN9rocsolver6v33100L15syevj_calc_normI19rocblas_complex_numIfEfEEviiPT0_PT_S5_Pi,comdat
	.globl	_ZN9rocsolver6v33100L15syevj_calc_normI19rocblas_complex_numIfEfEEviiPT0_PT_S5_Pi ; -- Begin function _ZN9rocsolver6v33100L15syevj_calc_normI19rocblas_complex_numIfEfEEviiPT0_PT_S5_Pi
	.p2align	8
	.type	_ZN9rocsolver6v33100L15syevj_calc_normI19rocblas_complex_numIfEfEEviiPT0_PT_S5_Pi,@function
_ZN9rocsolver6v33100L15syevj_calc_normI19rocblas_complex_numIfEfEEviiPT0_PT_S5_Pi: ; @_ZN9rocsolver6v33100L15syevj_calc_normI19rocblas_complex_numIfEfEEviiPT0_PT_S5_Pi
; %bb.0:
	s_load_dwordx8 s[8:15], s[4:5], 0x8
	s_mov_b32 s16, s7
	s_ashr_i32 s17, s7, 31
	s_lshl_b64 s[6:7], s[16:17], 2
	s_waitcnt lgkmcnt(0)
	s_add_u32 s0, s14, s6
	s_addc_u32 s1, s15, s7
	s_load_dword s2, s[0:1], 0x4
	s_waitcnt lgkmcnt(0)
	s_cmp_lg_u32 s2, 0
	s_cbranch_scc0 .LBB99_2
.LBB99_1:
	s_endpgm
.LBB99_2:
	s_load_dword s17, s[4:5], 0x34
	s_load_dwordx2 s[2:3], s[4:5], 0x0
	v_mov_b32_e32 v5, 0
	s_waitcnt lgkmcnt(0)
	s_and_b32 s22, s17, 0xffff
	v_cmp_gt_i32_e32 vcc, s2, v0
	s_and_saveexec_b64 s[4:5], vcc
	s_cbranch_execz .LBB99_10
; %bb.3:
	s_mul_i32 s16, s2, s16
	s_mul_i32 s16, s16, s2
	s_ashr_i32 s17, s16, 31
	s_lshl_b64 s[16:17], s[16:17], 3
	s_add_u32 s10, s10, s16
	v_lshlrev_b32_e32 v1, 3, v0
	s_addc_u32 s11, s11, s17
	v_mov_b32_e32 v2, s11
	v_add_co_u32_e32 v1, vcc, s10, v1
	v_addc_co_u32_e32 v2, vcc, 0, v2, vcc
	v_add_co_u32_e32 v1, vcc, 4, v1
	s_ashr_i32 s11, s2, 31
	s_mov_b32 s10, s2
	v_mov_b32_e32 v5, 0
	v_addc_co_u32_e32 v2, vcc, 0, v2, vcc
	s_lshl_b32 s23, s22, 3
	s_lshl_b64 s[16:17], s[10:11], 3
	s_mov_b64 s[10:11], 0
	v_mov_b32_e32 v6, v0
	s_branch .LBB99_6
.LBB99_4:                               ;   in Loop: Header=BB99_6 Depth=1
	s_or_b64 exec, exec, s[20:21]
.LBB99_5:                               ;   in Loop: Header=BB99_6 Depth=1
	s_or_b64 exec, exec, s[18:19]
	v_add_u32_e32 v6, s22, v6
	v_cmp_le_i32_e32 vcc, s2, v6
	s_or_b64 s[10:11], vcc, s[10:11]
	v_add_co_u32_e32 v1, vcc, s23, v1
	v_addc_co_u32_e32 v2, vcc, 0, v2, vcc
	s_andn2_b64 exec, exec, s[10:11]
	s_cbranch_execz .LBB99_9
.LBB99_6:                               ; =>This Loop Header: Depth=1
                                        ;     Child Loop BB99_8 Depth 2
	v_cmp_ne_u32_e32 vcc, 0, v6
	s_and_saveexec_b64 s[18:19], vcc
	s_cbranch_execz .LBB99_5
; %bb.7:                                ;   in Loop: Header=BB99_6 Depth=1
	v_mov_b32_e32 v4, v2
	s_mov_b64 s[20:21], 0
	v_mov_b32_e32 v3, v1
	v_mov_b32_e32 v7, v6
.LBB99_8:                               ;   Parent Loop BB99_6 Depth=1
                                        ; =>  This Inner Loop Header: Depth=2
	global_load_dwordx2 v[8:9], v[3:4], off offset:-4
	v_mov_b32_e32 v10, s17
	v_add_co_u32_e32 v3, vcc, s16, v3
	v_add_u32_e32 v7, -1, v7
	v_addc_co_u32_e32 v4, vcc, v4, v10, vcc
	v_cmp_eq_u32_e32 vcc, 0, v7
	s_or_b64 s[20:21], vcc, s[20:21]
	s_waitcnt vmcnt(0)
	v_mul_f32_e32 v9, v9, v9
	v_fmac_f32_e32 v9, v8, v8
	v_fmac_f32_e32 v5, 2.0, v9
	s_andn2_b64 exec, exec, s[20:21]
	s_cbranch_execnz .LBB99_8
	s_branch .LBB99_4
.LBB99_9:
	s_or_b64 exec, exec, s[10:11]
.LBB99_10:
	s_or_b64 exec, exec, s[4:5]
	v_lshl_add_u32 v1, v0, 2, 0
	v_cmp_eq_u32_e32 vcc, 0, v0
	ds_write_b32 v1, v5
	s_waitcnt lgkmcnt(0)
	s_barrier
	s_and_saveexec_b64 s[4:5], vcc
	s_cbranch_execz .LBB99_1
; %bb.11:
	s_min_i32 s4, s2, s22
	s_cmp_lt_i32 s4, 2
	s_cbranch_scc1 .LBB99_20
; %bb.12:
	s_add_i32 s2, s4, -1
	s_add_i32 s4, s4, -2
	s_cmp_lt_u32 s4, 7
	s_cbranch_scc1 .LBB99_16
; %bb.13:
	s_mov_b32 s10, 0
	s_add_i32 s4, 0, 4
	s_and_b32 s5, s2, -8
.LBB99_14:                              ; =>This Inner Loop Header: Depth=1
	v_mov_b32_e32 v4, s4
	ds_read2_b32 v[0:1], v4 offset1:1
	ds_read2_b32 v[2:3], v4 offset0:2 offset1:3
	ds_read2_b32 v[6:7], v4 offset0:4 offset1:5
	;; [unrolled: 1-line block ×3, first 2 shown]
	s_mov_b32 s11, s10
	s_waitcnt lgkmcnt(3)
	v_add_f32_e32 v0, v5, v0
	v_add_f32_e32 v0, v0, v1
	s_waitcnt lgkmcnt(2)
	v_add_f32_e32 v0, v0, v2
	v_add_f32_e32 v0, v0, v3
	;; [unrolled: 3-line block ×3, first 2 shown]
	s_add_i32 s4, s4, 32
	s_add_i32 s10, s10, 8
	s_waitcnt lgkmcnt(0)
	v_add_f32_e32 v0, v0, v8
	s_cmp_lg_u32 s5, s10
	v_add_f32_e32 v5, v0, v9
	s_cbranch_scc1 .LBB99_14
; %bb.15:
	s_add_i32 s4, s11, 9
	s_branch .LBB99_17
.LBB99_16:
	s_mov_b32 s4, 1
.LBB99_17:
	s_and_b32 s2, s2, 7
	s_cmp_eq_u32 s2, 0
	s_cbranch_scc1 .LBB99_20
; %bb.18:
	s_lshl_b32 s4, s4, 2
	s_add_i32 s4, s4, 0
.LBB99_19:                              ; =>This Inner Loop Header: Depth=1
	v_mov_b32_e32 v0, s4
	ds_read_b32 v0, v0
	s_add_i32 s4, s4, 4
	s_add_i32 s2, s2, -1
	s_cmp_lg_u32 s2, 0
	s_waitcnt lgkmcnt(0)
	v_add_f32_e32 v5, v5, v0
	s_cbranch_scc1 .LBB99_19
.LBB99_20:
	s_add_u32 s4, s8, s6
	s_addc_u32 s5, s9, s7
	v_mov_b32_e32 v0, 0
	global_store_dword v0, v5, s[4:5]
	s_add_u32 s4, s12, s6
	s_addc_u32 s5, s13, s7
	global_load_dword v1, v0, s[4:5]
	s_waitcnt vmcnt(0)
	v_cmp_lt_f32_e32 vcc, v5, v1
	s_and_b64 exec, exec, vcc
	s_cbranch_execz .LBB99_1
; %bb.21:
	s_add_i32 s2, s3, 1
	s_mov_b64 s[4:5], exec
	v_mov_b32_e32 v1, s2
	global_store_dword v0, v1, s[0:1] offset:4
	v_mbcnt_lo_u32_b32 v0, s4, 0
	v_mbcnt_hi_u32_b32 v0, s5, v0
	v_cmp_eq_u32_e32 vcc, 0, v0
	s_and_b64 s[0:1], exec, vcc
	s_mov_b64 exec, s[0:1]
	s_cbranch_execz .LBB99_1
; %bb.22:
	s_bcnt1_i32_b64 s0, s[4:5]
	v_mov_b32_e32 v0, 0
	v_mov_b32_e32 v1, s0
	global_atomic_add v0, v1, s[14:15]
	s_endpgm
	.section	.rodata,"a",@progbits
	.p2align	6, 0x0
	.amdhsa_kernel _ZN9rocsolver6v33100L15syevj_calc_normI19rocblas_complex_numIfEfEEviiPT0_PT_S5_Pi
		.amdhsa_group_segment_fixed_size 0
		.amdhsa_private_segment_fixed_size 0
		.amdhsa_kernarg_size 296
		.amdhsa_user_sgpr_count 6
		.amdhsa_user_sgpr_private_segment_buffer 1
		.amdhsa_user_sgpr_dispatch_ptr 0
		.amdhsa_user_sgpr_queue_ptr 0
		.amdhsa_user_sgpr_kernarg_segment_ptr 1
		.amdhsa_user_sgpr_dispatch_id 0
		.amdhsa_user_sgpr_flat_scratch_init 0
		.amdhsa_user_sgpr_private_segment_size 0
		.amdhsa_uses_dynamic_stack 0
		.amdhsa_system_sgpr_private_segment_wavefront_offset 0
		.amdhsa_system_sgpr_workgroup_id_x 1
		.amdhsa_system_sgpr_workgroup_id_y 1
		.amdhsa_system_sgpr_workgroup_id_z 0
		.amdhsa_system_sgpr_workgroup_info 0
		.amdhsa_system_vgpr_workitem_id 0
		.amdhsa_next_free_vgpr 11
		.amdhsa_next_free_sgpr 24
		.amdhsa_reserve_vcc 1
		.amdhsa_reserve_flat_scratch 0
		.amdhsa_float_round_mode_32 0
		.amdhsa_float_round_mode_16_64 0
		.amdhsa_float_denorm_mode_32 3
		.amdhsa_float_denorm_mode_16_64 3
		.amdhsa_dx10_clamp 1
		.amdhsa_ieee_mode 1
		.amdhsa_fp16_overflow 0
		.amdhsa_exception_fp_ieee_invalid_op 0
		.amdhsa_exception_fp_denorm_src 0
		.amdhsa_exception_fp_ieee_div_zero 0
		.amdhsa_exception_fp_ieee_overflow 0
		.amdhsa_exception_fp_ieee_underflow 0
		.amdhsa_exception_fp_ieee_inexact 0
		.amdhsa_exception_int_div_zero 0
	.end_amdhsa_kernel
	.section	.text._ZN9rocsolver6v33100L15syevj_calc_normI19rocblas_complex_numIfEfEEviiPT0_PT_S5_Pi,"axG",@progbits,_ZN9rocsolver6v33100L15syevj_calc_normI19rocblas_complex_numIfEfEEviiPT0_PT_S5_Pi,comdat
.Lfunc_end99:
	.size	_ZN9rocsolver6v33100L15syevj_calc_normI19rocblas_complex_numIfEfEEviiPT0_PT_S5_Pi, .Lfunc_end99-_ZN9rocsolver6v33100L15syevj_calc_normI19rocblas_complex_numIfEfEEviiPT0_PT_S5_Pi
                                        ; -- End function
	.set _ZN9rocsolver6v33100L15syevj_calc_normI19rocblas_complex_numIfEfEEviiPT0_PT_S5_Pi.num_vgpr, 11
	.set _ZN9rocsolver6v33100L15syevj_calc_normI19rocblas_complex_numIfEfEEviiPT0_PT_S5_Pi.num_agpr, 0
	.set _ZN9rocsolver6v33100L15syevj_calc_normI19rocblas_complex_numIfEfEEviiPT0_PT_S5_Pi.numbered_sgpr, 24
	.set _ZN9rocsolver6v33100L15syevj_calc_normI19rocblas_complex_numIfEfEEviiPT0_PT_S5_Pi.num_named_barrier, 0
	.set _ZN9rocsolver6v33100L15syevj_calc_normI19rocblas_complex_numIfEfEEviiPT0_PT_S5_Pi.private_seg_size, 0
	.set _ZN9rocsolver6v33100L15syevj_calc_normI19rocblas_complex_numIfEfEEviiPT0_PT_S5_Pi.uses_vcc, 1
	.set _ZN9rocsolver6v33100L15syevj_calc_normI19rocblas_complex_numIfEfEEviiPT0_PT_S5_Pi.uses_flat_scratch, 0
	.set _ZN9rocsolver6v33100L15syevj_calc_normI19rocblas_complex_numIfEfEEviiPT0_PT_S5_Pi.has_dyn_sized_stack, 0
	.set _ZN9rocsolver6v33100L15syevj_calc_normI19rocblas_complex_numIfEfEEviiPT0_PT_S5_Pi.has_recursion, 0
	.set _ZN9rocsolver6v33100L15syevj_calc_normI19rocblas_complex_numIfEfEEviiPT0_PT_S5_Pi.has_indirect_call, 0
	.section	.AMDGPU.csdata,"",@progbits
; Kernel info:
; codeLenInByte = 688
; TotalNumSgprs: 28
; NumVgprs: 11
; ScratchSize: 0
; MemoryBound: 0
; FloatMode: 240
; IeeeMode: 1
; LDSByteSize: 0 bytes/workgroup (compile time only)
; SGPRBlocks: 3
; VGPRBlocks: 2
; NumSGPRsForWavesPerEU: 28
; NumVGPRsForWavesPerEU: 11
; Occupancy: 10
; WaveLimiterHint : 0
; COMPUTE_PGM_RSRC2:SCRATCH_EN: 0
; COMPUTE_PGM_RSRC2:USER_SGPR: 6
; COMPUTE_PGM_RSRC2:TRAP_HANDLER: 0
; COMPUTE_PGM_RSRC2:TGID_X_EN: 1
; COMPUTE_PGM_RSRC2:TGID_Y_EN: 1
; COMPUTE_PGM_RSRC2:TGID_Z_EN: 0
; COMPUTE_PGM_RSRC2:TIDIG_COMP_CNT: 0
	.section	.text._ZN9rocsolver6v33100L14syevj_finalizeI19rocblas_complex_numIfEfPS3_EEv14rocblas_esort_14rocblas_evect_iT1_iilPT0_iPiS9_lSA_PT_SA_,"axG",@progbits,_ZN9rocsolver6v33100L14syevj_finalizeI19rocblas_complex_numIfEfPS3_EEv14rocblas_esort_14rocblas_evect_iT1_iilPT0_iPiS9_lSA_PT_SA_,comdat
	.globl	_ZN9rocsolver6v33100L14syevj_finalizeI19rocblas_complex_numIfEfPS3_EEv14rocblas_esort_14rocblas_evect_iT1_iilPT0_iPiS9_lSA_PT_SA_ ; -- Begin function _ZN9rocsolver6v33100L14syevj_finalizeI19rocblas_complex_numIfEfPS3_EEv14rocblas_esort_14rocblas_evect_iT1_iilPT0_iPiS9_lSA_PT_SA_
	.p2align	8
	.type	_ZN9rocsolver6v33100L14syevj_finalizeI19rocblas_complex_numIfEfPS3_EEv14rocblas_esort_14rocblas_evect_iT1_iilPT0_iPiS9_lSA_PT_SA_,@function
_ZN9rocsolver6v33100L14syevj_finalizeI19rocblas_complex_numIfEfPS3_EEv14rocblas_esort_14rocblas_evect_iT1_iilPT0_iPiS9_lSA_PT_SA_: ; @_ZN9rocsolver6v33100L14syevj_finalizeI19rocblas_complex_numIfEfPS3_EEv14rocblas_esort_14rocblas_evect_iT1_iilPT0_iPiS9_lSA_PT_SA_
; %bb.0:
	s_load_dwordx4 s[20:23], s[4:5], 0x20
	s_load_dwordx8 s[8:15], s[4:5], 0x38
	s_load_dwordx4 s[24:27], s[4:5], 0x58
	s_mov_b32 s28, s7
	s_ashr_i32 s29, s7, 31
	v_cmp_eq_u32_e64 s[0:1], 0, v0
	s_and_saveexec_b64 s[6:7], s[0:1]
	s_cbranch_execz .LBB100_2
; %bb.1:
	s_lshl_b64 s[16:17], s[28:29], 2
	s_waitcnt lgkmcnt(0)
	s_add_u32 s2, s26, s16
	s_addc_u32 s3, s27, s17
	s_add_u32 s18, s22, s16
	s_addc_u32 s19, s23, s17
	s_load_dword s22, s[18:19], 0x0
	v_mov_b32_e32 v1, 0xf800000
	v_mov_b32_e32 v2, 0x4f800000
	s_load_dword s23, s[2:3], 0x4
	s_waitcnt lgkmcnt(0)
	v_mul_f32_e32 v2, s22, v2
	v_mov_b32_e32 v3, s22
	v_cmp_lt_f32_e32 vcc, s22, v1
	v_cndmask_b32_e32 v1, v3, v2, vcc
	v_sqrt_f32_e32 v2, v1
	s_load_dword s22, s[4:5], 0x30
	v_mov_b32_e32 v3, 0
	v_add_u32_e32 v4, -1, v2
	v_fma_f32 v5, -v4, v2, v1
	v_cmp_ge_f32_e64 s[2:3], 0, v5
	v_add_u32_e32 v5, 1, v2
	v_cndmask_b32_e64 v4, v2, v4, s[2:3]
	v_fma_f32 v2, -v5, v2, v1
	v_cmp_lt_f32_e64 s[2:3], 0, v2
	v_cndmask_b32_e64 v2, v4, v5, s[2:3]
	v_mul_f32_e32 v4, 0x37800000, v2
	v_cndmask_b32_e32 v2, v2, v4, vcc
	v_mov_b32_e32 v4, 0x260
	v_cmp_class_f32_e32 vcc, v1, v4
	v_cndmask_b32_e32 v1, v2, v1, vcc
	s_waitcnt lgkmcnt(0)
	global_store_dword v3, v1, s[18:19]
	s_add_i32 s18, s23, -1
	s_cmp_lt_i32 s23, 1
	s_cselect_b64 s[2:3], -1, 0
	v_cndmask_b32_e64 v1, 0, 1, s[2:3]
	s_and_b64 s[2:3], s[2:3], exec
	s_cselect_b32 s18, s22, s18
	s_add_u32 s2, s8, s16
	s_addc_u32 s3, s9, s17
	v_mov_b32_e32 v2, s18
	global_store_dword v3, v2, s[2:3]
	s_add_u32 s2, s14, s16
	s_addc_u32 s3, s15, s17
	global_store_dword v3, v1, s[2:3]
.LBB100_2:
	s_or_b64 exec, exec, s[6:7]
	s_load_dwordx4 s[16:19], s[4:5], 0x0
	s_waitcnt lgkmcnt(0)
	s_mul_i32 s2, s12, s29
	s_mul_hi_u32 s3, s12, s28
	s_add_i32 s2, s3, s2
	s_mul_i32 s3, s13, s28
	s_add_i32 s3, s2, s3
	s_mul_i32 s2, s12, s28
	s_lshl_b64 s[22:23], s[2:3], 2
	s_add_u32 s19, s10, s22
	s_addc_u32 s26, s11, s23
	v_cmp_gt_i32_e64 s[2:3], s18, v0
	s_and_saveexec_b64 s[8:9], s[2:3]
	s_cbranch_execz .LBB100_5
; %bb.3:
	s_mul_i32 s6, s18, s28
	s_mul_i32 s6, s6, s18
	s_ashr_i32 s7, s6, 31
	s_load_dword s12, s[4:5], 0x74
	s_lshl_b64 s[6:7], s[6:7], 3
	s_add_u32 s14, s24, s6
	s_addc_u32 s25, s25, s7
	v_mad_u64_u32 v[1:2], s[6:7], v0, s18, v[0:1]
	s_add_i32 s24, s18, 1
	s_waitcnt lgkmcnt(0)
	s_and_b32 s15, s12, 0xffff
	s_mul_i32 s24, s24, s15
	s_mov_b64 s[12:13], 0
	v_mov_b32_e32 v5, s25
	v_mov_b32_e32 v6, s26
	;; [unrolled: 1-line block ×3, first 2 shown]
.LBB100_4:                              ; =>This Inner Loop Header: Depth=1
	v_ashrrev_i32_e32 v2, 31, v1
	v_lshlrev_b64 v[7:8], 3, v[1:2]
	v_ashrrev_i32_e32 v4, 31, v3
	v_add_co_u32_e32 v7, vcc, s14, v7
	v_addc_co_u32_e32 v8, vcc, v5, v8, vcc
	global_load_dword v2, v[7:8], off
	v_lshlrev_b64 v[7:8], 2, v[3:4]
	v_add_u32_e32 v3, s15, v3
	v_cmp_le_i32_e32 vcc, s18, v3
	v_add_co_u32_e64 v7, s[6:7], s19, v7
	v_addc_co_u32_e64 v8, s[6:7], v6, v8, s[6:7]
	s_or_b64 s[12:13], vcc, s[12:13]
	v_add_u32_e32 v1, s24, v1
	s_waitcnt vmcnt(0)
	global_store_dword v[7:8], v2, off
	s_andn2_b64 exec, exec, s[12:13]
	s_cbranch_execnz .LBB100_4
.LBB100_5:
	s_or_b64 exec, exec, s[8:9]
	s_cmpk_lg_i32 s17, 0xd5
	s_cselect_b64 s[24:25], -1, 0
	v_cmp_eq_u32_e32 vcc, 0, v0
	s_or_b64 s[8:9], vcc, s[24:25]
	s_cmpk_lg_i32 s16, 0xfb
	s_cselect_b64 s[12:13], -1, 0
	s_and_b64 s[8:9], s[12:13], s[8:9]
	s_cmp_gt_i32 s18, 1
	s_cselect_b64 s[12:13], -1, 0
	s_mov_b32 s7, 0
	s_and_b64 s[8:9], s[12:13], s[8:9]
	s_waitcnt vmcnt(0)
	s_barrier
	s_and_saveexec_b64 s[12:13], s[8:9]
	s_cbranch_execz .LBB100_18
; %bb.6:
	s_load_dwordx4 s[12:15], s[4:5], 0x10
	s_mul_i32 s6, s20, s29
	s_mul_hi_u32 s8, s20, s28
	s_add_i32 s6, s8, s6
	s_mul_i32 s16, s20, s28
	s_waitcnt lgkmcnt(0)
	s_ashr_i32 s9, s14, 31
	s_mov_b32 s8, s14
	s_mul_i32 s14, s21, s28
	s_add_i32 s17, s6, s14
	s_lshl_b64 s[16:17], s[16:17], 3
	s_add_u32 s6, s12, s16
	s_addc_u32 s12, s13, s17
	s_lshl_b64 s[8:9], s[8:9], 3
	s_add_u32 s14, s6, s8
	s_addc_u32 s27, s12, s9
	s_add_u32 s8, s4, 0x68
	s_addc_u32 s9, s5, 0
	s_add_i32 s28, s18, -2
	s_add_u32 s4, s10, s22
	s_addc_u32 s5, s11, s23
	s_add_u32 s10, s4, 4
	v_cndmask_b32_e64 v2, 0, 1, s[24:25]
	s_addc_u32 s11, s5, 0
	v_mov_b32_e32 v1, 0
	v_cmp_ne_u32_e64 s[4:5], 1, v2
	s_mov_b32 s22, 0
	s_mov_b32 s23, 0
	s_branch .LBB100_9
.LBB100_7:                              ;   in Loop: Header=BB100_9 Depth=1
	s_or_b64 exec, exec, s[16:17]
	s_waitcnt vmcnt(0)
	s_barrier
.LBB100_8:                              ;   in Loop: Header=BB100_9 Depth=1
	s_add_u32 s10, s10, 4
	s_addc_u32 s11, s11, 0
	s_add_i32 s22, s22, s15
	s_cmp_lg_u32 s6, s28
	s_cbranch_scc0 .LBB100_18
.LBB100_9:                              ; =>This Loop Header: Depth=1
                                        ;     Child Loop BB100_10 Depth 2
                                        ;     Child Loop BB100_17 Depth 2
	s_mov_b32 s6, s23
	s_lshl_b64 s[12:13], s[6:7], 2
	s_add_u32 s16, s19, s12
	s_addc_u32 s17, s26, s13
	global_load_dword v2, v1, s[16:17]
	s_add_i32 s23, s23, 1
	s_mov_b64 s[20:21], s[10:11]
	s_mov_b32 s13, s23
	s_mov_b32 s12, s6
.LBB100_10:                             ;   Parent Loop BB100_9 Depth=1
                                        ; =>  This Inner Loop Header: Depth=2
	global_load_dword v3, v1, s[20:21]
	s_waitcnt vmcnt(0)
	v_cmp_lt_f32_e32 vcc, v3, v2
	s_and_b64 s[24:25], vcc, exec
	s_cselect_b32 s12, s13, s12
	s_add_i32 s13, s13, 1
	s_add_u32 s20, s20, 4
	s_addc_u32 s21, s21, 0
	v_cndmask_b32_e32 v2, v2, v3, vcc
	s_cmp_lg_u32 s18, s13
	s_cbranch_scc1 .LBB100_10
; %bb.11:                               ;   in Loop: Header=BB100_9 Depth=1
	s_cmp_eq_u32 s12, s6
	s_barrier
	s_cbranch_scc1 .LBB100_8
; %bb.12:                               ;   in Loop: Header=BB100_9 Depth=1
	s_and_saveexec_b64 s[20:21], s[0:1]
	s_cbranch_execz .LBB100_14
; %bb.13:                               ;   in Loop: Header=BB100_9 Depth=1
	global_load_dword v3, v1, s[16:17]
	s_ashr_i32 s13, s12, 31
	s_lshl_b64 s[24:25], s[12:13], 2
	s_add_u32 s24, s19, s24
	s_addc_u32 s25, s26, s25
	s_waitcnt vmcnt(0)
	global_store_dword v1, v3, s[24:25]
	global_store_dword v1, v2, s[16:17]
.LBB100_14:                             ;   in Loop: Header=BB100_9 Depth=1
	s_or_b64 exec, exec, s[20:21]
	s_and_b64 vcc, exec, s[4:5]
	s_cbranch_vccnz .LBB100_8
; %bb.15:                               ;   in Loop: Header=BB100_9 Depth=1
	s_and_saveexec_b64 s[16:17], s[2:3]
	s_cbranch_execz .LBB100_7
; %bb.16:                               ;   in Loop: Header=BB100_9 Depth=1
	s_load_dword s21, s[8:9], 0xc
	s_mul_i32 s20, s12, s15
	s_mov_b64 s[12:13], 0
	v_mov_b32_e32 v2, v0
	s_waitcnt lgkmcnt(0)
	s_and_b32 s21, s21, 0xffff
.LBB100_17:                             ;   Parent Loop BB100_9 Depth=1
                                        ; =>  This Inner Loop Header: Depth=2
	v_add_u32_e32 v3, s20, v2
	v_ashrrev_i32_e32 v4, 31, v3
	v_add_u32_e32 v5, s22, v2
	v_lshlrev_b64 v[3:4], 3, v[3:4]
	v_ashrrev_i32_e32 v6, 31, v5
	v_mov_b32_e32 v7, s27
	v_lshlrev_b64 v[5:6], 3, v[5:6]
	v_add_co_u32_e32 v3, vcc, s14, v3
	v_addc_co_u32_e32 v4, vcc, v7, v4, vcc
	v_mov_b32_e32 v8, s27
	v_add_co_u32_e32 v5, vcc, s14, v5
	v_addc_co_u32_e32 v6, vcc, v8, v6, vcc
	global_load_dwordx2 v[7:8], v[5:6], off
	global_load_dwordx2 v[9:10], v[3:4], off
	v_add_u32_e32 v2, s21, v2
	v_cmp_le_i32_e32 vcc, s18, v2
	s_or_b64 s[12:13], vcc, s[12:13]
	s_waitcnt vmcnt(1)
	global_store_dwordx2 v[3:4], v[7:8], off
	s_waitcnt vmcnt(1)
	global_store_dwordx2 v[5:6], v[9:10], off
	s_andn2_b64 exec, exec, s[12:13]
	s_cbranch_execnz .LBB100_17
	s_branch .LBB100_7
.LBB100_18:
	s_endpgm
	.section	.rodata,"a",@progbits
	.p2align	6, 0x0
	.amdhsa_kernel _ZN9rocsolver6v33100L14syevj_finalizeI19rocblas_complex_numIfEfPS3_EEv14rocblas_esort_14rocblas_evect_iT1_iilPT0_iPiS9_lSA_PT_SA_
		.amdhsa_group_segment_fixed_size 0
		.amdhsa_private_segment_fixed_size 0
		.amdhsa_kernarg_size 360
		.amdhsa_user_sgpr_count 6
		.amdhsa_user_sgpr_private_segment_buffer 1
		.amdhsa_user_sgpr_dispatch_ptr 0
		.amdhsa_user_sgpr_queue_ptr 0
		.amdhsa_user_sgpr_kernarg_segment_ptr 1
		.amdhsa_user_sgpr_dispatch_id 0
		.amdhsa_user_sgpr_flat_scratch_init 0
		.amdhsa_user_sgpr_private_segment_size 0
		.amdhsa_uses_dynamic_stack 0
		.amdhsa_system_sgpr_private_segment_wavefront_offset 0
		.amdhsa_system_sgpr_workgroup_id_x 1
		.amdhsa_system_sgpr_workgroup_id_y 1
		.amdhsa_system_sgpr_workgroup_id_z 0
		.amdhsa_system_sgpr_workgroup_info 0
		.amdhsa_system_vgpr_workitem_id 0
		.amdhsa_next_free_vgpr 11
		.amdhsa_next_free_sgpr 30
		.amdhsa_reserve_vcc 1
		.amdhsa_reserve_flat_scratch 0
		.amdhsa_float_round_mode_32 0
		.amdhsa_float_round_mode_16_64 0
		.amdhsa_float_denorm_mode_32 3
		.amdhsa_float_denorm_mode_16_64 3
		.amdhsa_dx10_clamp 1
		.amdhsa_ieee_mode 1
		.amdhsa_fp16_overflow 0
		.amdhsa_exception_fp_ieee_invalid_op 0
		.amdhsa_exception_fp_denorm_src 0
		.amdhsa_exception_fp_ieee_div_zero 0
		.amdhsa_exception_fp_ieee_overflow 0
		.amdhsa_exception_fp_ieee_underflow 0
		.amdhsa_exception_fp_ieee_inexact 0
		.amdhsa_exception_int_div_zero 0
	.end_amdhsa_kernel
	.section	.text._ZN9rocsolver6v33100L14syevj_finalizeI19rocblas_complex_numIfEfPS3_EEv14rocblas_esort_14rocblas_evect_iT1_iilPT0_iPiS9_lSA_PT_SA_,"axG",@progbits,_ZN9rocsolver6v33100L14syevj_finalizeI19rocblas_complex_numIfEfPS3_EEv14rocblas_esort_14rocblas_evect_iT1_iilPT0_iPiS9_lSA_PT_SA_,comdat
.Lfunc_end100:
	.size	_ZN9rocsolver6v33100L14syevj_finalizeI19rocblas_complex_numIfEfPS3_EEv14rocblas_esort_14rocblas_evect_iT1_iilPT0_iPiS9_lSA_PT_SA_, .Lfunc_end100-_ZN9rocsolver6v33100L14syevj_finalizeI19rocblas_complex_numIfEfPS3_EEv14rocblas_esort_14rocblas_evect_iT1_iilPT0_iPiS9_lSA_PT_SA_
                                        ; -- End function
	.set _ZN9rocsolver6v33100L14syevj_finalizeI19rocblas_complex_numIfEfPS3_EEv14rocblas_esort_14rocblas_evect_iT1_iilPT0_iPiS9_lSA_PT_SA_.num_vgpr, 11
	.set _ZN9rocsolver6v33100L14syevj_finalizeI19rocblas_complex_numIfEfPS3_EEv14rocblas_esort_14rocblas_evect_iT1_iilPT0_iPiS9_lSA_PT_SA_.num_agpr, 0
	.set _ZN9rocsolver6v33100L14syevj_finalizeI19rocblas_complex_numIfEfPS3_EEv14rocblas_esort_14rocblas_evect_iT1_iilPT0_iPiS9_lSA_PT_SA_.numbered_sgpr, 30
	.set _ZN9rocsolver6v33100L14syevj_finalizeI19rocblas_complex_numIfEfPS3_EEv14rocblas_esort_14rocblas_evect_iT1_iilPT0_iPiS9_lSA_PT_SA_.num_named_barrier, 0
	.set _ZN9rocsolver6v33100L14syevj_finalizeI19rocblas_complex_numIfEfPS3_EEv14rocblas_esort_14rocblas_evect_iT1_iilPT0_iPiS9_lSA_PT_SA_.private_seg_size, 0
	.set _ZN9rocsolver6v33100L14syevj_finalizeI19rocblas_complex_numIfEfPS3_EEv14rocblas_esort_14rocblas_evect_iT1_iilPT0_iPiS9_lSA_PT_SA_.uses_vcc, 1
	.set _ZN9rocsolver6v33100L14syevj_finalizeI19rocblas_complex_numIfEfPS3_EEv14rocblas_esort_14rocblas_evect_iT1_iilPT0_iPiS9_lSA_PT_SA_.uses_flat_scratch, 0
	.set _ZN9rocsolver6v33100L14syevj_finalizeI19rocblas_complex_numIfEfPS3_EEv14rocblas_esort_14rocblas_evect_iT1_iilPT0_iPiS9_lSA_PT_SA_.has_dyn_sized_stack, 0
	.set _ZN9rocsolver6v33100L14syevj_finalizeI19rocblas_complex_numIfEfPS3_EEv14rocblas_esort_14rocblas_evect_iT1_iilPT0_iPiS9_lSA_PT_SA_.has_recursion, 0
	.set _ZN9rocsolver6v33100L14syevj_finalizeI19rocblas_complex_numIfEfPS3_EEv14rocblas_esort_14rocblas_evect_iT1_iilPT0_iPiS9_lSA_PT_SA_.has_indirect_call, 0
	.section	.AMDGPU.csdata,"",@progbits
; Kernel info:
; codeLenInByte = 1092
; TotalNumSgprs: 34
; NumVgprs: 11
; ScratchSize: 0
; MemoryBound: 0
; FloatMode: 240
; IeeeMode: 1
; LDSByteSize: 0 bytes/workgroup (compile time only)
; SGPRBlocks: 4
; VGPRBlocks: 2
; NumSGPRsForWavesPerEU: 34
; NumVGPRsForWavesPerEU: 11
; Occupancy: 10
; WaveLimiterHint : 0
; COMPUTE_PGM_RSRC2:SCRATCH_EN: 0
; COMPUTE_PGM_RSRC2:USER_SGPR: 6
; COMPUTE_PGM_RSRC2:TRAP_HANDLER: 0
; COMPUTE_PGM_RSRC2:TGID_X_EN: 1
; COMPUTE_PGM_RSRC2:TGID_Y_EN: 1
; COMPUTE_PGM_RSRC2:TGID_Z_EN: 0
; COMPUTE_PGM_RSRC2:TIDIG_COMP_CNT: 0
	.section	.text._ZN9rocsolver6v33100L18geqr2_kernel_smallILi256E19rocblas_complex_numIfEifPS3_EEvT1_S5_T3_lS5_lPT2_lPT0_l,"axG",@progbits,_ZN9rocsolver6v33100L18geqr2_kernel_smallILi256E19rocblas_complex_numIfEifPS3_EEvT1_S5_T3_lS5_lPT2_lPT0_l,comdat
	.globl	_ZN9rocsolver6v33100L18geqr2_kernel_smallILi256E19rocblas_complex_numIfEifPS3_EEvT1_S5_T3_lS5_lPT2_lPT0_l ; -- Begin function _ZN9rocsolver6v33100L18geqr2_kernel_smallILi256E19rocblas_complex_numIfEifPS3_EEvT1_S5_T3_lS5_lPT2_lPT0_l
	.p2align	8
	.type	_ZN9rocsolver6v33100L18geqr2_kernel_smallILi256E19rocblas_complex_numIfEifPS3_EEvT1_S5_T3_lS5_lPT2_lPT0_l,@function
_ZN9rocsolver6v33100L18geqr2_kernel_smallILi256E19rocblas_complex_numIfEifPS3_EEvT1_S5_T3_lS5_lPT2_lPT0_l: ; @_ZN9rocsolver6v33100L18geqr2_kernel_smallILi256E19rocblas_complex_numIfEifPS3_EEvT1_S5_T3_lS5_lPT2_lPT0_l
; %bb.0:
	s_load_dwordx8 s[8:15], s[4:5], 0x20
	s_load_dwordx2 s[16:17], s[4:5], 0x0
	s_load_dwordx4 s[0:3], s[4:5], 0x8
	s_load_dword s26, s[4:5], 0x18
	s_load_dwordx2 s[18:19], s[4:5], 0x40
	s_ashr_i32 s6, s7, 31
	s_waitcnt lgkmcnt(0)
	s_mul_hi_u32 s4, s8, s7
	s_mul_i32 s5, s8, s6
	s_add_i32 s4, s4, s5
	s_mul_i32 s5, s9, s7
	s_add_i32 s5, s4, s5
	s_mul_i32 s4, s8, s7
	s_lshl_b64 s[4:5], s[4:5], 3
	s_add_u32 s4, s0, s4
	s_addc_u32 s5, s1, s5
	s_lshl_b64 s[0:1], s[2:3], 3
	s_add_u32 s24, s4, s0
	v_and_b32_e32 v1, 0x7f, v0
	s_addc_u32 s25, s5, s1
	v_cmp_gt_i32_e64 s[0:1], s16, v1
	v_lshrrev_b32_e32 v5, 7, v0
	v_lshlrev_b32_e32 v6, 3, v1
	s_and_saveexec_b64 s[4:5], s[0:1]
	s_cbranch_execz .LBB101_6
; %bb.1:
	v_lshrrev_b32_e32 v7, 7, v0
	v_mul_lo_u32 v2, s16, v7
	s_lshl_b32 s27, s16, 4
	v_cmp_gt_i32_e32 vcc, s17, v7
	s_lshl_b32 s28, s26, 1
	v_lshlrev_b32_e32 v2, 3, v2
	v_add3_u32 v8, v2, v6, 0
	v_mad_u64_u32 v[2:3], s[2:3], s26, v7, v[1:2]
	s_mov_b64 s[8:9], 0
	v_mov_b32_e32 v9, v1
	s_branch .LBB101_3
.LBB101_2:                              ;   in Loop: Header=BB101_3 Depth=1
	s_or_b64 exec, exec, s[20:21]
	v_add_u32_e32 v9, 0x80, v9
	v_cmp_le_i32_e64 s[2:3], s16, v9
	v_add_u32_e32 v8, 0x400, v8
	s_or_b64 s[8:9], s[2:3], s[8:9]
	v_add_u32_e32 v2, 0x80, v2
	s_andn2_b64 exec, exec, s[8:9]
	s_cbranch_execz .LBB101_6
.LBB101_3:                              ; =>This Loop Header: Depth=1
                                        ;     Child Loop BB101_5 Depth 2
	s_and_saveexec_b64 s[20:21], vcc
	s_cbranch_execz .LBB101_2
; %bb.4:                                ;   in Loop: Header=BB101_3 Depth=1
	s_mov_b64 s[22:23], 0
	v_mov_b32_e32 v3, v2
	v_mov_b32_e32 v10, v8
	;; [unrolled: 1-line block ×3, first 2 shown]
.LBB101_5:                              ;   Parent Loop BB101_3 Depth=1
                                        ; =>  This Inner Loop Header: Depth=2
	v_ashrrev_i32_e32 v4, 31, v3
	v_lshlrev_b64 v[12:13], 3, v[3:4]
	v_mov_b32_e32 v14, s25
	v_add_co_u32_e64 v12, s[2:3], s24, v12
	v_addc_co_u32_e64 v13, s[2:3], v14, v13, s[2:3]
	global_load_dwordx2 v[12:13], v[12:13], off
	v_add_u32_e32 v11, 2, v11
	v_cmp_le_i32_e64 s[2:3], s17, v11
	v_add_u32_e32 v3, s28, v3
	s_or_b64 s[22:23], s[2:3], s[22:23]
	s_waitcnt vmcnt(0)
	ds_write_b64 v10, v[12:13]
	v_add_u32_e32 v10, s27, v10
	s_andn2_b64 exec, exec, s[22:23]
	s_cbranch_execnz .LBB101_5
	s_branch .LBB101_2
.LBB101_6:
	s_or_b64 exec, exec, s[4:5]
	s_min_i32 s27, s17, s16
	s_cmp_lt_i32 s27, 1
	s_waitcnt lgkmcnt(0)
	s_barrier
	s_cbranch_scc1 .LBB101_45
; %bb.7:
	s_mul_i32 s2, s12, s6
	s_mul_hi_u32 s3, s12, s7
	s_add_i32 s2, s3, s2
	s_mul_i32 s3, s13, s7
	s_add_i32 s3, s2, s3
	s_mul_i32 s2, s12, s7
	v_mbcnt_lo_u32_b32 v2, -1, 0
	s_lshl_b64 s[2:3], s[2:3], 2
	v_mbcnt_hi_u32_b32 v2, -1, v2
	s_add_u32 s28, s10, s2
	v_and_b32_e32 v3, 63, v2
	s_addc_u32 s29, s11, s3
	s_mul_i32 s2, s18, s6
	s_mul_hi_u32 s3, s18, s7
	v_cmp_ne_u32_e32 vcc, 63, v3
	s_add_i32 s2, s3, s2
	s_mul_i32 s3, s19, s7
	v_addc_co_u32_e32 v4, vcc, 0, v2, vcc
	s_add_i32 s3, s2, s3
	s_mul_i32 s2, s18, s7
	v_cmp_gt_u32_e32 vcc, 62, v3
	s_lshl_b64 s[2:3], s[2:3], 3
	v_lshlrev_b32_e32 v7, 2, v4
	v_cndmask_b32_e64 v4, 0, 2, vcc
	v_cmp_gt_u32_e32 vcc, 60, v3
	s_add_u32 s30, s14, s2
	s_mul_i32 s2, s17, s16
	v_add_lshl_u32 v8, v4, v2, 2
	v_cndmask_b32_e64 v4, 0, 4, vcc
	v_cmp_gt_u32_e32 vcc, 56, v3
	s_addc_u32 s31, s15, s3
	s_lshl_b32 s2, s2, 3
	v_add_lshl_u32 v9, v4, v2, 2
	v_cndmask_b32_e64 v4, 0, 8, vcc
	s_add_i32 s33, s2, 0
	s_lshl_b32 s2, s17, 3
	v_add_lshl_u32 v10, v4, v2, 2
	v_cmp_gt_u32_e32 vcc, 48, v3
	v_mul_lo_u32 v4, s16, v0
	s_add_i32 s34, s33, s2
	v_cndmask_b32_e64 v3, 0, 16, vcc
	v_add_lshl_u32 v11, v3, v2, 2
	v_mov_b32_e32 v3, 0x80
	s_cmp_lg_u64 s[10:11], 0
	v_lshl_or_b32 v12, v2, 2, v3
	v_and_b32_e32 v2, 63, v0
	s_cselect_b64 s[10:11], -1, 0
	s_lshl_b32 s35, s16, 3
	s_mov_b32 s13, 0
	v_cmp_eq_u32_e64 s[2:3], 0, v2
	v_lshrrev_b32_e32 v2, 3, v0
	v_lshlrev_b32_e32 v3, 3, v0
	v_add_u32_e32 v4, s16, v4
	s_add_i32 s6, s35, 0
	v_cmp_eq_u32_e64 s[4:5], 0, v0
	v_add3_u32 v13, v3, 0, 8
	s_add_i32 s36, s35, 8
	v_lshl_add_u32 v14, v4, 3, 0
	s_lshl_b32 s37, s16, 11
	v_add_u32_e32 v15, s6, v3
	v_add_u32_e32 v16, s34, v2
	v_mov_b32_e32 v2, 0
	v_mov_b32_e32 v17, 1.0
	s_mov_b32 s38, 0xf800000
	s_mov_b32 s39, 0
	s_mov_b32 s40, s17
	s_mov_b32 s41, s16
	s_mov_b32 s12, s13
	s_branch .LBB101_9
.LBB101_8:                              ;   in Loop: Header=BB101_9 Depth=1
	s_or_b64 exec, exec, s[6:7]
	s_add_i32 s40, s40, -1
	s_add_i32 s12, s12, 1
	s_add_i32 s41, s41, -1
	s_add_i32 s39, s39, s36
	v_add_u32_e32 v13, s36, v13
	v_add_u32_e32 v14, s36, v14
	s_cmp_eq_u32 s12, s27
	v_add_u32_e32 v15, s36, v15
	s_waitcnt lgkmcnt(0)
	s_barrier
	s_cbranch_scc1 .LBB101_45
.LBB101_9:                              ; =>This Loop Header: Depth=1
                                        ;     Child Loop BB101_11 Depth 2
                                        ;     Child Loop BB101_30 Depth 2
	;; [unrolled: 1-line block ×3, first 2 shown]
                                        ;       Child Loop BB101_37 Depth 3
                                        ;     Child Loop BB101_41 Depth 2
                                        ;       Child Loop BB101_43 Depth 3
	s_sub_i32 s42, s16, s12
	s_add_i32 s44, s42, -1
	v_cmp_gt_i32_e64 s[6:7], s44, v0
	v_mov_b32_e32 v3, 0
	v_mov_b32_e32 v4, 0
	s_and_saveexec_b64 s[8:9], s[6:7]
	s_cbranch_execz .LBB101_13
; %bb.10:                               ;   in Loop: Header=BB101_9 Depth=1
	v_mov_b32_e32 v3, 0
	s_mov_b64 s[14:15], 0
	v_mov_b32_e32 v18, v13
	v_mov_b32_e32 v19, v0
	v_mov_b32_e32 v4, 0
.LBB101_11:                             ;   Parent Loop BB101_9 Depth=1
                                        ; =>  This Inner Loop Header: Depth=2
	ds_read_b64 v[20:21], v18
	v_add_u32_e32 v19, 0x100, v19
	v_cmp_le_i32_e32 vcc, s44, v19
	v_add_u32_e32 v18, 0x800, v18
	s_or_b64 s[14:15], vcc, s[14:15]
	s_waitcnt lgkmcnt(0)
	v_mul_f32_e32 v22, v21, v21
	v_mul_f32_e32 v23, v21, v20
	v_fmac_f32_e32 v22, v20, v20
	v_fma_f32 v20, v20, v21, -v23
	v_add_f32_e32 v4, v4, v22
	v_add_f32_e32 v3, v3, v20
	s_andn2_b64 exec, exec, s[14:15]
	s_cbranch_execnz .LBB101_11
; %bb.12:                               ;   in Loop: Header=BB101_9 Depth=1
	s_or_b64 exec, exec, s[14:15]
.LBB101_13:                             ;   in Loop: Header=BB101_9 Depth=1
	s_or_b64 exec, exec, s[8:9]
	ds_bpermute_b32 v18, v7, v4
	ds_bpermute_b32 v19, v7, v3
	s_waitcnt lgkmcnt(1)
	v_add_f32_e32 v4, v4, v18
	s_waitcnt lgkmcnt(0)
	v_add_f32_e32 v3, v3, v19
	ds_bpermute_b32 v18, v8, v4
	ds_bpermute_b32 v19, v8, v3
	s_waitcnt lgkmcnt(1)
	v_add_f32_e32 v4, v4, v18
	s_waitcnt lgkmcnt(0)
	v_add_f32_e32 v3, v3, v19
	;; [unrolled: 6-line block ×5, first 2 shown]
	ds_bpermute_b32 v3, v12, v20
	ds_bpermute_b32 v18, v12, v4
	s_waitcnt lgkmcnt(1)
	v_add_f32_e32 v3, v20, v3
	s_and_saveexec_b64 s[8:9], s[2:3]
	s_cbranch_execz .LBB101_15
; %bb.14:                               ;   in Loop: Header=BB101_9 Depth=1
	s_waitcnt lgkmcnt(0)
	v_add_f32_e32 v4, v4, v18
	ds_write2_b32 v16, v3, v4 offset0:2 offset1:3
.LBB101_15:                             ;   in Loop: Header=BB101_9 Depth=1
	s_or_b64 exec, exec, s[8:9]
	s_lshl_b32 s8, s12, 3
	s_add_i32 s43, s8, 0
	s_mul_i32 s8, s12, s16
	s_lshl_b32 s8, s8, 3
	s_add_i32 s43, s43, s8
	s_waitcnt lgkmcnt(0)
	s_barrier
	s_and_saveexec_b64 s[14:15], s[4:5]
	s_cbranch_execz .LBB101_28
; %bb.16:                               ;   in Loop: Header=BB101_9 Depth=1
	v_mov_b32_e32 v4, s34
	ds_read2_b32 v[19:20], v4 offset0:4 offset1:6
	v_mov_b32_e32 v18, s43
	ds_read_b32 v4, v4 offset:32
	ds_read_b32 v18, v18 offset:4
	s_lshl_b64 s[8:9], s[12:13], 2
	s_waitcnt lgkmcnt(2)
	v_add_f32_e32 v3, v3, v19
	v_add_f32_e32 v3, v3, v20
	s_waitcnt lgkmcnt(1)
	v_add_f32_e32 v20, v3, v4
	s_waitcnt lgkmcnt(0)
	v_mul_f32_e32 v19, v18, v18
	s_add_u32 s20, s28, s8
	v_max_f32_e32 v3, v20, v19
	s_addc_u32 s21, s29, s9
	v_cmp_nlt_f32_e32 vcc, 0, v3
	s_mov_b64 s[18:19], 0
	s_and_saveexec_b64 s[8:9], vcc
	s_xor_b64 s[8:9], exec, s[8:9]
	s_cbranch_execz .LBB101_20
; %bb.17:                               ;   in Loop: Header=BB101_9 Depth=1
	v_mov_b32_e32 v3, v2
	v_mov_b32_e32 v4, s34
	s_and_b64 vcc, exec, s[10:11]
	ds_write_b64 v4, v[2:3]
	s_cbranch_vccz .LBB101_19
; %bb.18:                               ;   in Loop: Header=BB101_9 Depth=1
	v_mov_b32_e32 v3, s43
	ds_read_b32 v4, v3
	s_mov_b64 s[18:19], -1
	ds_write_b32 v3, v17
	s_waitcnt lgkmcnt(1)
	global_store_dword v2, v4, s[20:21]
.LBB101_19:                             ;   in Loop: Header=BB101_9 Depth=1
	s_and_b64 s[18:19], s[18:19], exec
                                        ; implicit-def: $vgpr18
                                        ; implicit-def: $vgpr19
                                        ; implicit-def: $vgpr20
.LBB101_20:                             ;   in Loop: Header=BB101_9 Depth=1
	s_or_saveexec_b64 s[22:23], s[8:9]
	v_mov_b32_e32 v3, 1.0
	v_mov_b32_e32 v4, 0
	s_xor_b64 exec, exec, s[22:23]
	s_cbranch_execz .LBB101_25
; %bb.21:                               ;   in Loop: Header=BB101_9 Depth=1
	v_mov_b32_e32 v3, s43
	ds_read_b32 v22, v3
	s_waitcnt lgkmcnt(0)
	v_fma_f32 v3, v22, v22, v19
	v_add_f32_e32 v3, v20, v3
	v_cmp_gt_f32_e32 vcc, s38, v3
	v_mul_f32_e32 v4, 0x4f800000, v3
	v_cndmask_b32_e32 v3, v3, v4, vcc
	v_sqrt_f32_e32 v4, v3
	v_add_u32_e32 v20, -1, v4
	v_fma_f32 v21, -v20, v4, v3
	v_cmp_ge_f32_e64 s[8:9], 0, v21
	v_add_u32_e32 v21, 1, v4
	v_cndmask_b32_e64 v20, v4, v20, s[8:9]
	v_fma_f32 v4, -v21, v4, v3
	v_cmp_lt_f32_e64 s[8:9], 0, v4
	v_cndmask_b32_e64 v4, v20, v21, s[8:9]
	v_mul_f32_e32 v20, 0x37800000, v4
	v_cndmask_b32_e32 v4, v4, v20, vcc
	v_mov_b32_e32 v20, 0x260
	v_cmp_class_f32_e32 vcc, v3, v20
	v_cndmask_b32_e32 v3, v4, v3, vcc
	v_cmp_le_f32_e32 vcc, 0, v22
	v_cndmask_b32_e64 v4, v3, -v3, vcc
	v_sub_f32_e32 v3, v22, v4
	v_fmac_f32_e32 v19, v3, v3
	v_div_scale_f32 v20, s[8:9], v19, v19, v3
	v_sub_f32_e32 v22, v4, v22
	v_rcp_f32_e32 v21, v20
	v_fma_f32 v23, -v20, v21, 1.0
	v_fmac_f32_e32 v21, v23, v21
	v_div_scale_f32 v23, vcc, v3, v19, v3
	v_mul_f32_e32 v24, v23, v21
	v_fma_f32 v25, -v20, v24, v23
	v_fmac_f32_e32 v24, v25, v21
	v_fma_f32 v20, -v20, v24, v23
	v_div_fmas_f32 v20, v20, v21, v24
	v_div_scale_f32 v21, s[8:9], v19, v19, -v18
	v_rcp_f32_e32 v23, v21
	v_fma_f32 v24, -v21, v23, 1.0
	v_fmac_f32_e32 v23, v24, v23
	v_div_scale_f32 v24, vcc, -v18, v19, -v18
	v_mul_f32_e32 v25, v24, v23
	v_fma_f32 v26, -v21, v25, v24
	v_fmac_f32_e32 v25, v26, v23
	v_fma_f32 v21, -v21, v25, v24
	v_div_fmas_f32 v21, v21, v23, v25
	v_div_scale_f32 v23, s[8:9], v4, v4, v22
	v_rcp_f32_e32 v24, v23
	v_fma_f32 v25, -v23, v24, 1.0
	v_fmac_f32_e32 v24, v25, v24
	v_div_scale_f32 v25, vcc, v22, v4, v22
	v_mul_f32_e32 v26, v25, v24
	v_fma_f32 v27, -v23, v26, v25
	v_fmac_f32_e32 v26, v27, v24
	v_fma_f32 v23, -v23, v26, v25
	v_div_fmas_f32 v23, v23, v24, v26
	v_div_fixup_f32 v22, v23, v4, v22
	v_div_scale_f32 v23, s[8:9], v4, v4, -v18
	v_rcp_f32_e32 v24, v23
	v_fma_f32 v25, -v23, v24, 1.0
	v_fmac_f32_e32 v24, v25, v24
	v_div_scale_f32 v25, vcc, -v18, v4, -v18
	v_mul_f32_e32 v26, v25, v24
	v_fma_f32 v27, -v23, v26, v25
	v_fmac_f32_e32 v26, v27, v24
	v_fma_f32 v23, -v23, v26, v25
	v_div_fmas_f32 v23, v23, v24, v26
	v_mov_b32_e32 v24, s34
	s_and_b64 vcc, exec, s[10:11]
	v_div_fixup_f32 v23, v23, v4, -v18
	ds_write_b64 v24, v[22:23]
	s_cbranch_vccz .LBB101_44
; %bb.22:                               ;   in Loop: Header=BB101_9 Depth=1
	v_mov_b32_e32 v22, s43
	global_store_dword v2, v4, s[20:21]
	ds_write_b32 v22, v17
	s_cbranch_execnz .LBB101_24
.LBB101_23:                             ;   in Loop: Header=BB101_9 Depth=1
	v_mov_b32_e32 v22, s43
	ds_write_b32 v22, v4
.LBB101_24:                             ;   in Loop: Header=BB101_9 Depth=1
	v_div_fixup_f32 v3, v20, v19, v3
	v_div_fixup_f32 v4, v21, v19, -v18
	s_or_b64 s[18:19], s[18:19], exec
.LBB101_25:                             ;   in Loop: Header=BB101_9 Depth=1
	s_or_b64 exec, exec, s[22:23]
	s_and_saveexec_b64 s[8:9], s[18:19]
; %bb.26:                               ;   in Loop: Header=BB101_9 Depth=1
	v_mov_b32_e32 v18, s43
	ds_write_b32 v18, v2 offset:4
; %bb.27:                               ;   in Loop: Header=BB101_9 Depth=1
	s_or_b64 exec, exec, s[8:9]
	v_mov_b32_e32 v20, s34
	ds_read_b64 v[18:19], v20
	s_lshl_b64 s[8:9], s[12:13], 3
	s_add_u32 s8, s30, s8
	s_addc_u32 s9, s31, s9
	s_waitcnt lgkmcnt(0)
	global_store_dwordx2 v2, v[18:19], s[8:9]
	v_xor_b32_e32 v19, 0x80000000, v19
	ds_write2_b64 v20, v[18:19], v[3:4] offset1:1
.LBB101_28:                             ;   in Loop: Header=BB101_9 Depth=1
	s_or_b64 exec, exec, s[14:15]
	s_waitcnt vmcnt(0) lgkmcnt(0)
	s_barrier
	s_and_saveexec_b64 s[8:9], s[6:7]
	s_cbranch_execz .LBB101_31
; %bb.29:                               ;   in Loop: Header=BB101_9 Depth=1
	s_mov_b32 s14, 0
	s_mov_b64 s[6:7], 0
	v_mov_b32_e32 v3, v0
.LBB101_30:                             ;   Parent Loop BB101_9 Depth=1
                                        ; =>  This Inner Loop Header: Depth=2
	v_mov_b32_e32 v18, s34
	v_add_u32_e32 v4, s14, v13
	ds_read_b64 v[18:19], v18 offset:8
	ds_read_b64 v[20:21], v4
	v_add_u32_e32 v3, 0x100, v3
	s_addk_i32 s14, 0x800
	v_cmp_le_i32_e32 vcc, s44, v3
	s_or_b64 s[6:7], vcc, s[6:7]
	s_waitcnt lgkmcnt(0)
	v_mul_f32_e32 v23, v19, v21
	v_mul_f32_e32 v22, v18, v21
	v_fma_f32 v21, v18, v20, -v23
	v_fmac_f32_e32 v22, v19, v20
	ds_write_b64 v4, v[21:22]
	s_andn2_b64 exec, exec, s[6:7]
	s_cbranch_execnz .LBB101_30
.LBB101_31:                             ;   in Loop: Header=BB101_9 Depth=1
	s_or_b64 exec, exec, s[8:9]
	s_not_b32 s6, s12
	s_add_i32 s18, s17, s6
	v_cmp_gt_i32_e32 vcc, s18, v0
	s_waitcnt lgkmcnt(0)
	s_barrier
	s_and_saveexec_b64 s[6:7], vcc
	s_cbranch_execz .LBB101_38
; %bb.32:                               ;   in Loop: Header=BB101_9 Depth=1
	s_cmp_gt_i32 s42, 0
	s_mov_b64 s[8:9], 0
	s_cselect_b64 s[14:15], -1, 0
	v_mov_b32_e32 v3, v14
	v_mov_b32_e32 v4, v0
	s_branch .LBB101_35
.LBB101_33:                             ;   in Loop: Header=BB101_35 Depth=2
	v_mov_b32_e32 v19, 0
.LBB101_34:                             ;   in Loop: Header=BB101_35 Depth=2
	v_mov_b32_e32 v20, s34
	ds_read_b64 v[20:21], v20
	v_lshl_add_u32 v23, v4, 3, s33
	v_add_u32_e32 v4, 0x100, v4
	v_cmp_le_i32_e32 vcc, s18, v4
	s_or_b64 s[8:9], vcc, s[8:9]
	s_waitcnt lgkmcnt(0)
	v_mul_f32_e32 v24, v18, v21
	v_mul_f32_e32 v22, v19, v21
	v_fma_f32 v21, v19, v20, -v24
	v_fmac_f32_e32 v22, v18, v20
	v_add_u32_e32 v3, s37, v3
	ds_write_b64 v23, v[21:22]
	s_andn2_b64 exec, exec, s[8:9]
	s_cbranch_execz .LBB101_38
.LBB101_35:                             ;   Parent Loop BB101_9 Depth=1
                                        ; =>  This Loop Header: Depth=2
                                        ;       Child Loop BB101_37 Depth 3
	v_mov_b32_e32 v18, 0
	s_andn2_b64 vcc, exec, s[14:15]
	s_cbranch_vccnz .LBB101_33
; %bb.36:                               ;   in Loop: Header=BB101_35 Depth=2
	s_mov_b32 s19, s39
	s_mov_b32 s20, s41
	v_mov_b32_e32 v20, v3
	v_mov_b32_e32 v19, 0
.LBB101_37:                             ;   Parent Loop BB101_9 Depth=1
                                        ;     Parent Loop BB101_35 Depth=2
                                        ; =>    This Inner Loop Header: Depth=3
	v_mov_b32_e32 v23, s19
	ds_read_b64 v[21:22], v20
	ds_read_b64 v[23:24], v23
	s_add_i32 s20, s20, -1
	s_add_i32 s19, s19, 8
	v_add_u32_e32 v20, 8, v20
	s_cmp_eq_u32 s20, 0
	s_waitcnt lgkmcnt(0)
	v_mul_f32_e32 v25, v24, v22
	v_mul_f32_e32 v24, v24, v21
	v_fmac_f32_e32 v25, v23, v21
	v_fma_f32 v21, v23, v22, -v24
	v_add_f32_e32 v19, v19, v25
	v_add_f32_e32 v18, v18, v21
	s_cbranch_scc0 .LBB101_37
	s_branch .LBB101_34
.LBB101_38:                             ;   in Loop: Header=BB101_9 Depth=1
	s_or_b64 exec, exec, s[6:7]
	v_cmp_gt_i32_e32 vcc, s42, v0
	s_waitcnt lgkmcnt(0)
	s_barrier
	s_and_saveexec_b64 s[6:7], vcc
	s_cbranch_execz .LBB101_8
; %bb.39:                               ;   in Loop: Header=BB101_9 Depth=1
	s_cmp_gt_i32 s18, 0
	s_mov_b64 s[8:9], 0
	s_cselect_b64 s[14:15], -1, 0
	v_mov_b32_e32 v3, v15
	v_mov_b32_e32 v4, v0
	s_branch .LBB101_41
.LBB101_40:                             ;   in Loop: Header=BB101_41 Depth=2
	v_add_u32_e32 v4, 0x100, v4
	v_cmp_le_i32_e32 vcc, s42, v4
	s_or_b64 s[8:9], vcc, s[8:9]
	v_add_u32_e32 v3, 0x800, v3
	s_andn2_b64 exec, exec, s[8:9]
	s_cbranch_execz .LBB101_8
.LBB101_41:                             ;   Parent Loop BB101_9 Depth=1
                                        ; =>  This Loop Header: Depth=2
                                        ;       Child Loop BB101_43 Depth 3
	s_andn2_b64 vcc, exec, s[14:15]
	s_cbranch_vccnz .LBB101_40
; %bb.42:                               ;   in Loop: Header=BB101_41 Depth=2
	v_lshl_add_u32 v18, v4, 3, s43
	s_mov_b32 s18, 1
	s_mov_b32 s19, s33
	v_mov_b32_e32 v19, v3
.LBB101_43:                             ;   Parent Loop BB101_9 Depth=1
                                        ;     Parent Loop BB101_41 Depth=2
                                        ; =>    This Inner Loop Header: Depth=3
	v_mov_b32_e32 v24, s19
	ds_read_b64 v[20:21], v18
	ds_read_b64 v[24:25], v24
	;; [unrolled: 1-line block ×3, first 2 shown]
	s_add_i32 s18, s18, 1
	s_add_i32 s19, s19, 8
	s_cmp_eq_u32 s40, s18
	s_waitcnt lgkmcnt(1)
	v_mul_f32_e32 v26, v25, v21
	v_mul_f32_e32 v21, v24, v21
	v_fma_f32 v24, v24, v20, -v26
	v_fmac_f32_e32 v21, v25, v20
	s_waitcnt lgkmcnt(0)
	v_sub_f32_e32 v20, v22, v24
	v_sub_f32_e32 v21, v23, v21
	ds_write_b64 v19, v[20:21]
	v_add_u32_e32 v19, s35, v19
	s_cbranch_scc0 .LBB101_43
	s_branch .LBB101_40
.LBB101_44:                             ;   in Loop: Header=BB101_9 Depth=1
	s_branch .LBB101_23
.LBB101_45:
	s_and_saveexec_b64 s[2:3], s[0:1]
	s_cbranch_execz .LBB101_51
; %bb.46:
	v_mul_lo_u32 v0, s16, v5
	v_mad_u64_u32 v[2:3], s[0:1], s26, v5, v[1:2]
	v_cmp_gt_i32_e32 vcc, s17, v5
	v_lshlrev_b32_e32 v0, 3, v0
	s_lshl_b32 s8, s26, 1
	v_add3_u32 v0, v0, v6, 0
	s_lshl_b32 s9, s16, 4
	s_mov_b64 s[2:3], 0
	s_branch .LBB101_48
.LBB101_47:                             ;   in Loop: Header=BB101_48 Depth=1
	s_or_b64 exec, exec, s[4:5]
	v_add_u32_e32 v1, 0x80, v1
	v_cmp_le_i32_e64 s[0:1], s16, v1
	v_add_u32_e32 v2, 0x80, v2
	s_or_b64 s[2:3], s[0:1], s[2:3]
	v_add_u32_e32 v0, 0x400, v0
	s_andn2_b64 exec, exec, s[2:3]
	s_cbranch_execz .LBB101_51
.LBB101_48:                             ; =>This Loop Header: Depth=1
                                        ;     Child Loop BB101_50 Depth 2
	s_and_saveexec_b64 s[4:5], vcc
	s_cbranch_execz .LBB101_47
; %bb.49:                               ;   in Loop: Header=BB101_48 Depth=1
	s_mov_b64 s[6:7], 0
	v_mov_b32_e32 v6, v0
	v_mov_b32_e32 v3, v2
	;; [unrolled: 1-line block ×3, first 2 shown]
.LBB101_50:                             ;   Parent Loop BB101_48 Depth=1
                                        ; =>  This Inner Loop Header: Depth=2
	v_ashrrev_i32_e32 v4, 31, v3
	ds_read_b64 v[8:9], v6
	v_add_u32_e32 v7, 2, v7
	v_lshlrev_b64 v[10:11], 3, v[3:4]
	v_cmp_le_i32_e64 s[0:1], s17, v7
	v_mov_b32_e32 v12, s25
	s_or_b64 s[6:7], s[0:1], s[6:7]
	v_add_co_u32_e64 v10, s[0:1], s24, v10
	v_add_u32_e32 v6, s9, v6
	v_add_u32_e32 v3, s8, v3
	v_addc_co_u32_e64 v11, s[0:1], v12, v11, s[0:1]
	s_waitcnt lgkmcnt(0)
	global_store_dwordx2 v[10:11], v[8:9], off
	s_andn2_b64 exec, exec, s[6:7]
	s_cbranch_execnz .LBB101_50
	s_branch .LBB101_47
.LBB101_51:
	s_endpgm
	.section	.rodata,"a",@progbits
	.p2align	6, 0x0
	.amdhsa_kernel _ZN9rocsolver6v33100L18geqr2_kernel_smallILi256E19rocblas_complex_numIfEifPS3_EEvT1_S5_T3_lS5_lPT2_lPT0_l
		.amdhsa_group_segment_fixed_size 0
		.amdhsa_private_segment_fixed_size 0
		.amdhsa_kernarg_size 72
		.amdhsa_user_sgpr_count 6
		.amdhsa_user_sgpr_private_segment_buffer 1
		.amdhsa_user_sgpr_dispatch_ptr 0
		.amdhsa_user_sgpr_queue_ptr 0
		.amdhsa_user_sgpr_kernarg_segment_ptr 1
		.amdhsa_user_sgpr_dispatch_id 0
		.amdhsa_user_sgpr_flat_scratch_init 0
		.amdhsa_user_sgpr_private_segment_size 0
		.amdhsa_uses_dynamic_stack 0
		.amdhsa_system_sgpr_private_segment_wavefront_offset 0
		.amdhsa_system_sgpr_workgroup_id_x 1
		.amdhsa_system_sgpr_workgroup_id_y 0
		.amdhsa_system_sgpr_workgroup_id_z 1
		.amdhsa_system_sgpr_workgroup_info 0
		.amdhsa_system_vgpr_workitem_id 0
		.amdhsa_next_free_vgpr 28
		.amdhsa_next_free_sgpr 45
		.amdhsa_reserve_vcc 1
		.amdhsa_reserve_flat_scratch 0
		.amdhsa_float_round_mode_32 0
		.amdhsa_float_round_mode_16_64 0
		.amdhsa_float_denorm_mode_32 3
		.amdhsa_float_denorm_mode_16_64 3
		.amdhsa_dx10_clamp 1
		.amdhsa_ieee_mode 1
		.amdhsa_fp16_overflow 0
		.amdhsa_exception_fp_ieee_invalid_op 0
		.amdhsa_exception_fp_denorm_src 0
		.amdhsa_exception_fp_ieee_div_zero 0
		.amdhsa_exception_fp_ieee_overflow 0
		.amdhsa_exception_fp_ieee_underflow 0
		.amdhsa_exception_fp_ieee_inexact 0
		.amdhsa_exception_int_div_zero 0
	.end_amdhsa_kernel
	.section	.text._ZN9rocsolver6v33100L18geqr2_kernel_smallILi256E19rocblas_complex_numIfEifPS3_EEvT1_S5_T3_lS5_lPT2_lPT0_l,"axG",@progbits,_ZN9rocsolver6v33100L18geqr2_kernel_smallILi256E19rocblas_complex_numIfEifPS3_EEvT1_S5_T3_lS5_lPT2_lPT0_l,comdat
.Lfunc_end101:
	.size	_ZN9rocsolver6v33100L18geqr2_kernel_smallILi256E19rocblas_complex_numIfEifPS3_EEvT1_S5_T3_lS5_lPT2_lPT0_l, .Lfunc_end101-_ZN9rocsolver6v33100L18geqr2_kernel_smallILi256E19rocblas_complex_numIfEifPS3_EEvT1_S5_T3_lS5_lPT2_lPT0_l
                                        ; -- End function
	.set _ZN9rocsolver6v33100L18geqr2_kernel_smallILi256E19rocblas_complex_numIfEifPS3_EEvT1_S5_T3_lS5_lPT2_lPT0_l.num_vgpr, 28
	.set _ZN9rocsolver6v33100L18geqr2_kernel_smallILi256E19rocblas_complex_numIfEifPS3_EEvT1_S5_T3_lS5_lPT2_lPT0_l.num_agpr, 0
	.set _ZN9rocsolver6v33100L18geqr2_kernel_smallILi256E19rocblas_complex_numIfEifPS3_EEvT1_S5_T3_lS5_lPT2_lPT0_l.numbered_sgpr, 45
	.set _ZN9rocsolver6v33100L18geqr2_kernel_smallILi256E19rocblas_complex_numIfEifPS3_EEvT1_S5_T3_lS5_lPT2_lPT0_l.num_named_barrier, 0
	.set _ZN9rocsolver6v33100L18geqr2_kernel_smallILi256E19rocblas_complex_numIfEifPS3_EEvT1_S5_T3_lS5_lPT2_lPT0_l.private_seg_size, 0
	.set _ZN9rocsolver6v33100L18geqr2_kernel_smallILi256E19rocblas_complex_numIfEifPS3_EEvT1_S5_T3_lS5_lPT2_lPT0_l.uses_vcc, 1
	.set _ZN9rocsolver6v33100L18geqr2_kernel_smallILi256E19rocblas_complex_numIfEifPS3_EEvT1_S5_T3_lS5_lPT2_lPT0_l.uses_flat_scratch, 0
	.set _ZN9rocsolver6v33100L18geqr2_kernel_smallILi256E19rocblas_complex_numIfEifPS3_EEvT1_S5_T3_lS5_lPT2_lPT0_l.has_dyn_sized_stack, 0
	.set _ZN9rocsolver6v33100L18geqr2_kernel_smallILi256E19rocblas_complex_numIfEifPS3_EEvT1_S5_T3_lS5_lPT2_lPT0_l.has_recursion, 0
	.set _ZN9rocsolver6v33100L18geqr2_kernel_smallILi256E19rocblas_complex_numIfEifPS3_EEvT1_S5_T3_lS5_lPT2_lPT0_l.has_indirect_call, 0
	.section	.AMDGPU.csdata,"",@progbits
; Kernel info:
; codeLenInByte = 2692
; TotalNumSgprs: 49
; NumVgprs: 28
; ScratchSize: 0
; MemoryBound: 0
; FloatMode: 240
; IeeeMode: 1
; LDSByteSize: 0 bytes/workgroup (compile time only)
; SGPRBlocks: 6
; VGPRBlocks: 6
; NumSGPRsForWavesPerEU: 49
; NumVGPRsForWavesPerEU: 28
; Occupancy: 9
; WaveLimiterHint : 0
; COMPUTE_PGM_RSRC2:SCRATCH_EN: 0
; COMPUTE_PGM_RSRC2:USER_SGPR: 6
; COMPUTE_PGM_RSRC2:TRAP_HANDLER: 0
; COMPUTE_PGM_RSRC2:TGID_X_EN: 1
; COMPUTE_PGM_RSRC2:TGID_Y_EN: 0
; COMPUTE_PGM_RSRC2:TGID_Z_EN: 1
; COMPUTE_PGM_RSRC2:TIDIG_COMP_CNT: 0
	.section	.text._ZN9rocsolver6v33100L16reset_batch_infoI19rocblas_complex_numIfEiiPS3_EEvT2_lT0_T1_,"axG",@progbits,_ZN9rocsolver6v33100L16reset_batch_infoI19rocblas_complex_numIfEiiPS3_EEvT2_lT0_T1_,comdat
	.globl	_ZN9rocsolver6v33100L16reset_batch_infoI19rocblas_complex_numIfEiiPS3_EEvT2_lT0_T1_ ; -- Begin function _ZN9rocsolver6v33100L16reset_batch_infoI19rocblas_complex_numIfEiiPS3_EEvT2_lT0_T1_
	.p2align	8
	.type	_ZN9rocsolver6v33100L16reset_batch_infoI19rocblas_complex_numIfEiiPS3_EEvT2_lT0_T1_,@function
_ZN9rocsolver6v33100L16reset_batch_infoI19rocblas_complex_numIfEiiPS3_EEvT2_lT0_T1_: ; @_ZN9rocsolver6v33100L16reset_batch_infoI19rocblas_complex_numIfEiiPS3_EEvT2_lT0_T1_
; %bb.0:
	s_load_dword s2, s[4:5], 0x24
	s_load_dwordx2 s[0:1], s[4:5], 0x10
	s_waitcnt lgkmcnt(0)
	s_and_b32 s2, s2, 0xffff
	s_mul_i32 s6, s6, s2
	v_add_u32_e32 v0, s6, v0
	v_cmp_gt_i32_e32 vcc, s0, v0
	s_and_saveexec_b64 s[2:3], vcc
	s_cbranch_execz .LBB102_2
; %bb.1:
	s_load_dwordx4 s[8:11], s[4:5], 0x0
	s_ashr_i32 s0, s7, 31
	v_ashrrev_i32_e32 v1, 31, v0
	v_lshlrev_b64 v[0:1], 3, v[0:1]
	v_cvt_f32_i32_e32 v2, s1
	s_waitcnt lgkmcnt(0)
	s_mul_hi_u32 s3, s10, s7
	s_mul_i32 s0, s10, s0
	s_mul_i32 s4, s11, s7
	s_add_i32 s0, s3, s0
	s_mul_i32 s2, s10, s7
	s_add_i32 s3, s0, s4
	s_lshl_b64 s[2:3], s[2:3], 3
	s_add_u32 s0, s8, s2
	s_addc_u32 s2, s9, s3
	v_mov_b32_e32 v3, s2
	v_add_co_u32_e32 v0, vcc, s0, v0
	v_addc_co_u32_e32 v1, vcc, v3, v1, vcc
	v_mov_b32_e32 v3, 0
	global_store_dwordx2 v[0:1], v[2:3], off
.LBB102_2:
	s_endpgm
	.section	.rodata,"a",@progbits
	.p2align	6, 0x0
	.amdhsa_kernel _ZN9rocsolver6v33100L16reset_batch_infoI19rocblas_complex_numIfEiiPS3_EEvT2_lT0_T1_
		.amdhsa_group_segment_fixed_size 0
		.amdhsa_private_segment_fixed_size 0
		.amdhsa_kernarg_size 280
		.amdhsa_user_sgpr_count 6
		.amdhsa_user_sgpr_private_segment_buffer 1
		.amdhsa_user_sgpr_dispatch_ptr 0
		.amdhsa_user_sgpr_queue_ptr 0
		.amdhsa_user_sgpr_kernarg_segment_ptr 1
		.amdhsa_user_sgpr_dispatch_id 0
		.amdhsa_user_sgpr_flat_scratch_init 0
		.amdhsa_user_sgpr_private_segment_size 0
		.amdhsa_uses_dynamic_stack 0
		.amdhsa_system_sgpr_private_segment_wavefront_offset 0
		.amdhsa_system_sgpr_workgroup_id_x 1
		.amdhsa_system_sgpr_workgroup_id_y 1
		.amdhsa_system_sgpr_workgroup_id_z 0
		.amdhsa_system_sgpr_workgroup_info 0
		.amdhsa_system_vgpr_workitem_id 0
		.amdhsa_next_free_vgpr 4
		.amdhsa_next_free_sgpr 12
		.amdhsa_reserve_vcc 1
		.amdhsa_reserve_flat_scratch 0
		.amdhsa_float_round_mode_32 0
		.amdhsa_float_round_mode_16_64 0
		.amdhsa_float_denorm_mode_32 3
		.amdhsa_float_denorm_mode_16_64 3
		.amdhsa_dx10_clamp 1
		.amdhsa_ieee_mode 1
		.amdhsa_fp16_overflow 0
		.amdhsa_exception_fp_ieee_invalid_op 0
		.amdhsa_exception_fp_denorm_src 0
		.amdhsa_exception_fp_ieee_div_zero 0
		.amdhsa_exception_fp_ieee_overflow 0
		.amdhsa_exception_fp_ieee_underflow 0
		.amdhsa_exception_fp_ieee_inexact 0
		.amdhsa_exception_int_div_zero 0
	.end_amdhsa_kernel
	.section	.text._ZN9rocsolver6v33100L16reset_batch_infoI19rocblas_complex_numIfEiiPS3_EEvT2_lT0_T1_,"axG",@progbits,_ZN9rocsolver6v33100L16reset_batch_infoI19rocblas_complex_numIfEiiPS3_EEvT2_lT0_T1_,comdat
.Lfunc_end102:
	.size	_ZN9rocsolver6v33100L16reset_batch_infoI19rocblas_complex_numIfEiiPS3_EEvT2_lT0_T1_, .Lfunc_end102-_ZN9rocsolver6v33100L16reset_batch_infoI19rocblas_complex_numIfEiiPS3_EEvT2_lT0_T1_
                                        ; -- End function
	.set _ZN9rocsolver6v33100L16reset_batch_infoI19rocblas_complex_numIfEiiPS3_EEvT2_lT0_T1_.num_vgpr, 4
	.set _ZN9rocsolver6v33100L16reset_batch_infoI19rocblas_complex_numIfEiiPS3_EEvT2_lT0_T1_.num_agpr, 0
	.set _ZN9rocsolver6v33100L16reset_batch_infoI19rocblas_complex_numIfEiiPS3_EEvT2_lT0_T1_.numbered_sgpr, 12
	.set _ZN9rocsolver6v33100L16reset_batch_infoI19rocblas_complex_numIfEiiPS3_EEvT2_lT0_T1_.num_named_barrier, 0
	.set _ZN9rocsolver6v33100L16reset_batch_infoI19rocblas_complex_numIfEiiPS3_EEvT2_lT0_T1_.private_seg_size, 0
	.set _ZN9rocsolver6v33100L16reset_batch_infoI19rocblas_complex_numIfEiiPS3_EEvT2_lT0_T1_.uses_vcc, 1
	.set _ZN9rocsolver6v33100L16reset_batch_infoI19rocblas_complex_numIfEiiPS3_EEvT2_lT0_T1_.uses_flat_scratch, 0
	.set _ZN9rocsolver6v33100L16reset_batch_infoI19rocblas_complex_numIfEiiPS3_EEvT2_lT0_T1_.has_dyn_sized_stack, 0
	.set _ZN9rocsolver6v33100L16reset_batch_infoI19rocblas_complex_numIfEiiPS3_EEvT2_lT0_T1_.has_recursion, 0
	.set _ZN9rocsolver6v33100L16reset_batch_infoI19rocblas_complex_numIfEiiPS3_EEvT2_lT0_T1_.has_indirect_call, 0
	.section	.AMDGPU.csdata,"",@progbits
; Kernel info:
; codeLenInByte = 144
; TotalNumSgprs: 16
; NumVgprs: 4
; ScratchSize: 0
; MemoryBound: 0
; FloatMode: 240
; IeeeMode: 1
; LDSByteSize: 0 bytes/workgroup (compile time only)
; SGPRBlocks: 1
; VGPRBlocks: 0
; NumSGPRsForWavesPerEU: 16
; NumVGPRsForWavesPerEU: 4
; Occupancy: 10
; WaveLimiterHint : 0
; COMPUTE_PGM_RSRC2:SCRATCH_EN: 0
; COMPUTE_PGM_RSRC2:USER_SGPR: 6
; COMPUTE_PGM_RSRC2:TRAP_HANDLER: 0
; COMPUTE_PGM_RSRC2:TGID_X_EN: 1
; COMPUTE_PGM_RSRC2:TGID_Y_EN: 1
; COMPUTE_PGM_RSRC2:TGID_Z_EN: 0
; COMPUTE_PGM_RSRC2:TIDIG_COMP_CNT: 0
	.section	.text._ZN9rocsolver6v33100L8set_diagI19rocblas_complex_numIfEifPS3_TnNSt9enable_ifIXaa18rocblas_is_complexIT_Ent18rocblas_is_complexIT1_EEiE4typeELi0EEEvPS7_llT2_lT0_lSC_b,"axG",@progbits,_ZN9rocsolver6v33100L8set_diagI19rocblas_complex_numIfEifPS3_TnNSt9enable_ifIXaa18rocblas_is_complexIT_Ent18rocblas_is_complexIT1_EEiE4typeELi0EEEvPS7_llT2_lT0_lSC_b,comdat
	.globl	_ZN9rocsolver6v33100L8set_diagI19rocblas_complex_numIfEifPS3_TnNSt9enable_ifIXaa18rocblas_is_complexIT_Ent18rocblas_is_complexIT1_EEiE4typeELi0EEEvPS7_llT2_lT0_lSC_b ; -- Begin function _ZN9rocsolver6v33100L8set_diagI19rocblas_complex_numIfEifPS3_TnNSt9enable_ifIXaa18rocblas_is_complexIT_Ent18rocblas_is_complexIT1_EEiE4typeELi0EEEvPS7_llT2_lT0_lSC_b
	.p2align	8
	.type	_ZN9rocsolver6v33100L8set_diagI19rocblas_complex_numIfEifPS3_TnNSt9enable_ifIXaa18rocblas_is_complexIT_Ent18rocblas_is_complexIT1_EEiE4typeELi0EEEvPS7_llT2_lT0_lSC_b,@function
_ZN9rocsolver6v33100L8set_diagI19rocblas_complex_numIfEifPS3_TnNSt9enable_ifIXaa18rocblas_is_complexIT_Ent18rocblas_is_complexIT1_EEiE4typeELi0EEEvPS7_llT2_lT0_lSC_b: ; @_ZN9rocsolver6v33100L8set_diagI19rocblas_complex_numIfEifPS3_TnNSt9enable_ifIXaa18rocblas_is_complexIT_Ent18rocblas_is_complexIT1_EEiE4typeELi0EEEvPS7_llT2_lT0_lSC_b
; %bb.0:
	s_load_dword s2, s[4:5], 0x4c
	s_load_dwordx2 s[0:1], s[4:5], 0x38
	s_waitcnt lgkmcnt(0)
	s_lshr_b32 s2, s2, 16
	s_mul_i32 s7, s7, s2
	v_add_u32_e32 v0, s7, v1
	v_cmp_gt_i32_e32 vcc, s0, v0
	s_and_saveexec_b64 s[2:3], vcc
	s_cbranch_execz .LBB103_5
; %bb.1:
	s_load_dwordx2 s[2:3], s[4:5], 0x20
	s_load_dword s7, s[4:5], 0x28
	s_load_dwordx2 s[16:17], s[4:5], 0x30
	s_load_dwordx8 s[8:15], s[4:5], 0x0
	s_bitcmp1_b32 s1, 0
	s_cselect_b64 s[0:1], -1, 0
	s_ashr_i32 s18, s6, 31
	s_waitcnt lgkmcnt(0)
	s_mul_hi_u32 s4, s16, s6
	s_mul_i32 s5, s16, s18
	s_add_i32 s4, s4, s5
	s_mul_i32 s5, s17, s6
	s_add_i32 s5, s4, s5
	s_mul_i32 s4, s16, s6
	s_lshl_b64 s[4:5], s[4:5], 3
	s_add_u32 s14, s14, s4
	s_addc_u32 s15, s15, s5
	v_mad_u64_u32 v[1:2], s[4:5], v0, s7, v[0:1]
	s_lshl_b64 s[2:3], s[2:3], 3
	s_add_u32 s2, s14, s2
	v_ashrrev_i32_e32 v2, 31, v1
	v_lshlrev_b64 v[2:3], 3, v[1:2]
	s_addc_u32 s3, s15, s3
	v_mov_b32_e32 v1, s3
	v_add_co_u32_e32 v2, vcc, s2, v2
	v_addc_co_u32_e32 v3, vcc, v1, v3, vcc
	global_load_dword v4, v[2:3], off
	s_mul_hi_u32 s3, s12, s6
	s_mul_i32 s4, s12, s18
	s_mul_i32 s5, s13, s6
	s_add_i32 s3, s3, s4
	s_mul_i32 s2, s12, s6
	s_add_i32 s3, s3, s5
	s_lshl_b64 s[2:3], s[2:3], 2
	s_add_u32 s4, s8, s2
	v_ashrrev_i32_e32 v1, 31, v0
	s_addc_u32 s5, s9, s3
	s_lshl_b64 s[2:3], s[10:11], 2
	v_lshlrev_b64 v[0:1], 2, v[0:1]
	s_add_u32 s2, s4, s2
	s_addc_u32 s3, s5, s3
	s_and_b64 vcc, exec, s[0:1]
	v_mov_b32_e32 v5, s3
	v_add_co_u32_e64 v0, s[0:1], s2, v0
	v_addc_co_u32_e64 v1, s[0:1], v5, v1, s[0:1]
	s_waitcnt vmcnt(0)
	global_store_dword v[0:1], v4, off
	s_cbranch_vccnz .LBB103_3
; %bb.2:
	global_load_dword v5, v[2:3], off offset:4
	s_branch .LBB103_4
.LBB103_3:
	v_mov_b32_e32 v4, 1.0
	v_mov_b32_e32 v5, 0
.LBB103_4:
	s_waitcnt vmcnt(0)
	global_store_dwordx2 v[2:3], v[4:5], off
.LBB103_5:
	s_endpgm
	.section	.rodata,"a",@progbits
	.p2align	6, 0x0
	.amdhsa_kernel _ZN9rocsolver6v33100L8set_diagI19rocblas_complex_numIfEifPS3_TnNSt9enable_ifIXaa18rocblas_is_complexIT_Ent18rocblas_is_complexIT1_EEiE4typeELi0EEEvPS7_llT2_lT0_lSC_b
		.amdhsa_group_segment_fixed_size 0
		.amdhsa_private_segment_fixed_size 0
		.amdhsa_kernarg_size 320
		.amdhsa_user_sgpr_count 6
		.amdhsa_user_sgpr_private_segment_buffer 1
		.amdhsa_user_sgpr_dispatch_ptr 0
		.amdhsa_user_sgpr_queue_ptr 0
		.amdhsa_user_sgpr_kernarg_segment_ptr 1
		.amdhsa_user_sgpr_dispatch_id 0
		.amdhsa_user_sgpr_flat_scratch_init 0
		.amdhsa_user_sgpr_private_segment_size 0
		.amdhsa_uses_dynamic_stack 0
		.amdhsa_system_sgpr_private_segment_wavefront_offset 0
		.amdhsa_system_sgpr_workgroup_id_x 1
		.amdhsa_system_sgpr_workgroup_id_y 1
		.amdhsa_system_sgpr_workgroup_id_z 0
		.amdhsa_system_sgpr_workgroup_info 0
		.amdhsa_system_vgpr_workitem_id 1
		.amdhsa_next_free_vgpr 6
		.amdhsa_next_free_sgpr 19
		.amdhsa_reserve_vcc 1
		.amdhsa_reserve_flat_scratch 0
		.amdhsa_float_round_mode_32 0
		.amdhsa_float_round_mode_16_64 0
		.amdhsa_float_denorm_mode_32 3
		.amdhsa_float_denorm_mode_16_64 3
		.amdhsa_dx10_clamp 1
		.amdhsa_ieee_mode 1
		.amdhsa_fp16_overflow 0
		.amdhsa_exception_fp_ieee_invalid_op 0
		.amdhsa_exception_fp_denorm_src 0
		.amdhsa_exception_fp_ieee_div_zero 0
		.amdhsa_exception_fp_ieee_overflow 0
		.amdhsa_exception_fp_ieee_underflow 0
		.amdhsa_exception_fp_ieee_inexact 0
		.amdhsa_exception_int_div_zero 0
	.end_amdhsa_kernel
	.section	.text._ZN9rocsolver6v33100L8set_diagI19rocblas_complex_numIfEifPS3_TnNSt9enable_ifIXaa18rocblas_is_complexIT_Ent18rocblas_is_complexIT1_EEiE4typeELi0EEEvPS7_llT2_lT0_lSC_b,"axG",@progbits,_ZN9rocsolver6v33100L8set_diagI19rocblas_complex_numIfEifPS3_TnNSt9enable_ifIXaa18rocblas_is_complexIT_Ent18rocblas_is_complexIT1_EEiE4typeELi0EEEvPS7_llT2_lT0_lSC_b,comdat
.Lfunc_end103:
	.size	_ZN9rocsolver6v33100L8set_diagI19rocblas_complex_numIfEifPS3_TnNSt9enable_ifIXaa18rocblas_is_complexIT_Ent18rocblas_is_complexIT1_EEiE4typeELi0EEEvPS7_llT2_lT0_lSC_b, .Lfunc_end103-_ZN9rocsolver6v33100L8set_diagI19rocblas_complex_numIfEifPS3_TnNSt9enable_ifIXaa18rocblas_is_complexIT_Ent18rocblas_is_complexIT1_EEiE4typeELi0EEEvPS7_llT2_lT0_lSC_b
                                        ; -- End function
	.set _ZN9rocsolver6v33100L8set_diagI19rocblas_complex_numIfEifPS3_TnNSt9enable_ifIXaa18rocblas_is_complexIT_Ent18rocblas_is_complexIT1_EEiE4typeELi0EEEvPS7_llT2_lT0_lSC_b.num_vgpr, 6
	.set _ZN9rocsolver6v33100L8set_diagI19rocblas_complex_numIfEifPS3_TnNSt9enable_ifIXaa18rocblas_is_complexIT_Ent18rocblas_is_complexIT1_EEiE4typeELi0EEEvPS7_llT2_lT0_lSC_b.num_agpr, 0
	.set _ZN9rocsolver6v33100L8set_diagI19rocblas_complex_numIfEifPS3_TnNSt9enable_ifIXaa18rocblas_is_complexIT_Ent18rocblas_is_complexIT1_EEiE4typeELi0EEEvPS7_llT2_lT0_lSC_b.numbered_sgpr, 19
	.set _ZN9rocsolver6v33100L8set_diagI19rocblas_complex_numIfEifPS3_TnNSt9enable_ifIXaa18rocblas_is_complexIT_Ent18rocblas_is_complexIT1_EEiE4typeELi0EEEvPS7_llT2_lT0_lSC_b.num_named_barrier, 0
	.set _ZN9rocsolver6v33100L8set_diagI19rocblas_complex_numIfEifPS3_TnNSt9enable_ifIXaa18rocblas_is_complexIT_Ent18rocblas_is_complexIT1_EEiE4typeELi0EEEvPS7_llT2_lT0_lSC_b.private_seg_size, 0
	.set _ZN9rocsolver6v33100L8set_diagI19rocblas_complex_numIfEifPS3_TnNSt9enable_ifIXaa18rocblas_is_complexIT_Ent18rocblas_is_complexIT1_EEiE4typeELi0EEEvPS7_llT2_lT0_lSC_b.uses_vcc, 1
	.set _ZN9rocsolver6v33100L8set_diagI19rocblas_complex_numIfEifPS3_TnNSt9enable_ifIXaa18rocblas_is_complexIT_Ent18rocblas_is_complexIT1_EEiE4typeELi0EEEvPS7_llT2_lT0_lSC_b.uses_flat_scratch, 0
	.set _ZN9rocsolver6v33100L8set_diagI19rocblas_complex_numIfEifPS3_TnNSt9enable_ifIXaa18rocblas_is_complexIT_Ent18rocblas_is_complexIT1_EEiE4typeELi0EEEvPS7_llT2_lT0_lSC_b.has_dyn_sized_stack, 0
	.set _ZN9rocsolver6v33100L8set_diagI19rocblas_complex_numIfEifPS3_TnNSt9enable_ifIXaa18rocblas_is_complexIT_Ent18rocblas_is_complexIT1_EEiE4typeELi0EEEvPS7_llT2_lT0_lSC_b.has_recursion, 0
	.set _ZN9rocsolver6v33100L8set_diagI19rocblas_complex_numIfEifPS3_TnNSt9enable_ifIXaa18rocblas_is_complexIT_Ent18rocblas_is_complexIT1_EEiE4typeELi0EEEvPS7_llT2_lT0_lSC_b.has_indirect_call, 0
	.section	.AMDGPU.csdata,"",@progbits
; Kernel info:
; codeLenInByte = 316
; TotalNumSgprs: 23
; NumVgprs: 6
; ScratchSize: 0
; MemoryBound: 0
; FloatMode: 240
; IeeeMode: 1
; LDSByteSize: 0 bytes/workgroup (compile time only)
; SGPRBlocks: 2
; VGPRBlocks: 1
; NumSGPRsForWavesPerEU: 23
; NumVGPRsForWavesPerEU: 6
; Occupancy: 10
; WaveLimiterHint : 0
; COMPUTE_PGM_RSRC2:SCRATCH_EN: 0
; COMPUTE_PGM_RSRC2:USER_SGPR: 6
; COMPUTE_PGM_RSRC2:TRAP_HANDLER: 0
; COMPUTE_PGM_RSRC2:TGID_X_EN: 1
; COMPUTE_PGM_RSRC2:TGID_Y_EN: 1
; COMPUTE_PGM_RSRC2:TGID_Z_EN: 0
; COMPUTE_PGM_RSRC2:TIDIG_COMP_CNT: 1
	.section	.text._ZN9rocsolver6v33100L11set_taubetaI19rocblas_complex_numIfEifPS3_EEvPT_lS6_T2_llPT1_ll,"axG",@progbits,_ZN9rocsolver6v33100L11set_taubetaI19rocblas_complex_numIfEifPS3_EEvPT_lS6_T2_llPT1_ll,comdat
	.globl	_ZN9rocsolver6v33100L11set_taubetaI19rocblas_complex_numIfEifPS3_EEvPT_lS6_T2_llPT1_ll ; -- Begin function _ZN9rocsolver6v33100L11set_taubetaI19rocblas_complex_numIfEifPS3_EEvPT_lS6_T2_llPT1_ll
	.p2align	8
	.type	_ZN9rocsolver6v33100L11set_taubetaI19rocblas_complex_numIfEifPS3_EEvPT_lS6_T2_llPT1_ll,@function
_ZN9rocsolver6v33100L11set_taubetaI19rocblas_complex_numIfEifPS3_EEvPT_lS6_T2_llPT1_ll: ; @_ZN9rocsolver6v33100L11set_taubetaI19rocblas_complex_numIfEifPS3_EEvPT_lS6_T2_llPT1_ll
; %bb.0:
	s_load_dwordx16 s[8:23], s[4:5], 0x0
	s_ashr_i32 s7, s6, 31
	s_mov_b64 s[0:1], 0
	s_mov_b64 s[24:25], 0
	s_waitcnt lgkmcnt(0)
	s_cmp_eq_u64 s[20:21], 0
	s_cbranch_scc1 .LBB104_2
; %bb.1:
	s_load_dwordx2 s[2:3], s[4:5], 0x40
	s_waitcnt lgkmcnt(0)
	s_mul_i32 s4, s2, s7
	s_mul_hi_u32 s5, s2, s6
	s_mul_i32 s3, s3, s6
	s_add_i32 s4, s5, s4
	s_mul_i32 s2, s2, s6
	s_add_i32 s3, s4, s3
	s_lshl_b64 s[2:3], s[2:3], 2
	s_add_u32 s4, s20, s2
	s_addc_u32 s5, s21, s3
	s_lshl_b64 s[2:3], s[22:23], 2
	s_add_u32 s24, s4, s2
	s_addc_u32 s25, s5, s3
.LBB104_2:
	s_mul_i32 s2, s18, s7
	s_mul_hi_u32 s3, s18, s6
	s_add_i32 s2, s3, s2
	s_mul_i32 s3, s19, s6
	s_add_i32 s3, s2, s3
	s_mul_i32 s2, s18, s6
	s_lshl_b64 s[2:3], s[2:3], 3
	s_add_u32 s4, s14, s2
	s_addc_u32 s5, s15, s3
	s_lshl_b64 s[2:3], s[16:17], 3
	s_add_u32 s14, s4, s2
	s_addc_u32 s15, s5, s3
	s_mul_i32 s2, s10, s7
	s_mul_hi_u32 s3, s10, s6
	s_add_i32 s2, s3, s2
	s_mul_i32 s3, s11, s6
	s_add_i32 s3, s2, s3
	s_mul_i32 s2, s10, s6
	s_lshl_b64 s[2:3], s[2:3], 3
	s_add_u32 s8, s8, s2
	s_addc_u32 s9, s9, s3
	s_lshl_b64 s[2:3], s[6:7], 3
	s_add_u32 s6, s12, s2
	s_addc_u32 s7, s13, s3
	s_load_dword s16, s[14:15], 0x4
	s_load_dword s4, s[6:7], 0x0
	s_cmp_lg_u64 s[24:25], 0
	s_cselect_b64 s[10:11], -1, 0
	s_mov_b64 s[2:3], -1
	s_waitcnt lgkmcnt(0)
	v_mul_f32_e64 v2, s16, s16
	v_max_f32_e64 v0, s4, s4
	v_max_f32_e32 v0, v0, v2
	v_cmp_nlt_f32_e32 vcc, 0, v0
	s_cbranch_vccz .LBB104_5
; %bb.3:
	v_mov_b32_e32 v1, 0
	v_mov_b32_e32 v0, 1.0
	v_mov_b32_e32 v3, v1
	v_mov_b32_e32 v4, v1
	s_mov_b64 s[2:3], 0
	s_and_b64 vcc, exec, s[10:11]
	global_store_dwordx2 v1, v[0:1], s[6:7]
	global_store_dwordx2 v1, v[3:4], s[8:9]
	s_cbranch_vccz .LBB104_5
; %bb.4:
	global_load_dword v3, v1, s[14:15]
	s_mov_b64 s[0:1], -1
	s_waitcnt vmcnt(0)
	global_store_dword v1, v3, s[24:25]
	global_store_dword v1, v0, s[14:15]
.LBB104_5:
	s_and_b64 vcc, exec, s[2:3]
	s_cbranch_vccnz .LBB104_8
; %bb.6:
	s_andn2_b64 vcc, exec, s[0:1]
	s_cbranch_vccz .LBB104_12
; %bb.7:
	s_endpgm
.LBB104_8:
	v_mov_b32_e32 v0, 0
	global_load_dword v3, v0, s[14:15]
	s_mov_b32 s0, 0xf800000
	v_mov_b32_e32 v5, 0x260
	s_waitcnt vmcnt(0)
	v_fma_f32 v1, v3, v3, v2
	v_add_f32_e32 v1, s4, v1
	v_mul_f32_e32 v4, 0x4f800000, v1
	v_cmp_gt_f32_e32 vcc, s0, v1
	v_cndmask_b32_e32 v1, v1, v4, vcc
	v_sqrt_f32_e32 v4, v1
	v_add_u32_e32 v6, -1, v4
	v_add_u32_e32 v7, 1, v4
	v_fma_f32 v8, -v6, v4, v1
	v_fma_f32 v9, -v7, v4, v1
	v_cmp_ge_f32_e64 s[0:1], 0, v8
	v_cndmask_b32_e64 v4, v4, v6, s[0:1]
	v_cmp_lt_f32_e64 s[0:1], 0, v9
	v_cndmask_b32_e64 v4, v4, v7, s[0:1]
	v_mul_f32_e32 v6, 0x37800000, v4
	v_cndmask_b32_e32 v4, v4, v6, vcc
	v_cmp_class_f32_e32 vcc, v1, v5
	v_cndmask_b32_e32 v1, v4, v1, vcc
	v_cmp_le_f32_e32 vcc, 0, v3
	v_cndmask_b32_e64 v1, v1, -v1, vcc
	v_sub_f32_e32 v4, v3, v1
	v_sub_f32_e32 v5, v1, v3
	v_div_scale_f32 v3, s[0:1], v1, v1, -s16
	v_fmac_f32_e32 v2, v4, v4
	v_div_scale_f32 v6, s[0:1], v1, v1, v5
	v_div_scale_f32 v7, s[0:1], v2, v2, v4
	v_div_scale_f32 v8, s[0:1], v2, v2, -s16
	v_div_scale_f32 v9, s[0:1], -s16, v1, -s16
	v_div_scale_f32 v10, s[2:3], v5, v1, v5
	v_div_scale_f32 v11, vcc, v4, v2, v4
	v_div_scale_f32 v12, s[4:5], -s16, v2, -s16
	v_rcp_f32_e32 v13, v3
	v_rcp_f32_e32 v14, v6
	;; [unrolled: 1-line block ×3, first 2 shown]
	v_fma_f32 v17, -v3, v13, 1.0
	v_rcp_f32_e32 v16, v8
	v_fma_f32 v18, -v6, v14, 1.0
	v_fmac_f32_e32 v13, v17, v13
	v_fma_f32 v17, -v7, v15, 1.0
	v_fma_f32 v19, -v8, v16, 1.0
	v_fmac_f32_e32 v14, v18, v14
	v_mul_f32_e32 v18, v9, v13
	v_fmac_f32_e32 v15, v17, v15
	v_fmac_f32_e32 v16, v19, v16
	v_mul_f32_e32 v17, v10, v14
	v_fma_f32 v19, -v3, v18, v9
	v_fmac_f32_e32 v18, v19, v13
	v_fma_f32 v19, -v6, v17, v10
	v_fmac_f32_e32 v17, v19, v14
	v_mul_f32_e32 v19, v11, v15
	v_fma_f32 v3, -v3, v18, v9
	v_fma_f32 v9, -v7, v19, v11
	v_fmac_f32_e32 v19, v9, v15
	v_mul_f32_e32 v9, v12, v16
	v_fma_f32 v20, -v8, v9, v12
	v_fmac_f32_e32 v9, v20, v16
	v_fma_f32 v7, -v7, v19, v11
	v_fma_f32 v8, -v8, v9, v12
	v_div_fmas_f32 v7, v7, v15, v19
	s_mov_b64 vcc, s[4:5]
	v_fma_f32 v6, -v6, v17, v10
	v_div_fmas_f32 v8, v8, v16, v9
	s_mov_b64 vcc, s[2:3]
	v_div_fmas_f32 v6, v6, v14, v17
	s_mov_b64 vcc, s[0:1]
	v_div_fmas_f32 v9, v3, v13, v18
	s_and_b64 vcc, exec, s[10:11]
	v_div_fixup_f32 v3, v7, v2, v4
	v_div_fixup_f32 v4, v8, v2, -s16
	global_store_dwordx2 v0, v[3:4], s[6:7]
	v_div_fixup_f32 v2, v6, v1, v5
	v_div_fixup_f32 v3, v9, v1, -s16
	global_store_dwordx2 v0, v[2:3], s[8:9]
	s_cbranch_vccz .LBB104_13
; %bb.9:
	v_mov_b32_e32 v2, 1.0
	global_store_dword v0, v1, s[24:25]
	global_store_dword v0, v2, s[14:15]
	s_cbranch_execnz .LBB104_11
.LBB104_10:
	v_mov_b32_e32 v0, 0
	global_store_dword v0, v1, s[14:15]
.LBB104_11:
.LBB104_12:
	v_mov_b32_e32 v0, 0
	global_store_dword v0, v0, s[14:15] offset:4
	s_endpgm
.LBB104_13:
	s_branch .LBB104_10
	.section	.rodata,"a",@progbits
	.p2align	6, 0x0
	.amdhsa_kernel _ZN9rocsolver6v33100L11set_taubetaI19rocblas_complex_numIfEifPS3_EEvPT_lS6_T2_llPT1_ll
		.amdhsa_group_segment_fixed_size 0
		.amdhsa_private_segment_fixed_size 0
		.amdhsa_kernarg_size 72
		.amdhsa_user_sgpr_count 6
		.amdhsa_user_sgpr_private_segment_buffer 1
		.amdhsa_user_sgpr_dispatch_ptr 0
		.amdhsa_user_sgpr_queue_ptr 0
		.amdhsa_user_sgpr_kernarg_segment_ptr 1
		.amdhsa_user_sgpr_dispatch_id 0
		.amdhsa_user_sgpr_flat_scratch_init 0
		.amdhsa_user_sgpr_private_segment_size 0
		.amdhsa_uses_dynamic_stack 0
		.amdhsa_system_sgpr_private_segment_wavefront_offset 0
		.amdhsa_system_sgpr_workgroup_id_x 1
		.amdhsa_system_sgpr_workgroup_id_y 0
		.amdhsa_system_sgpr_workgroup_id_z 0
		.amdhsa_system_sgpr_workgroup_info 0
		.amdhsa_system_vgpr_workitem_id 0
		.amdhsa_next_free_vgpr 21
		.amdhsa_next_free_sgpr 26
		.amdhsa_reserve_vcc 1
		.amdhsa_reserve_flat_scratch 0
		.amdhsa_float_round_mode_32 0
		.amdhsa_float_round_mode_16_64 0
		.amdhsa_float_denorm_mode_32 3
		.amdhsa_float_denorm_mode_16_64 3
		.amdhsa_dx10_clamp 1
		.amdhsa_ieee_mode 1
		.amdhsa_fp16_overflow 0
		.amdhsa_exception_fp_ieee_invalid_op 0
		.amdhsa_exception_fp_denorm_src 0
		.amdhsa_exception_fp_ieee_div_zero 0
		.amdhsa_exception_fp_ieee_overflow 0
		.amdhsa_exception_fp_ieee_underflow 0
		.amdhsa_exception_fp_ieee_inexact 0
		.amdhsa_exception_int_div_zero 0
	.end_amdhsa_kernel
	.section	.text._ZN9rocsolver6v33100L11set_taubetaI19rocblas_complex_numIfEifPS3_EEvPT_lS6_T2_llPT1_ll,"axG",@progbits,_ZN9rocsolver6v33100L11set_taubetaI19rocblas_complex_numIfEifPS3_EEvPT_lS6_T2_llPT1_ll,comdat
.Lfunc_end104:
	.size	_ZN9rocsolver6v33100L11set_taubetaI19rocblas_complex_numIfEifPS3_EEvPT_lS6_T2_llPT1_ll, .Lfunc_end104-_ZN9rocsolver6v33100L11set_taubetaI19rocblas_complex_numIfEifPS3_EEvPT_lS6_T2_llPT1_ll
                                        ; -- End function
	.set _ZN9rocsolver6v33100L11set_taubetaI19rocblas_complex_numIfEifPS3_EEvPT_lS6_T2_llPT1_ll.num_vgpr, 21
	.set _ZN9rocsolver6v33100L11set_taubetaI19rocblas_complex_numIfEifPS3_EEvPT_lS6_T2_llPT1_ll.num_agpr, 0
	.set _ZN9rocsolver6v33100L11set_taubetaI19rocblas_complex_numIfEifPS3_EEvPT_lS6_T2_llPT1_ll.numbered_sgpr, 26
	.set _ZN9rocsolver6v33100L11set_taubetaI19rocblas_complex_numIfEifPS3_EEvPT_lS6_T2_llPT1_ll.num_named_barrier, 0
	.set _ZN9rocsolver6v33100L11set_taubetaI19rocblas_complex_numIfEifPS3_EEvPT_lS6_T2_llPT1_ll.private_seg_size, 0
	.set _ZN9rocsolver6v33100L11set_taubetaI19rocblas_complex_numIfEifPS3_EEvPT_lS6_T2_llPT1_ll.uses_vcc, 1
	.set _ZN9rocsolver6v33100L11set_taubetaI19rocblas_complex_numIfEifPS3_EEvPT_lS6_T2_llPT1_ll.uses_flat_scratch, 0
	.set _ZN9rocsolver6v33100L11set_taubetaI19rocblas_complex_numIfEifPS3_EEvPT_lS6_T2_llPT1_ll.has_dyn_sized_stack, 0
	.set _ZN9rocsolver6v33100L11set_taubetaI19rocblas_complex_numIfEifPS3_EEvPT_lS6_T2_llPT1_ll.has_recursion, 0
	.set _ZN9rocsolver6v33100L11set_taubetaI19rocblas_complex_numIfEifPS3_EEvPT_lS6_T2_llPT1_ll.has_indirect_call, 0
	.section	.AMDGPU.csdata,"",@progbits
; Kernel info:
; codeLenInByte = 888
; TotalNumSgprs: 30
; NumVgprs: 21
; ScratchSize: 0
; MemoryBound: 0
; FloatMode: 240
; IeeeMode: 1
; LDSByteSize: 0 bytes/workgroup (compile time only)
; SGPRBlocks: 3
; VGPRBlocks: 5
; NumSGPRsForWavesPerEU: 30
; NumVGPRsForWavesPerEU: 21
; Occupancy: 10
; WaveLimiterHint : 0
; COMPUTE_PGM_RSRC2:SCRATCH_EN: 0
; COMPUTE_PGM_RSRC2:USER_SGPR: 6
; COMPUTE_PGM_RSRC2:TRAP_HANDLER: 0
; COMPUTE_PGM_RSRC2:TGID_X_EN: 1
; COMPUTE_PGM_RSRC2:TGID_Y_EN: 0
; COMPUTE_PGM_RSRC2:TGID_Z_EN: 0
; COMPUTE_PGM_RSRC2:TIDIG_COMP_CNT: 0
	.section	.text._ZN9rocsolver6v33100L13conj_in_placeI19rocblas_complex_numIfEiPS3_TnNSt9enable_ifIX18rocblas_is_complexIT_EEiE4typeELi0EEEvT0_S9_T1_lS9_l,"axG",@progbits,_ZN9rocsolver6v33100L13conj_in_placeI19rocblas_complex_numIfEiPS3_TnNSt9enable_ifIX18rocblas_is_complexIT_EEiE4typeELi0EEEvT0_S9_T1_lS9_l,comdat
	.globl	_ZN9rocsolver6v33100L13conj_in_placeI19rocblas_complex_numIfEiPS3_TnNSt9enable_ifIX18rocblas_is_complexIT_EEiE4typeELi0EEEvT0_S9_T1_lS9_l ; -- Begin function _ZN9rocsolver6v33100L13conj_in_placeI19rocblas_complex_numIfEiPS3_TnNSt9enable_ifIX18rocblas_is_complexIT_EEiE4typeELi0EEEvT0_S9_T1_lS9_l
	.p2align	8
	.type	_ZN9rocsolver6v33100L13conj_in_placeI19rocblas_complex_numIfEiPS3_TnNSt9enable_ifIX18rocblas_is_complexIT_EEiE4typeELi0EEEvT0_S9_T1_lS9_l,@function
_ZN9rocsolver6v33100L13conj_in_placeI19rocblas_complex_numIfEiPS3_TnNSt9enable_ifIX18rocblas_is_complexIT_EEiE4typeELi0EEEvT0_S9_T1_lS9_l: ; @_ZN9rocsolver6v33100L13conj_in_placeI19rocblas_complex_numIfEiPS3_TnNSt9enable_ifIX18rocblas_is_complexIT_EEiE4typeELi0EEEvT0_S9_T1_lS9_l
; %bb.0:
	s_load_dword s2, s[4:5], 0x34
	s_load_dwordx2 s[0:1], s[4:5], 0x0
	s_waitcnt lgkmcnt(0)
	s_lshr_b32 s3, s2, 16
	s_and_b32 s2, s2, 0xffff
	s_mul_i32 s6, s6, s2
	s_mul_i32 s7, s7, s3
	v_add_u32_e32 v0, s6, v0
	v_add_u32_e32 v1, s7, v1
	v_cmp_gt_i32_e32 vcc, s0, v0
	v_cmp_gt_i32_e64 s[0:1], s1, v1
	s_and_b64 s[0:1], vcc, s[0:1]
	s_and_saveexec_b64 s[2:3], s[0:1]
	s_cbranch_execz .LBB105_2
; %bb.1:
	s_load_dwordx2 s[6:7], s[4:5], 0x20
	s_load_dwordx4 s[0:3], s[4:5], 0x8
	s_load_dword s9, s[4:5], 0x18
	s_ashr_i32 s4, s8, 31
	s_waitcnt lgkmcnt(0)
	s_mul_hi_u32 s5, s6, s8
	s_mul_i32 s4, s6, s4
	s_add_i32 s4, s5, s4
	s_mul_i32 s5, s7, s8
	s_add_i32 s5, s4, s5
	s_mul_i32 s4, s6, s8
	s_lshl_b64 s[4:5], s[4:5], 3
	s_add_u32 s4, s0, s4
	s_addc_u32 s5, s1, s5
	s_lshl_b64 s[0:1], s[2:3], 3
	v_mad_i64_i32 v[2:3], s[2:3], v1, s9, 0
	s_add_u32 s0, s4, s0
	s_addc_u32 s1, s5, s1
	v_lshlrev_b64 v[3:4], 3, v[2:3]
	v_ashrrev_i32_e32 v1, 31, v0
	v_mov_b32_e32 v5, s1
	v_add_co_u32_e32 v6, vcc, s0, v3
	v_addc_co_u32_e32 v5, vcc, v5, v4, vcc
	v_lshlrev_b64 v[3:4], 3, v[0:1]
	v_add_u32_e32 v0, v2, v0
	v_add_co_u32_e32 v3, vcc, v6, v3
	v_addc_co_u32_e32 v4, vcc, v5, v4, vcc
	global_load_dwordx2 v[3:4], v[3:4], off
	v_ashrrev_i32_e32 v1, 31, v0
	v_lshlrev_b64 v[0:1], 3, v[0:1]
	v_mov_b32_e32 v2, s1
	v_add_co_u32_e32 v0, vcc, s0, v0
	v_addc_co_u32_e32 v1, vcc, v2, v1, vcc
	s_waitcnt vmcnt(0)
	v_xor_b32_e32 v4, 0x80000000, v4
	global_store_dwordx2 v[0:1], v[3:4], off
.LBB105_2:
	s_endpgm
	.section	.rodata,"a",@progbits
	.p2align	6, 0x0
	.amdhsa_kernel _ZN9rocsolver6v33100L13conj_in_placeI19rocblas_complex_numIfEiPS3_TnNSt9enable_ifIX18rocblas_is_complexIT_EEiE4typeELi0EEEvT0_S9_T1_lS9_l
		.amdhsa_group_segment_fixed_size 0
		.amdhsa_private_segment_fixed_size 0
		.amdhsa_kernarg_size 296
		.amdhsa_user_sgpr_count 6
		.amdhsa_user_sgpr_private_segment_buffer 1
		.amdhsa_user_sgpr_dispatch_ptr 0
		.amdhsa_user_sgpr_queue_ptr 0
		.amdhsa_user_sgpr_kernarg_segment_ptr 1
		.amdhsa_user_sgpr_dispatch_id 0
		.amdhsa_user_sgpr_flat_scratch_init 0
		.amdhsa_user_sgpr_private_segment_size 0
		.amdhsa_uses_dynamic_stack 0
		.amdhsa_system_sgpr_private_segment_wavefront_offset 0
		.amdhsa_system_sgpr_workgroup_id_x 1
		.amdhsa_system_sgpr_workgroup_id_y 1
		.amdhsa_system_sgpr_workgroup_id_z 1
		.amdhsa_system_sgpr_workgroup_info 0
		.amdhsa_system_vgpr_workitem_id 1
		.amdhsa_next_free_vgpr 7
		.amdhsa_next_free_sgpr 10
		.amdhsa_reserve_vcc 1
		.amdhsa_reserve_flat_scratch 0
		.amdhsa_float_round_mode_32 0
		.amdhsa_float_round_mode_16_64 0
		.amdhsa_float_denorm_mode_32 3
		.amdhsa_float_denorm_mode_16_64 3
		.amdhsa_dx10_clamp 1
		.amdhsa_ieee_mode 1
		.amdhsa_fp16_overflow 0
		.amdhsa_exception_fp_ieee_invalid_op 0
		.amdhsa_exception_fp_denorm_src 0
		.amdhsa_exception_fp_ieee_div_zero 0
		.amdhsa_exception_fp_ieee_overflow 0
		.amdhsa_exception_fp_ieee_underflow 0
		.amdhsa_exception_fp_ieee_inexact 0
		.amdhsa_exception_int_div_zero 0
	.end_amdhsa_kernel
	.section	.text._ZN9rocsolver6v33100L13conj_in_placeI19rocblas_complex_numIfEiPS3_TnNSt9enable_ifIX18rocblas_is_complexIT_EEiE4typeELi0EEEvT0_S9_T1_lS9_l,"axG",@progbits,_ZN9rocsolver6v33100L13conj_in_placeI19rocblas_complex_numIfEiPS3_TnNSt9enable_ifIX18rocblas_is_complexIT_EEiE4typeELi0EEEvT0_S9_T1_lS9_l,comdat
.Lfunc_end105:
	.size	_ZN9rocsolver6v33100L13conj_in_placeI19rocblas_complex_numIfEiPS3_TnNSt9enable_ifIX18rocblas_is_complexIT_EEiE4typeELi0EEEvT0_S9_T1_lS9_l, .Lfunc_end105-_ZN9rocsolver6v33100L13conj_in_placeI19rocblas_complex_numIfEiPS3_TnNSt9enable_ifIX18rocblas_is_complexIT_EEiE4typeELi0EEEvT0_S9_T1_lS9_l
                                        ; -- End function
	.set _ZN9rocsolver6v33100L13conj_in_placeI19rocblas_complex_numIfEiPS3_TnNSt9enable_ifIX18rocblas_is_complexIT_EEiE4typeELi0EEEvT0_S9_T1_lS9_l.num_vgpr, 7
	.set _ZN9rocsolver6v33100L13conj_in_placeI19rocblas_complex_numIfEiPS3_TnNSt9enable_ifIX18rocblas_is_complexIT_EEiE4typeELi0EEEvT0_S9_T1_lS9_l.num_agpr, 0
	.set _ZN9rocsolver6v33100L13conj_in_placeI19rocblas_complex_numIfEiPS3_TnNSt9enable_ifIX18rocblas_is_complexIT_EEiE4typeELi0EEEvT0_S9_T1_lS9_l.numbered_sgpr, 10
	.set _ZN9rocsolver6v33100L13conj_in_placeI19rocblas_complex_numIfEiPS3_TnNSt9enable_ifIX18rocblas_is_complexIT_EEiE4typeELi0EEEvT0_S9_T1_lS9_l.num_named_barrier, 0
	.set _ZN9rocsolver6v33100L13conj_in_placeI19rocblas_complex_numIfEiPS3_TnNSt9enable_ifIX18rocblas_is_complexIT_EEiE4typeELi0EEEvT0_S9_T1_lS9_l.private_seg_size, 0
	.set _ZN9rocsolver6v33100L13conj_in_placeI19rocblas_complex_numIfEiPS3_TnNSt9enable_ifIX18rocblas_is_complexIT_EEiE4typeELi0EEEvT0_S9_T1_lS9_l.uses_vcc, 1
	.set _ZN9rocsolver6v33100L13conj_in_placeI19rocblas_complex_numIfEiPS3_TnNSt9enable_ifIX18rocblas_is_complexIT_EEiE4typeELi0EEEvT0_S9_T1_lS9_l.uses_flat_scratch, 0
	.set _ZN9rocsolver6v33100L13conj_in_placeI19rocblas_complex_numIfEiPS3_TnNSt9enable_ifIX18rocblas_is_complexIT_EEiE4typeELi0EEEvT0_S9_T1_lS9_l.has_dyn_sized_stack, 0
	.set _ZN9rocsolver6v33100L13conj_in_placeI19rocblas_complex_numIfEiPS3_TnNSt9enable_ifIX18rocblas_is_complexIT_EEiE4typeELi0EEEvT0_S9_T1_lS9_l.has_recursion, 0
	.set _ZN9rocsolver6v33100L13conj_in_placeI19rocblas_complex_numIfEiPS3_TnNSt9enable_ifIX18rocblas_is_complexIT_EEiE4typeELi0EEEvT0_S9_T1_lS9_l.has_indirect_call, 0
	.section	.AMDGPU.csdata,"",@progbits
; Kernel info:
; codeLenInByte = 260
; TotalNumSgprs: 14
; NumVgprs: 7
; ScratchSize: 0
; MemoryBound: 0
; FloatMode: 240
; IeeeMode: 1
; LDSByteSize: 0 bytes/workgroup (compile time only)
; SGPRBlocks: 1
; VGPRBlocks: 1
; NumSGPRsForWavesPerEU: 14
; NumVGPRsForWavesPerEU: 7
; Occupancy: 10
; WaveLimiterHint : 0
; COMPUTE_PGM_RSRC2:SCRATCH_EN: 0
; COMPUTE_PGM_RSRC2:USER_SGPR: 6
; COMPUTE_PGM_RSRC2:TRAP_HANDLER: 0
; COMPUTE_PGM_RSRC2:TGID_X_EN: 1
; COMPUTE_PGM_RSRC2:TGID_Y_EN: 1
; COMPUTE_PGM_RSRC2:TGID_Z_EN: 1
; COMPUTE_PGM_RSRC2:TIDIG_COMP_CNT: 1
	.section	.text._ZN9rocsolver6v33100L16larf_left_kernelILi1024E19rocblas_complex_numIfEiPS3_EEvT1_S5_T2_lS5_lPKT0_lS6_lS5_l,"axG",@progbits,_ZN9rocsolver6v33100L16larf_left_kernelILi1024E19rocblas_complex_numIfEiPS3_EEvT1_S5_T2_lS5_lPKT0_lS6_lS5_l,comdat
	.globl	_ZN9rocsolver6v33100L16larf_left_kernelILi1024E19rocblas_complex_numIfEiPS3_EEvT1_S5_T2_lS5_lPKT0_lS6_lS5_l ; -- Begin function _ZN9rocsolver6v33100L16larf_left_kernelILi1024E19rocblas_complex_numIfEiPS3_EEvT1_S5_T2_lS5_lPKT0_lS6_lS5_l
	.p2align	8
	.type	_ZN9rocsolver6v33100L16larf_left_kernelILi1024E19rocblas_complex_numIfEiPS3_EEvT1_S5_T2_lS5_lPKT0_lS6_lS5_l,@function
_ZN9rocsolver6v33100L16larf_left_kernelILi1024E19rocblas_complex_numIfEiPS3_EEvT1_S5_T2_lS5_lPKT0_lS6_lS5_l: ; @_ZN9rocsolver6v33100L16larf_left_kernelILi1024E19rocblas_complex_numIfEiPS3_EEvT1_S5_T2_lS5_lPKT0_lS6_lS5_l
; %bb.0:
	s_load_dword s9, s[4:5], 0x0
	s_load_dwordx2 s[2:3], s[4:5], 0x40
	s_load_dword s20, s[4:5], 0x48
	s_load_dwordx2 s[10:11], s[4:5], 0x50
	s_load_dwordx8 s[12:19], s[4:5], 0x20
	s_ashr_i32 s25, s8, 31
	s_waitcnt lgkmcnt(0)
	v_cmp_gt_i32_e64 s[0:1], s9, v0
	v_mov_b32_e32 v4, 0
	s_mul_i32 s22, s10, s25
	s_mul_hi_u32 s23, s10, s8
	s_mul_i32 s24, s11, s8
	s_mul_i32 s6, s10, s8
	s_mul_hi_i32 s11, s7, s20
	s_mul_i32 s10, s7, s20
	v_mov_b32_e32 v5, 0
	s_and_saveexec_b64 s[20:21], s[0:1]
	s_cbranch_execz .LBB106_6
; %bb.1:
	s_load_dword s26, s[4:5], 0x18
	s_load_dwordx4 s[28:31], s[4:5], 0x8
	s_sub_i32 s7, 1, s9
	s_mul_hi_u32 s33, s12, s8
	s_mul_i32 s13, s13, s8
	s_waitcnt lgkmcnt(0)
	s_ashr_i32 s27, s26, 31
	v_cmp_lt_i64_e64 s[4:5], s[26:27], 1
	s_mul_i32 s7, s26, s7
	s_and_b64 s[4:5], s[4:5], exec
	s_cselect_b32 s4, s7, 0
	s_mul_i32 s7, s12, s25
	s_add_i32 s7, s33, s7
	s_ashr_i32 s5, s4, 31
	s_add_i32 s13, s7, s13
	s_mul_i32 s12, s12, s8
	v_lshl_add_u32 v1, v0, 3, 0
	s_lshl_b64 s[12:13], s[12:13], 3
	s_lshl_b64 s[30:31], s[30:31], 3
	;; [unrolled: 1-line block ×3, first 2 shown]
	v_add_u32_e32 v3, 0x80, v1
	v_mad_i64_i32 v[1:2], s[34:35], s26, v0, 0
	s_add_u32 s4, s28, s4
	s_addc_u32 s5, s29, s5
	s_add_u32 s4, s4, s30
	s_addc_u32 s5, s5, s31
	v_lshlrev_b64 v[1:2], 3, v[1:2]
	s_add_u32 s4, s4, s12
	s_addc_u32 s5, s5, s13
	v_mov_b32_e32 v4, s5
	v_add_co_u32_e32 v1, vcc, s4, v1
	s_lshl_b64 s[12:13], s[26:27], 13
	v_addc_co_u32_e32 v2, vcc, v4, v2, vcc
	s_mov_b64 s[4:5], 0
	v_mov_b32_e32 v4, s13
	v_mov_b32_e32 v5, v3
	;; [unrolled: 1-line block ×3, first 2 shown]
.LBB106_2:                              ; =>This Inner Loop Header: Depth=1
	global_load_dwordx2 v[7:8], v[1:2], off
	v_add_co_u32_e32 v1, vcc, s12, v1
	v_add_u32_e32 v6, 0x400, v6
	v_addc_co_u32_e32 v2, vcc, v2, v4, vcc
	v_cmp_le_i32_e32 vcc, s9, v6
	s_or_b64 s[4:5], vcc, s[4:5]
	s_waitcnt vmcnt(0)
	ds_write_b64 v5, v[7:8]
	v_add_u32_e32 v5, 0x2000, v5
	s_andn2_b64 exec, exec, s[4:5]
	s_cbranch_execnz .LBB106_2
; %bb.3:
	s_or_b64 exec, exec, s[4:5]
	s_add_i32 s4, s23, s22
	s_add_i32 s7, s4, s24
	s_lshl_b64 s[4:5], s[6:7], 3
	s_lshl_b64 s[12:13], s[10:11], 3
	s_add_u32 s7, s4, s12
	s_addc_u32 s12, s5, s13
	s_lshl_b64 s[4:5], s[2:3], 3
	s_add_u32 s4, s7, s4
	s_addc_u32 s5, s12, s5
	s_add_u32 s4, s18, s4
	v_lshlrev_b32_e32 v1, 3, v0
	s_addc_u32 s5, s19, s5
	v_mov_b32_e32 v2, s5
	v_add_co_u32_e32 v1, vcc, s4, v1
	v_addc_co_u32_e32 v2, vcc, 0, v2, vcc
	v_add_co_u32_e32 v1, vcc, 4, v1
	v_mov_b32_e32 v4, 0
	v_addc_co_u32_e32 v2, vcc, 0, v2, vcc
	s_mov_b64 s[4:5], 0
	v_mov_b32_e32 v6, v0
	v_mov_b32_e32 v5, 0
.LBB106_4:                              ; =>This Inner Loop Header: Depth=1
	global_load_dwordx2 v[7:8], v[1:2], off offset:-4
	ds_read_b64 v[9:10], v3
	v_add_co_u32_e32 v1, vcc, 0x2000, v1
	v_add_u32_e32 v6, 0x400, v6
	v_addc_co_u32_e32 v2, vcc, 0, v2, vcc
	v_cmp_le_i32_e32 vcc, s9, v6
	v_add_u32_e32 v3, 0x2000, v3
	s_or_b64 s[4:5], vcc, s[4:5]
	s_waitcnt vmcnt(0) lgkmcnt(0)
	v_mul_f32_e32 v11, v8, v10
	v_mul_f32_e32 v8, v8, v9
	v_fmac_f32_e32 v11, v7, v9
	v_fma_f32 v7, v7, v10, -v8
	v_add_f32_e32 v5, v5, v11
	v_add_f32_e32 v4, v4, v7
	s_andn2_b64 exec, exec, s[4:5]
	s_cbranch_execnz .LBB106_4
; %bb.5:
	s_or_b64 exec, exec, s[4:5]
.LBB106_6:
	s_or_b64 exec, exec, s[20:21]
	v_mbcnt_lo_u32_b32 v1, -1, 0
	v_mbcnt_hi_u32_b32 v1, -1, v1
	v_and_b32_e32 v2, 63, v1
	v_cmp_ne_u32_e32 vcc, 63, v2
	v_addc_co_u32_e32 v3, vcc, 0, v1, vcc
	v_lshlrev_b32_e32 v3, 2, v3
	ds_bpermute_b32 v6, v3, v5
	ds_bpermute_b32 v3, v3, v4
	v_cmp_gt_u32_e32 vcc, 62, v2
	s_waitcnt lgkmcnt(1)
	v_add_f32_e32 v5, v5, v6
	s_waitcnt lgkmcnt(0)
	v_add_f32_e32 v3, v4, v3
	v_cndmask_b32_e64 v4, 0, 2, vcc
	v_add_lshl_u32 v4, v4, v1, 2
	ds_bpermute_b32 v6, v4, v5
	ds_bpermute_b32 v4, v4, v3
	v_cmp_gt_u32_e32 vcc, 60, v2
	s_waitcnt lgkmcnt(1)
	v_add_f32_e32 v5, v5, v6
	s_waitcnt lgkmcnt(0)
	v_add_f32_e32 v3, v3, v4
	v_cndmask_b32_e64 v4, 0, 4, vcc
	v_add_lshl_u32 v4, v4, v1, 2
	ds_bpermute_b32 v6, v4, v5
	ds_bpermute_b32 v4, v4, v3
	v_cmp_gt_u32_e32 vcc, 56, v2
	s_waitcnt lgkmcnt(1)
	v_add_f32_e32 v5, v5, v6
	s_waitcnt lgkmcnt(0)
	v_add_f32_e32 v3, v3, v4
	v_cndmask_b32_e64 v4, 0, 8, vcc
	v_add_lshl_u32 v4, v4, v1, 2
	ds_bpermute_b32 v6, v4, v5
	ds_bpermute_b32 v4, v4, v3
	v_cmp_gt_u32_e32 vcc, 48, v2
	v_cndmask_b32_e64 v2, 0, 16, vcc
	v_add_lshl_u32 v2, v2, v1, 2
	s_waitcnt lgkmcnt(1)
	v_add_f32_e32 v5, v5, v6
	s_waitcnt lgkmcnt(0)
	v_add_f32_e32 v3, v3, v4
	ds_bpermute_b32 v4, v2, v5
	ds_bpermute_b32 v2, v2, v3
	s_waitcnt lgkmcnt(1)
	v_add_f32_e32 v4, v5, v4
	s_waitcnt lgkmcnt(0)
	v_add_f32_e32 v2, v3, v2
	v_mov_b32_e32 v3, 0x80
	v_lshl_or_b32 v1, v1, 2, v3
	ds_bpermute_b32 v3, v1, v4
	ds_bpermute_b32 v5, v1, v2
	s_waitcnt lgkmcnt(1)
	v_add_f32_e32 v1, v4, v3
	v_and_b32_e32 v3, 63, v0
	s_waitcnt lgkmcnt(0)
	v_add_f32_e32 v2, v2, v5
	v_cmp_eq_u32_e32 vcc, 0, v3
	s_and_saveexec_b64 s[4:5], vcc
; %bb.7:
	v_lshrrev_b32_e32 v3, 3, v0
	v_add_u32_e32 v3, 0, v3
	ds_write2_b32 v3, v1, v2 offset1:1
; %bb.8:
	s_or_b64 exec, exec, s[4:5]
	v_cmp_eq_u32_e32 vcc, 0, v0
	s_waitcnt lgkmcnt(0)
	s_barrier
	s_and_saveexec_b64 s[4:5], vcc
	s_cbranch_execz .LBB106_10
; %bb.9:
	v_mov_b32_e32 v15, 0
	ds_read2_b64 v[3:6], v15 offset0:1 offset1:2
	ds_read2_b64 v[7:10], v15 offset0:3 offset1:4
	;; [unrolled: 1-line block ×3, first 2 shown]
	s_waitcnt lgkmcnt(2)
	v_add_f32_e32 v1, v1, v3
	v_add_f32_e32 v2, v2, v4
	;; [unrolled: 1-line block ×4, first 2 shown]
	s_waitcnt lgkmcnt(1)
	v_add_f32_e32 v1, v1, v7
	v_add_f32_e32 v2, v2, v8
	;; [unrolled: 1-line block ×4, first 2 shown]
	ds_read2_b64 v[1:4], v15 offset0:7 offset1:8
	s_waitcnt lgkmcnt(1)
	v_add_f32_e32 v5, v5, v11
	v_add_f32_e32 v6, v6, v12
	;; [unrolled: 1-line block ×4, first 2 shown]
	s_waitcnt lgkmcnt(0)
	v_add_f32_e32 v1, v5, v1
	ds_read2_b64 v[5:8], v15 offset0:9 offset1:10
	v_add_f32_e32 v2, v9, v2
	v_add_f32_e32 v9, v1, v3
	;; [unrolled: 1-line block ×3, first 2 shown]
	ds_read2_b64 v[1:4], v15 offset0:11 offset1:12
	s_waitcnt lgkmcnt(1)
	v_add_f32_e32 v5, v9, v5
	v_add_f32_e32 v6, v10, v6
	;; [unrolled: 1-line block ×4, first 2 shown]
	s_waitcnt lgkmcnt(0)
	v_add_f32_e32 v1, v5, v1
	ds_read2_b64 v[5:8], v15 offset0:13 offset1:14
	v_add_f32_e32 v2, v9, v2
	v_add_f32_e32 v3, v1, v3
	;; [unrolled: 1-line block ×3, first 2 shown]
	ds_read_b64 v[1:2], v15 offset:120
	s_waitcnt lgkmcnt(1)
	v_add_f32_e32 v3, v3, v5
	v_add_f32_e32 v4, v4, v6
	;; [unrolled: 1-line block ×4, first 2 shown]
	s_waitcnt lgkmcnt(0)
	v_add_f32_e32 v1, v3, v1
	v_add_f32_e32 v2, v4, v2
	ds_write_b64 v15, v[1:2]
.LBB106_10:
	s_or_b64 exec, exec, s[4:5]
	s_waitcnt lgkmcnt(0)
	s_barrier
	s_and_saveexec_b64 s[4:5], s[0:1]
	s_cbranch_execz .LBB106_13
; %bb.11:
	s_mul_i32 s0, s16, s25
	s_mul_hi_u32 s1, s16, s8
	s_add_i32 s0, s1, s0
	s_mul_i32 s1, s17, s8
	s_add_i32 s1, s0, s1
	s_mul_i32 s0, s16, s8
	s_lshl_b64 s[0:1], s[0:1], 3
	s_add_u32 s0, s14, s0
	s_addc_u32 s1, s15, s1
	v_mov_b32_e32 v1, 0
	s_load_dwordx2 s[4:5], s[0:1], 0x0
	ds_read_b64 v[1:2], v1
	s_add_i32 s0, s23, s22
	s_add_i32 s7, s0, s24
	s_lshl_b64 s[0:1], s[6:7], 3
	s_waitcnt lgkmcnt(0)
	v_mul_f32_e32 v3, s5, v2
	v_fma_f32 v3, v1, -s4, -v3
	v_mul_f32_e32 v1, s5, v1
	v_fma_f32 v4, s4, v2, -v1
	s_lshl_b64 s[4:5], s[10:11], 3
	s_add_u32 s4, s0, s4
	s_addc_u32 s5, s1, s5
	s_lshl_b64 s[0:1], s[2:3], 3
	s_add_u32 s0, s4, s0
	s_addc_u32 s1, s5, s1
	v_lshlrev_b32_e32 v1, 3, v0
	s_add_u32 s0, s18, s0
	v_add_u32_e32 v2, 0, v1
	s_addc_u32 s1, s19, s1
	v_add_u32_e32 v5, 0x80, v2
	v_mov_b32_e32 v2, s1
	v_add_co_u32_e32 v1, vcc, s0, v1
	v_addc_co_u32_e32 v2, vcc, 0, v2, vcc
	v_add_co_u32_e32 v1, vcc, 4, v1
	v_addc_co_u32_e32 v2, vcc, 0, v2, vcc
	s_mov_b64 s[0:1], 0
.LBB106_12:                             ; =>This Inner Loop Header: Depth=1
	global_load_dwordx2 v[6:7], v[1:2], off offset:-4
	ds_read_b64 v[8:9], v5
	v_add_u32_e32 v0, 0x400, v0
	v_cmp_le_i32_e32 vcc, s9, v0
	s_or_b64 s[0:1], vcc, s[0:1]
	v_add_u32_e32 v5, 0x2000, v5
	s_waitcnt lgkmcnt(0)
	v_mul_f32_e32 v10, v4, v9
	v_mul_f32_e32 v9, v3, v9
	v_fma_f32 v10, v3, v8, -v10
	v_fmac_f32_e32 v9, v4, v8
	s_waitcnt vmcnt(0)
	v_add_f32_e32 v6, v6, v10
	v_add_f32_e32 v7, v9, v7
	global_store_dwordx2 v[1:2], v[6:7], off offset:-4
	v_add_co_u32_e32 v1, vcc, 0x2000, v1
	v_addc_co_u32_e32 v2, vcc, 0, v2, vcc
	s_andn2_b64 exec, exec, s[0:1]
	s_cbranch_execnz .LBB106_12
.LBB106_13:
	s_endpgm
	.section	.rodata,"a",@progbits
	.p2align	6, 0x0
	.amdhsa_kernel _ZN9rocsolver6v33100L16larf_left_kernelILi1024E19rocblas_complex_numIfEiPS3_EEvT1_S5_T2_lS5_lPKT0_lS6_lS5_l
		.amdhsa_group_segment_fixed_size 0
		.amdhsa_private_segment_fixed_size 0
		.amdhsa_kernarg_size 88
		.amdhsa_user_sgpr_count 6
		.amdhsa_user_sgpr_private_segment_buffer 1
		.amdhsa_user_sgpr_dispatch_ptr 0
		.amdhsa_user_sgpr_queue_ptr 0
		.amdhsa_user_sgpr_kernarg_segment_ptr 1
		.amdhsa_user_sgpr_dispatch_id 0
		.amdhsa_user_sgpr_flat_scratch_init 0
		.amdhsa_user_sgpr_private_segment_size 0
		.amdhsa_uses_dynamic_stack 0
		.amdhsa_system_sgpr_private_segment_wavefront_offset 0
		.amdhsa_system_sgpr_workgroup_id_x 1
		.amdhsa_system_sgpr_workgroup_id_y 1
		.amdhsa_system_sgpr_workgroup_id_z 1
		.amdhsa_system_sgpr_workgroup_info 0
		.amdhsa_system_vgpr_workitem_id 0
		.amdhsa_next_free_vgpr 16
		.amdhsa_next_free_sgpr 36
		.amdhsa_reserve_vcc 1
		.amdhsa_reserve_flat_scratch 0
		.amdhsa_float_round_mode_32 0
		.amdhsa_float_round_mode_16_64 0
		.amdhsa_float_denorm_mode_32 3
		.amdhsa_float_denorm_mode_16_64 3
		.amdhsa_dx10_clamp 1
		.amdhsa_ieee_mode 1
		.amdhsa_fp16_overflow 0
		.amdhsa_exception_fp_ieee_invalid_op 0
		.amdhsa_exception_fp_denorm_src 0
		.amdhsa_exception_fp_ieee_div_zero 0
		.amdhsa_exception_fp_ieee_overflow 0
		.amdhsa_exception_fp_ieee_underflow 0
		.amdhsa_exception_fp_ieee_inexact 0
		.amdhsa_exception_int_div_zero 0
	.end_amdhsa_kernel
	.section	.text._ZN9rocsolver6v33100L16larf_left_kernelILi1024E19rocblas_complex_numIfEiPS3_EEvT1_S5_T2_lS5_lPKT0_lS6_lS5_l,"axG",@progbits,_ZN9rocsolver6v33100L16larf_left_kernelILi1024E19rocblas_complex_numIfEiPS3_EEvT1_S5_T2_lS5_lPKT0_lS6_lS5_l,comdat
.Lfunc_end106:
	.size	_ZN9rocsolver6v33100L16larf_left_kernelILi1024E19rocblas_complex_numIfEiPS3_EEvT1_S5_T2_lS5_lPKT0_lS6_lS5_l, .Lfunc_end106-_ZN9rocsolver6v33100L16larf_left_kernelILi1024E19rocblas_complex_numIfEiPS3_EEvT1_S5_T2_lS5_lPKT0_lS6_lS5_l
                                        ; -- End function
	.set _ZN9rocsolver6v33100L16larf_left_kernelILi1024E19rocblas_complex_numIfEiPS3_EEvT1_S5_T2_lS5_lPKT0_lS6_lS5_l.num_vgpr, 16
	.set _ZN9rocsolver6v33100L16larf_left_kernelILi1024E19rocblas_complex_numIfEiPS3_EEvT1_S5_T2_lS5_lPKT0_lS6_lS5_l.num_agpr, 0
	.set _ZN9rocsolver6v33100L16larf_left_kernelILi1024E19rocblas_complex_numIfEiPS3_EEvT1_S5_T2_lS5_lPKT0_lS6_lS5_l.numbered_sgpr, 36
	.set _ZN9rocsolver6v33100L16larf_left_kernelILi1024E19rocblas_complex_numIfEiPS3_EEvT1_S5_T2_lS5_lPKT0_lS6_lS5_l.num_named_barrier, 0
	.set _ZN9rocsolver6v33100L16larf_left_kernelILi1024E19rocblas_complex_numIfEiPS3_EEvT1_S5_T2_lS5_lPKT0_lS6_lS5_l.private_seg_size, 0
	.set _ZN9rocsolver6v33100L16larf_left_kernelILi1024E19rocblas_complex_numIfEiPS3_EEvT1_S5_T2_lS5_lPKT0_lS6_lS5_l.uses_vcc, 1
	.set _ZN9rocsolver6v33100L16larf_left_kernelILi1024E19rocblas_complex_numIfEiPS3_EEvT1_S5_T2_lS5_lPKT0_lS6_lS5_l.uses_flat_scratch, 0
	.set _ZN9rocsolver6v33100L16larf_left_kernelILi1024E19rocblas_complex_numIfEiPS3_EEvT1_S5_T2_lS5_lPKT0_lS6_lS5_l.has_dyn_sized_stack, 0
	.set _ZN9rocsolver6v33100L16larf_left_kernelILi1024E19rocblas_complex_numIfEiPS3_EEvT1_S5_T2_lS5_lPKT0_lS6_lS5_l.has_recursion, 0
	.set _ZN9rocsolver6v33100L16larf_left_kernelILi1024E19rocblas_complex_numIfEiPS3_EEvT1_S5_T2_lS5_lPKT0_lS6_lS5_l.has_indirect_call, 0
	.section	.AMDGPU.csdata,"",@progbits
; Kernel info:
; codeLenInByte = 1416
; TotalNumSgprs: 40
; NumVgprs: 16
; ScratchSize: 0
; MemoryBound: 0
; FloatMode: 240
; IeeeMode: 1
; LDSByteSize: 0 bytes/workgroup (compile time only)
; SGPRBlocks: 4
; VGPRBlocks: 3
; NumSGPRsForWavesPerEU: 40
; NumVGPRsForWavesPerEU: 16
; Occupancy: 10
; WaveLimiterHint : 0
; COMPUTE_PGM_RSRC2:SCRATCH_EN: 0
; COMPUTE_PGM_RSRC2:USER_SGPR: 6
; COMPUTE_PGM_RSRC2:TRAP_HANDLER: 0
; COMPUTE_PGM_RSRC2:TGID_X_EN: 1
; COMPUTE_PGM_RSRC2:TGID_Y_EN: 1
; COMPUTE_PGM_RSRC2:TGID_Z_EN: 1
; COMPUTE_PGM_RSRC2:TIDIG_COMP_CNT: 0
	.section	.text._ZN9rocsolver6v33100L17larf_right_kernelILi1024E19rocblas_complex_numIfEiPS3_EEvT1_S5_T2_lS5_lPKT0_lS6_lS5_l,"axG",@progbits,_ZN9rocsolver6v33100L17larf_right_kernelILi1024E19rocblas_complex_numIfEiPS3_EEvT1_S5_T2_lS5_lPKT0_lS6_lS5_l,comdat
	.globl	_ZN9rocsolver6v33100L17larf_right_kernelILi1024E19rocblas_complex_numIfEiPS3_EEvT1_S5_T2_lS5_lPKT0_lS6_lS5_l ; -- Begin function _ZN9rocsolver6v33100L17larf_right_kernelILi1024E19rocblas_complex_numIfEiPS3_EEvT1_S5_T2_lS5_lPKT0_lS6_lS5_l
	.p2align	8
	.type	_ZN9rocsolver6v33100L17larf_right_kernelILi1024E19rocblas_complex_numIfEiPS3_EEvT1_S5_T2_lS5_lPKT0_lS6_lS5_l,@function
_ZN9rocsolver6v33100L17larf_right_kernelILi1024E19rocblas_complex_numIfEiPS3_EEvT1_S5_T2_lS5_lPKT0_lS6_lS5_l: ; @_ZN9rocsolver6v33100L17larf_right_kernelILi1024E19rocblas_complex_numIfEiPS3_EEvT1_S5_T2_lS5_lPKT0_lS6_lS5_l
; %bb.0:
	s_load_dword s9, s[4:5], 0x4
	s_load_dwordx8 s[12:19], s[4:5], 0x20
	s_load_dwordx2 s[10:11], s[4:5], 0x40
	s_load_dword s2, s[4:5], 0x48
	s_load_dwordx2 s[0:1], s[4:5], 0x50
	s_ashr_i32 s27, s8, 31
	s_mov_b32 s6, s7
	s_ashr_i32 s7, s7, 31
	s_waitcnt lgkmcnt(0)
	v_cmp_gt_i32_e32 vcc, s9, v0
	v_mov_b32_e32 v5, 0
	v_lshl_add_u32 v3, v0, 3, 0
	s_mul_i32 s24, s0, s27
	s_mul_hi_u32 s25, s0, s8
	s_mul_i32 s26, s1, s8
	s_mul_i32 s20, s0, s8
	v_mov_b32_e32 v6, 0
	s_and_saveexec_b64 s[22:23], vcc
	s_cbranch_execz .LBB107_6
; %bb.1:
	s_load_dword s34, s[4:5], 0x18
	s_load_dwordx4 s[28:31], s[4:5], 0x8
	s_sub_i32 s3, 1, s9
	s_mul_i32 s4, s12, s27
	s_mul_i32 s13, s13, s8
	s_waitcnt lgkmcnt(0)
	s_ashr_i32 s35, s34, 31
	v_cmp_lt_i64_e64 s[0:1], s[34:35], 1
	s_mul_i32 s3, s34, s3
	s_and_b64 s[0:1], s[0:1], exec
	s_cselect_b32 s0, s3, 0
	s_mul_hi_u32 s3, s12, s8
	s_add_i32 s3, s3, s4
	v_mad_i64_i32 v[1:2], s[4:5], s34, v0, 0
	s_ashr_i32 s1, s0, 31
	s_add_i32 s5, s3, s13
	s_mul_i32 s4, s12, s8
	s_lshl_b64 s[4:5], s[4:5], 3
	s_lshl_b64 s[12:13], s[30:31], 3
	;; [unrolled: 1-line block ×3, first 2 shown]
	s_add_u32 s0, s28, s0
	s_addc_u32 s1, s29, s1
	s_add_u32 s0, s0, s12
	s_addc_u32 s1, s1, s13
	v_lshlrev_b64 v[1:2], 3, v[1:2]
	s_add_u32 s0, s0, s4
	s_addc_u32 s1, s1, s5
	v_add_u32_e32 v4, 0x80, v3
	v_mov_b32_e32 v5, s1
	v_add_co_u32_e64 v1, s[0:1], s0, v1
	s_lshl_b64 s[12:13], s[34:35], 13
	v_addc_co_u32_e64 v2, s[0:1], v5, v2, s[0:1]
	s_mov_b64 s[4:5], 0
	v_mov_b32_e32 v5, s13
	v_mov_b32_e32 v6, v4
	;; [unrolled: 1-line block ×3, first 2 shown]
.LBB107_2:                              ; =>This Inner Loop Header: Depth=1
	global_load_dwordx2 v[8:9], v[1:2], off
	v_add_co_u32_e64 v1, s[0:1], s12, v1
	v_add_u32_e32 v7, 0x400, v7
	v_addc_co_u32_e64 v2, s[0:1], v2, v5, s[0:1]
	v_cmp_le_i32_e64 s[0:1], s9, v7
	s_or_b64 s[4:5], s[0:1], s[4:5]
	s_waitcnt vmcnt(0)
	ds_write_b64 v6, v[8:9]
	v_add_u32_e32 v6, 0x2000, v6
	s_andn2_b64 exec, exec, s[4:5]
	s_cbranch_execnz .LBB107_2
; %bb.3:
	s_or_b64 exec, exec, s[4:5]
	v_mad_i64_i32 v[1:2], s[0:1], s2, v0, 0
	s_add_i32 s0, s25, s24
	s_add_i32 s21, s0, s26
	s_ashr_i32 s3, s2, 31
	s_lshl_b64 s[0:1], s[20:21], 3
	s_lshl_b64 s[4:5], s[10:11], 3
	;; [unrolled: 1-line block ×3, first 2 shown]
	s_add_u32 s12, s18, s12
	s_addc_u32 s13, s19, s13
	s_add_u32 s4, s12, s4
	s_addc_u32 s5, s13, s5
	v_lshlrev_b64 v[1:2], 3, v[1:2]
	s_add_u32 s0, s4, s0
	s_addc_u32 s1, s5, s1
	v_mov_b32_e32 v5, s1
	v_add_co_u32_e64 v1, s[0:1], s0, v1
	s_lshl_b64 s[4:5], s[2:3], 13
	v_addc_co_u32_e64 v2, s[0:1], v5, v2, s[0:1]
	v_mov_b32_e32 v5, 0
	s_mov_b64 s[12:13], 0
	v_mov_b32_e32 v7, s5
	v_mov_b32_e32 v8, v0
	v_mov_b32_e32 v6, 0
.LBB107_4:                              ; =>This Inner Loop Header: Depth=1
	global_load_dwordx2 v[9:10], v[1:2], off
	ds_read_b64 v[11:12], v4
	v_add_co_u32_e64 v1, s[0:1], s4, v1
	v_add_u32_e32 v8, 0x400, v8
	v_addc_co_u32_e64 v2, s[0:1], v2, v7, s[0:1]
	v_cmp_le_i32_e64 s[0:1], s9, v8
	v_add_u32_e32 v4, 0x2000, v4
	s_or_b64 s[12:13], s[0:1], s[12:13]
	s_waitcnt vmcnt(0) lgkmcnt(0)
	v_mul_f32_e32 v13, v12, v10
	v_mul_f32_e32 v10, v11, v10
	v_fma_f32 v11, v11, v9, -v13
	v_fmac_f32_e32 v10, v12, v9
	v_add_f32_e32 v6, v6, v11
	v_add_f32_e32 v5, v5, v10
	s_andn2_b64 exec, exec, s[12:13]
	s_cbranch_execnz .LBB107_4
; %bb.5:
	s_or_b64 exec, exec, s[12:13]
.LBB107_6:
	s_or_b64 exec, exec, s[22:23]
	v_mbcnt_lo_u32_b32 v1, -1, 0
	v_mbcnt_hi_u32_b32 v1, -1, v1
	v_and_b32_e32 v2, 63, v1
	v_cmp_ne_u32_e64 s[0:1], 63, v2
	v_addc_co_u32_e64 v4, s[0:1], 0, v1, s[0:1]
	v_lshlrev_b32_e32 v4, 2, v4
	ds_bpermute_b32 v7, v4, v6
	ds_bpermute_b32 v4, v4, v5
	v_cmp_gt_u32_e64 s[0:1], 62, v2
	s_waitcnt lgkmcnt(1)
	v_add_f32_e32 v6, v6, v7
	s_waitcnt lgkmcnt(0)
	v_add_f32_e32 v4, v5, v4
	v_cndmask_b32_e64 v5, 0, 2, s[0:1]
	v_add_lshl_u32 v5, v5, v1, 2
	ds_bpermute_b32 v7, v5, v6
	ds_bpermute_b32 v5, v5, v4
	v_cmp_gt_u32_e64 s[0:1], 60, v2
	s_waitcnt lgkmcnt(1)
	v_add_f32_e32 v6, v6, v7
	s_waitcnt lgkmcnt(0)
	v_add_f32_e32 v4, v4, v5
	v_cndmask_b32_e64 v5, 0, 4, s[0:1]
	v_add_lshl_u32 v5, v5, v1, 2
	;; [unrolled: 9-line block ×3, first 2 shown]
	ds_bpermute_b32 v7, v5, v6
	ds_bpermute_b32 v5, v5, v4
	v_cmp_gt_u32_e64 s[0:1], 48, v2
	v_cndmask_b32_e64 v2, 0, 16, s[0:1]
	v_add_lshl_u32 v2, v2, v1, 2
	s_waitcnt lgkmcnt(1)
	v_add_f32_e32 v6, v6, v7
	s_waitcnt lgkmcnt(0)
	v_add_f32_e32 v4, v4, v5
	ds_bpermute_b32 v5, v2, v6
	ds_bpermute_b32 v2, v2, v4
	s_waitcnt lgkmcnt(1)
	v_add_f32_e32 v5, v6, v5
	s_waitcnt lgkmcnt(0)
	v_add_f32_e32 v2, v4, v2
	v_mov_b32_e32 v4, 0x80
	v_lshl_or_b32 v1, v1, 2, v4
	ds_bpermute_b32 v4, v1, v5
	ds_bpermute_b32 v6, v1, v2
	s_waitcnt lgkmcnt(1)
	v_add_f32_e32 v1, v5, v4
	v_and_b32_e32 v4, 63, v0
	s_waitcnt lgkmcnt(0)
	v_add_f32_e32 v2, v2, v6
	v_cmp_eq_u32_e64 s[0:1], 0, v4
	s_and_saveexec_b64 s[4:5], s[0:1]
; %bb.7:
	v_lshrrev_b32_e32 v4, 3, v0
	v_add_u32_e32 v4, 0, v4
	ds_write2_b32 v4, v1, v2 offset1:1
; %bb.8:
	s_or_b64 exec, exec, s[4:5]
	v_cmp_eq_u32_e64 s[0:1], 0, v0
	s_waitcnt lgkmcnt(0)
	s_barrier
	s_and_saveexec_b64 s[4:5], s[0:1]
	s_cbranch_execz .LBB107_10
; %bb.9:
	v_mov_b32_e32 v16, 0
	ds_read2_b64 v[4:7], v16 offset0:1 offset1:2
	ds_read2_b64 v[8:11], v16 offset0:3 offset1:4
	;; [unrolled: 1-line block ×3, first 2 shown]
	s_waitcnt lgkmcnt(2)
	v_add_f32_e32 v1, v1, v4
	v_add_f32_e32 v2, v2, v5
	v_add_f32_e32 v1, v1, v6
	v_add_f32_e32 v2, v2, v7
	ds_read2_b64 v[4:7], v16 offset0:7 offset1:8
	s_waitcnt lgkmcnt(2)
	v_add_f32_e32 v1, v1, v8
	v_add_f32_e32 v2, v2, v9
	;; [unrolled: 1-line block ×4, first 2 shown]
	s_waitcnt lgkmcnt(1)
	v_add_f32_e32 v1, v1, v12
	v_add_f32_e32 v2, v2, v13
	v_add_f32_e32 v1, v1, v14
	v_add_f32_e32 v2, v2, v15
	ds_read2_b64 v[8:11], v16 offset0:9 offset1:10
	s_waitcnt lgkmcnt(1)
	v_add_f32_e32 v1, v1, v4
	v_add_f32_e32 v2, v2, v5
	v_add_f32_e32 v1, v1, v6
	v_add_f32_e32 v2, v2, v7
	ds_read2_b64 v[4:7], v16 offset0:11 offset1:12
	;; [unrolled: 6-line block ×3, first 2 shown]
	s_waitcnt lgkmcnt(1)
	v_add_f32_e32 v1, v1, v4
	v_add_f32_e32 v2, v2, v5
	;; [unrolled: 1-line block ×4, first 2 shown]
	ds_read_b64 v[1:2], v16 offset:120
	s_waitcnt lgkmcnt(1)
	v_add_f32_e32 v4, v4, v8
	v_add_f32_e32 v5, v5, v9
	;; [unrolled: 1-line block ×4, first 2 shown]
	s_waitcnt lgkmcnt(0)
	v_add_f32_e32 v1, v4, v1
	v_add_f32_e32 v2, v5, v2
	ds_write_b64 v16, v[1:2]
.LBB107_10:
	s_or_b64 exec, exec, s[4:5]
	s_waitcnt lgkmcnt(0)
	s_barrier
	s_and_saveexec_b64 s[0:1], vcc
	s_cbranch_execz .LBB107_13
; %bb.11:
	s_mul_i32 s0, s16, s27
	s_mul_hi_u32 s1, s16, s8
	s_add_i32 s0, s1, s0
	s_mul_i32 s1, s17, s8
	s_add_i32 s1, s0, s1
	s_mul_i32 s0, s16, s8
	s_lshl_b64 s[0:1], s[0:1], 3
	s_add_u32 s0, s14, s0
	s_addc_u32 s1, s15, s1
	v_mov_b32_e32 v1, 0
	s_load_dwordx2 s[4:5], s[0:1], 0x0
	ds_read_b64 v[1:2], v1
	s_ashr_i32 s3, s2, 31
	s_lshl_b64 s[6:7], s[6:7], 3
	v_add_u32_e32 v3, 0x80, v3
	s_waitcnt lgkmcnt(0)
	v_mul_f32_e32 v4, s4, v1
	v_fma_f32 v4, s5, v2, -v4
	v_mul_f32_e32 v2, s4, v2
	v_fma_f32 v5, v1, -s5, -v2
	v_mad_i64_i32 v[1:2], s[0:1], s2, v0, 0
	s_add_i32 s0, s25, s24
	s_add_i32 s21, s0, s26
	s_lshl_b64 s[0:1], s[20:21], 3
	s_lshl_b64 s[4:5], s[10:11], 3
	s_add_u32 s6, s18, s6
	s_addc_u32 s7, s19, s7
	s_add_u32 s4, s6, s4
	s_addc_u32 s5, s7, s5
	v_lshlrev_b64 v[1:2], 3, v[1:2]
	s_add_u32 s0, s4, s0
	s_addc_u32 s1, s5, s1
	v_mov_b32_e32 v6, s1
	v_add_co_u32_e32 v1, vcc, s0, v1
	v_addc_co_u32_e32 v2, vcc, v6, v2, vcc
	v_add_co_u32_e32 v1, vcc, 4, v1
	s_lshl_b64 s[0:1], s[2:3], 13
	v_addc_co_u32_e32 v2, vcc, 0, v2, vcc
	s_mov_b64 s[2:3], 0
	v_mov_b32_e32 v6, s1
.LBB107_12:                             ; =>This Inner Loop Header: Depth=1
	global_load_dwordx2 v[7:8], v[1:2], off offset:-4
	ds_read_b64 v[9:10], v3
	v_add_u32_e32 v0, 0x400, v0
	v_cmp_le_i32_e32 vcc, s9, v0
	s_or_b64 s[2:3], vcc, s[2:3]
	v_add_u32_e32 v3, 0x2000, v3
	s_waitcnt lgkmcnt(0)
	v_mul_f32_e32 v11, v5, v10
	v_mul_f32_e32 v10, v4, v10
	v_fmac_f32_e32 v11, v4, v9
	v_fma_f32 v9, v5, v9, -v10
	s_waitcnt vmcnt(0)
	v_add_f32_e32 v7, v7, v11
	v_add_f32_e32 v8, v9, v8
	global_store_dwordx2 v[1:2], v[7:8], off offset:-4
	v_add_co_u32_e32 v1, vcc, s0, v1
	v_addc_co_u32_e32 v2, vcc, v2, v6, vcc
	s_andn2_b64 exec, exec, s[2:3]
	s_cbranch_execnz .LBB107_12
.LBB107_13:
	s_endpgm
	.section	.rodata,"a",@progbits
	.p2align	6, 0x0
	.amdhsa_kernel _ZN9rocsolver6v33100L17larf_right_kernelILi1024E19rocblas_complex_numIfEiPS3_EEvT1_S5_T2_lS5_lPKT0_lS6_lS5_l
		.amdhsa_group_segment_fixed_size 0
		.amdhsa_private_segment_fixed_size 0
		.amdhsa_kernarg_size 88
		.amdhsa_user_sgpr_count 6
		.amdhsa_user_sgpr_private_segment_buffer 1
		.amdhsa_user_sgpr_dispatch_ptr 0
		.amdhsa_user_sgpr_queue_ptr 0
		.amdhsa_user_sgpr_kernarg_segment_ptr 1
		.amdhsa_user_sgpr_dispatch_id 0
		.amdhsa_user_sgpr_flat_scratch_init 0
		.amdhsa_user_sgpr_private_segment_size 0
		.amdhsa_uses_dynamic_stack 0
		.amdhsa_system_sgpr_private_segment_wavefront_offset 0
		.amdhsa_system_sgpr_workgroup_id_x 1
		.amdhsa_system_sgpr_workgroup_id_y 1
		.amdhsa_system_sgpr_workgroup_id_z 1
		.amdhsa_system_sgpr_workgroup_info 0
		.amdhsa_system_vgpr_workitem_id 0
		.amdhsa_next_free_vgpr 17
		.amdhsa_next_free_sgpr 36
		.amdhsa_reserve_vcc 1
		.amdhsa_reserve_flat_scratch 0
		.amdhsa_float_round_mode_32 0
		.amdhsa_float_round_mode_16_64 0
		.amdhsa_float_denorm_mode_32 3
		.amdhsa_float_denorm_mode_16_64 3
		.amdhsa_dx10_clamp 1
		.amdhsa_ieee_mode 1
		.amdhsa_fp16_overflow 0
		.amdhsa_exception_fp_ieee_invalid_op 0
		.amdhsa_exception_fp_denorm_src 0
		.amdhsa_exception_fp_ieee_div_zero 0
		.amdhsa_exception_fp_ieee_overflow 0
		.amdhsa_exception_fp_ieee_underflow 0
		.amdhsa_exception_fp_ieee_inexact 0
		.amdhsa_exception_int_div_zero 0
	.end_amdhsa_kernel
	.section	.text._ZN9rocsolver6v33100L17larf_right_kernelILi1024E19rocblas_complex_numIfEiPS3_EEvT1_S5_T2_lS5_lPKT0_lS6_lS5_l,"axG",@progbits,_ZN9rocsolver6v33100L17larf_right_kernelILi1024E19rocblas_complex_numIfEiPS3_EEvT1_S5_T2_lS5_lPKT0_lS6_lS5_l,comdat
.Lfunc_end107:
	.size	_ZN9rocsolver6v33100L17larf_right_kernelILi1024E19rocblas_complex_numIfEiPS3_EEvT1_S5_T2_lS5_lPKT0_lS6_lS5_l, .Lfunc_end107-_ZN9rocsolver6v33100L17larf_right_kernelILi1024E19rocblas_complex_numIfEiPS3_EEvT1_S5_T2_lS5_lPKT0_lS6_lS5_l
                                        ; -- End function
	.set _ZN9rocsolver6v33100L17larf_right_kernelILi1024E19rocblas_complex_numIfEiPS3_EEvT1_S5_T2_lS5_lPKT0_lS6_lS5_l.num_vgpr, 17
	.set _ZN9rocsolver6v33100L17larf_right_kernelILi1024E19rocblas_complex_numIfEiPS3_EEvT1_S5_T2_lS5_lPKT0_lS6_lS5_l.num_agpr, 0
	.set _ZN9rocsolver6v33100L17larf_right_kernelILi1024E19rocblas_complex_numIfEiPS3_EEvT1_S5_T2_lS5_lPKT0_lS6_lS5_l.numbered_sgpr, 36
	.set _ZN9rocsolver6v33100L17larf_right_kernelILi1024E19rocblas_complex_numIfEiPS3_EEvT1_S5_T2_lS5_lPKT0_lS6_lS5_l.num_named_barrier, 0
	.set _ZN9rocsolver6v33100L17larf_right_kernelILi1024E19rocblas_complex_numIfEiPS3_EEvT1_S5_T2_lS5_lPKT0_lS6_lS5_l.private_seg_size, 0
	.set _ZN9rocsolver6v33100L17larf_right_kernelILi1024E19rocblas_complex_numIfEiPS3_EEvT1_S5_T2_lS5_lPKT0_lS6_lS5_l.uses_vcc, 1
	.set _ZN9rocsolver6v33100L17larf_right_kernelILi1024E19rocblas_complex_numIfEiPS3_EEvT1_S5_T2_lS5_lPKT0_lS6_lS5_l.uses_flat_scratch, 0
	.set _ZN9rocsolver6v33100L17larf_right_kernelILi1024E19rocblas_complex_numIfEiPS3_EEvT1_S5_T2_lS5_lPKT0_lS6_lS5_l.has_dyn_sized_stack, 0
	.set _ZN9rocsolver6v33100L17larf_right_kernelILi1024E19rocblas_complex_numIfEiPS3_EEvT1_S5_T2_lS5_lPKT0_lS6_lS5_l.has_recursion, 0
	.set _ZN9rocsolver6v33100L17larf_right_kernelILi1024E19rocblas_complex_numIfEiPS3_EEvT1_S5_T2_lS5_lPKT0_lS6_lS5_l.has_indirect_call, 0
	.section	.AMDGPU.csdata,"",@progbits
; Kernel info:
; codeLenInByte = 1512
; TotalNumSgprs: 40
; NumVgprs: 17
; ScratchSize: 0
; MemoryBound: 0
; FloatMode: 240
; IeeeMode: 1
; LDSByteSize: 0 bytes/workgroup (compile time only)
; SGPRBlocks: 4
; VGPRBlocks: 4
; NumSGPRsForWavesPerEU: 40
; NumVGPRsForWavesPerEU: 17
; Occupancy: 10
; WaveLimiterHint : 0
; COMPUTE_PGM_RSRC2:SCRATCH_EN: 0
; COMPUTE_PGM_RSRC2:USER_SGPR: 6
; COMPUTE_PGM_RSRC2:TRAP_HANDLER: 0
; COMPUTE_PGM_RSRC2:TGID_X_EN: 1
; COMPUTE_PGM_RSRC2:TGID_Y_EN: 1
; COMPUTE_PGM_RSRC2:TGID_Z_EN: 1
; COMPUTE_PGM_RSRC2:TIDIG_COMP_CNT: 0
	.section	.text._ZN9rocsolver6v33100L12restore_diagI19rocblas_complex_numIfEifPS3_EEvPT1_llT2_lT0_lS8_,"axG",@progbits,_ZN9rocsolver6v33100L12restore_diagI19rocblas_complex_numIfEifPS3_EEvPT1_llT2_lT0_lS8_,comdat
	.globl	_ZN9rocsolver6v33100L12restore_diagI19rocblas_complex_numIfEifPS3_EEvPT1_llT2_lT0_lS8_ ; -- Begin function _ZN9rocsolver6v33100L12restore_diagI19rocblas_complex_numIfEifPS3_EEvPT1_llT2_lT0_lS8_
	.p2align	8
	.type	_ZN9rocsolver6v33100L12restore_diagI19rocblas_complex_numIfEifPS3_EEvPT1_llT2_lT0_lS8_,@function
_ZN9rocsolver6v33100L12restore_diagI19rocblas_complex_numIfEifPS3_EEvPT1_llT2_lT0_lS8_: ; @_ZN9rocsolver6v33100L12restore_diagI19rocblas_complex_numIfEifPS3_EEvPT1_llT2_lT0_lS8_
; %bb.0:
	s_load_dword s0, s[4:5], 0x4c
	s_load_dword s1, s[4:5], 0x38
	s_waitcnt lgkmcnt(0)
	s_lshr_b32 s0, s0, 16
	s_mul_i32 s7, s7, s0
	v_add_u32_e32 v0, s7, v1
	v_cmp_gt_i32_e32 vcc, s1, v0
	s_and_saveexec_b64 s[0:1], vcc
	s_cbranch_execz .LBB108_2
; %bb.1:
	s_load_dwordx2 s[0:1], s[4:5], 0x30
	s_load_dwordx2 s[2:3], s[4:5], 0x20
	s_load_dword s7, s[4:5], 0x28
	s_load_dwordx8 s[8:15], s[4:5], 0x0
	s_ashr_i32 s4, s6, 31
	s_waitcnt lgkmcnt(0)
	s_mul_hi_u32 s5, s0, s6
	s_mul_i32 s16, s0, s4
	s_add_i32 s5, s5, s16
	s_mul_i32 s1, s1, s6
	s_add_i32 s1, s5, s1
	s_mul_i32 s0, s0, s6
	s_lshl_b64 s[0:1], s[0:1], 3
	s_add_u32 s5, s14, s0
	s_addc_u32 s14, s15, s1
	s_lshl_b64 s[0:1], s[2:3], 3
	s_add_u32 s2, s5, s0
	s_addc_u32 s3, s14, s1
	s_mul_hi_u32 s0, s12, s6
	s_mul_i32 s1, s12, s4
	s_add_i32 s0, s0, s1
	s_mul_i32 s1, s13, s6
	s_add_i32 s1, s0, s1
	s_mul_i32 s0, s12, s6
	s_lshl_b64 s[0:1], s[0:1], 2
	s_add_u32 s4, s8, s0
	s_addc_u32 s5, s9, s1
	s_lshl_b64 s[0:1], s[10:11], 2
	s_add_u32 s4, s4, s0
	s_addc_u32 s5, s5, s1
	v_mad_u64_u32 v[2:3], s[0:1], v0, s7, v[0:1]
	v_ashrrev_i32_e32 v1, 31, v0
	v_lshlrev_b64 v[0:1], 2, v[0:1]
	v_mov_b32_e32 v3, s5
	v_add_co_u32_e32 v0, vcc, s4, v0
	v_addc_co_u32_e32 v1, vcc, v3, v1, vcc
	global_load_dword v0, v[0:1], off
	v_ashrrev_i32_e32 v3, 31, v2
	v_lshlrev_b64 v[1:2], 3, v[2:3]
	v_mov_b32_e32 v4, s3
	v_add_co_u32_e32 v3, vcc, s2, v1
	v_addc_co_u32_e32 v4, vcc, v4, v2, vcc
	v_mov_b32_e32 v1, 0
	s_waitcnt vmcnt(0)
	global_store_dwordx2 v[3:4], v[0:1], off
.LBB108_2:
	s_endpgm
	.section	.rodata,"a",@progbits
	.p2align	6, 0x0
	.amdhsa_kernel _ZN9rocsolver6v33100L12restore_diagI19rocblas_complex_numIfEifPS3_EEvPT1_llT2_lT0_lS8_
		.amdhsa_group_segment_fixed_size 0
		.amdhsa_private_segment_fixed_size 0
		.amdhsa_kernarg_size 320
		.amdhsa_user_sgpr_count 6
		.amdhsa_user_sgpr_private_segment_buffer 1
		.amdhsa_user_sgpr_dispatch_ptr 0
		.amdhsa_user_sgpr_queue_ptr 0
		.amdhsa_user_sgpr_kernarg_segment_ptr 1
		.amdhsa_user_sgpr_dispatch_id 0
		.amdhsa_user_sgpr_flat_scratch_init 0
		.amdhsa_user_sgpr_private_segment_size 0
		.amdhsa_uses_dynamic_stack 0
		.amdhsa_system_sgpr_private_segment_wavefront_offset 0
		.amdhsa_system_sgpr_workgroup_id_x 1
		.amdhsa_system_sgpr_workgroup_id_y 1
		.amdhsa_system_sgpr_workgroup_id_z 0
		.amdhsa_system_sgpr_workgroup_info 0
		.amdhsa_system_vgpr_workitem_id 1
		.amdhsa_next_free_vgpr 5
		.amdhsa_next_free_sgpr 17
		.amdhsa_reserve_vcc 1
		.amdhsa_reserve_flat_scratch 0
		.amdhsa_float_round_mode_32 0
		.amdhsa_float_round_mode_16_64 0
		.amdhsa_float_denorm_mode_32 3
		.amdhsa_float_denorm_mode_16_64 3
		.amdhsa_dx10_clamp 1
		.amdhsa_ieee_mode 1
		.amdhsa_fp16_overflow 0
		.amdhsa_exception_fp_ieee_invalid_op 0
		.amdhsa_exception_fp_denorm_src 0
		.amdhsa_exception_fp_ieee_div_zero 0
		.amdhsa_exception_fp_ieee_overflow 0
		.amdhsa_exception_fp_ieee_underflow 0
		.amdhsa_exception_fp_ieee_inexact 0
		.amdhsa_exception_int_div_zero 0
	.end_amdhsa_kernel
	.section	.text._ZN9rocsolver6v33100L12restore_diagI19rocblas_complex_numIfEifPS3_EEvPT1_llT2_lT0_lS8_,"axG",@progbits,_ZN9rocsolver6v33100L12restore_diagI19rocblas_complex_numIfEifPS3_EEvPT1_llT2_lT0_lS8_,comdat
.Lfunc_end108:
	.size	_ZN9rocsolver6v33100L12restore_diagI19rocblas_complex_numIfEifPS3_EEvPT1_llT2_lT0_lS8_, .Lfunc_end108-_ZN9rocsolver6v33100L12restore_diagI19rocblas_complex_numIfEifPS3_EEvPT1_llT2_lT0_lS8_
                                        ; -- End function
	.set _ZN9rocsolver6v33100L12restore_diagI19rocblas_complex_numIfEifPS3_EEvPT1_llT2_lT0_lS8_.num_vgpr, 5
	.set _ZN9rocsolver6v33100L12restore_diagI19rocblas_complex_numIfEifPS3_EEvPT1_llT2_lT0_lS8_.num_agpr, 0
	.set _ZN9rocsolver6v33100L12restore_diagI19rocblas_complex_numIfEifPS3_EEvPT1_llT2_lT0_lS8_.numbered_sgpr, 17
	.set _ZN9rocsolver6v33100L12restore_diagI19rocblas_complex_numIfEifPS3_EEvPT1_llT2_lT0_lS8_.num_named_barrier, 0
	.set _ZN9rocsolver6v33100L12restore_diagI19rocblas_complex_numIfEifPS3_EEvPT1_llT2_lT0_lS8_.private_seg_size, 0
	.set _ZN9rocsolver6v33100L12restore_diagI19rocblas_complex_numIfEifPS3_EEvPT1_llT2_lT0_lS8_.uses_vcc, 1
	.set _ZN9rocsolver6v33100L12restore_diagI19rocblas_complex_numIfEifPS3_EEvPT1_llT2_lT0_lS8_.uses_flat_scratch, 0
	.set _ZN9rocsolver6v33100L12restore_diagI19rocblas_complex_numIfEifPS3_EEvPT1_llT2_lT0_lS8_.has_dyn_sized_stack, 0
	.set _ZN9rocsolver6v33100L12restore_diagI19rocblas_complex_numIfEifPS3_EEvPT1_llT2_lT0_lS8_.has_recursion, 0
	.set _ZN9rocsolver6v33100L12restore_diagI19rocblas_complex_numIfEifPS3_EEvPT1_llT2_lT0_lS8_.has_indirect_call, 0
	.section	.AMDGPU.csdata,"",@progbits
; Kernel info:
; codeLenInByte = 264
; TotalNumSgprs: 21
; NumVgprs: 5
; ScratchSize: 0
; MemoryBound: 0
; FloatMode: 240
; IeeeMode: 1
; LDSByteSize: 0 bytes/workgroup (compile time only)
; SGPRBlocks: 2
; VGPRBlocks: 1
; NumSGPRsForWavesPerEU: 21
; NumVGPRsForWavesPerEU: 5
; Occupancy: 10
; WaveLimiterHint : 0
; COMPUTE_PGM_RSRC2:SCRATCH_EN: 0
; COMPUTE_PGM_RSRC2:USER_SGPR: 6
; COMPUTE_PGM_RSRC2:TRAP_HANDLER: 0
; COMPUTE_PGM_RSRC2:TGID_X_EN: 1
; COMPUTE_PGM_RSRC2:TGID_Y_EN: 1
; COMPUTE_PGM_RSRC2:TGID_Z_EN: 0
; COMPUTE_PGM_RSRC2:TIDIG_COMP_CNT: 1
	.section	.text._ZN9rocsolver6v33100L14set_triangularI19rocblas_complex_numIfEPS3_TnNSt9enable_ifIX18rocblas_is_complexIT_EEiE4typeELi0EEEviiT0_iilPS6_lSA_il15rocblas_direct_15rocblas_storev_b,"axG",@progbits,_ZN9rocsolver6v33100L14set_triangularI19rocblas_complex_numIfEPS3_TnNSt9enable_ifIX18rocblas_is_complexIT_EEiE4typeELi0EEEviiT0_iilPS6_lSA_il15rocblas_direct_15rocblas_storev_b,comdat
	.globl	_ZN9rocsolver6v33100L14set_triangularI19rocblas_complex_numIfEPS3_TnNSt9enable_ifIX18rocblas_is_complexIT_EEiE4typeELi0EEEviiT0_iilPS6_lSA_il15rocblas_direct_15rocblas_storev_b ; -- Begin function _ZN9rocsolver6v33100L14set_triangularI19rocblas_complex_numIfEPS3_TnNSt9enable_ifIX18rocblas_is_complexIT_EEiE4typeELi0EEEviiT0_iilPS6_lSA_il15rocblas_direct_15rocblas_storev_b
	.p2align	8
	.type	_ZN9rocsolver6v33100L14set_triangularI19rocblas_complex_numIfEPS3_TnNSt9enable_ifIX18rocblas_is_complexIT_EEiE4typeELi0EEEviiT0_iilPS6_lSA_il15rocblas_direct_15rocblas_storev_b,@function
_ZN9rocsolver6v33100L14set_triangularI19rocblas_complex_numIfEPS3_TnNSt9enable_ifIX18rocblas_is_complexIT_EEiE4typeELi0EEEviiT0_iilPS6_lSA_il15rocblas_direct_15rocblas_storev_b: ; @_ZN9rocsolver6v33100L14set_triangularI19rocblas_complex_numIfEPS3_TnNSt9enable_ifIX18rocblas_is_complexIT_EEiE4typeELi0EEEviiT0_iilPS6_lSA_il15rocblas_direct_15rocblas_storev_b
; %bb.0:
	s_load_dword s0, s[4:5], 0x64
	s_load_dwordx2 s[10:11], s[4:5], 0x0
	s_waitcnt lgkmcnt(0)
	s_lshr_b32 s1, s0, 16
	s_and_b32 s0, s0, 0xffff
	s_mul_i32 s6, s6, s0
	s_mul_i32 s7, s7, s1
	v_add_u32_e32 v0, s6, v0
	v_add_u32_e32 v2, s7, v1
	v_max_u32_e32 v1, v0, v2
	v_cmp_gt_u32_e32 vcc, s11, v1
	s_and_saveexec_b64 s[0:1], vcc
	s_cbranch_execz .LBB109_36
; %bb.1:
	s_load_dwordx8 s[12:19], s[4:5], 0x18
	s_load_dword s20, s[4:5], 0x38
	s_load_dwordx2 s[0:1], s[4:5], 0x40
	v_cmp_ne_u32_e32 vcc, v2, v0
	s_waitcnt lgkmcnt(0)
	s_mul_i32 s3, s17, s8
	s_mul_hi_u32 s6, s16, s8
	s_mul_i32 s2, s16, s8
	s_add_i32 s3, s6, s3
	s_lshl_b64 s[2:3], s[2:3], 3
	s_add_u32 s21, s14, s2
	s_mul_i32 s1, s1, s8
	s_mul_hi_u32 s2, s0, s8
	s_addc_u32 s22, s15, s3
	s_add_i32 s1, s2, s1
	s_mul_i32 s0, s0, s8
	s_lshl_b64 s[0:1], s[0:1], 3
	s_add_u32 s14, s18, s0
	s_addc_u32 s15, s19, s1
	s_and_saveexec_b64 s[0:1], vcc
	s_xor_b64 s[6:7], exec, s[0:1]
	s_cbranch_execz .LBB109_34
; %bb.2:
	s_load_dwordx4 s[0:3], s[4:5], 0x8
	s_load_dwordx4 s[16:19], s[4:5], 0x48
	s_mul_i32 s9, s13, s8
	s_mul_hi_u32 s13, s12, s8
	s_add_i32 s9, s13, s9
	s_mul_i32 s8, s12, s8
	s_waitcnt lgkmcnt(0)
	s_ashr_i32 s5, s2, 31
	s_lshl_b64 s[8:9], s[8:9], 3
	s_mov_b32 s4, s2
	s_add_u32 s2, s0, s8
	s_addc_u32 s8, s1, s9
	s_lshl_b64 s[0:1], s[4:5], 3
	s_add_u32 s2, s2, s0
	s_addc_u32 s12, s8, s1
	s_bitcmp1_b32 s18, 0
	s_cselect_b64 s[0:1], -1, 0
	s_xor_b64 s[0:1], s[0:1], -1
	s_mov_b64 s[4:5], -1
	s_cmpk_lg_i32 s16, 0xab
	v_mov_b32_e32 v1, 0
	s_cbranch_scc0 .LBB109_18
; %bb.3:
	v_cmp_le_u32_e32 vcc, v2, v0
	s_and_saveexec_b64 s[4:5], vcc
	s_xor_b64 s[4:5], exec, s[4:5]
	s_cbranch_execz .LBB109_5
; %bb.4:
	v_mad_u64_u32 v[4:5], s[8:9], v0, s20, 0
	s_ashr_i32 s8, s20, 31
	v_mov_b32_e32 v3, v5
	v_mad_u64_u32 v[5:6], s[8:9], v0, s8, v[3:4]
	v_mov_b32_e32 v3, 0
	v_mov_b32_e32 v6, s15
	v_lshlrev_b64 v[4:5], 3, v[4:5]
	v_add_co_u32_e32 v7, vcc, s14, v4
	v_addc_co_u32_e32 v6, vcc, v6, v5, vcc
	v_lshlrev_b64 v[4:5], 3, v[2:3]
	v_add_co_u32_e32 v4, vcc, v7, v4
	v_addc_co_u32_e32 v5, vcc, v6, v5, vcc
	v_mov_b32_e32 v6, v3
	v_mov_b32_e32 v7, v3
	global_store_dwordx2 v[4:5], v[6:7], off
.LBB109_5:
	s_andn2_saveexec_b64 s[4:5], s[4:5]
	s_cbranch_execz .LBB109_17
; %bb.6:
	v_lshlrev_b64 v[3:4], 3, v[0:1]
	v_mov_b32_e32 v5, s22
	v_add_co_u32_e32 v3, vcc, s21, v3
	v_addc_co_u32_e32 v4, vcc, v5, v4, vcc
	global_load_dwordx2 v[4:5], v[3:4], off
	s_cmpk_lg_i32 s17, 0xb5
	s_mov_b64 s[8:9], -1
	s_cbranch_scc0 .LBB109_12
; %bb.7:
	v_mov_b32_e32 v3, 0
	v_lshlrev_b64 v[6:7], 3, v[2:3]
	s_andn2_b64 vcc, exec, s[0:1]
	s_cbranch_vccnz .LBB109_9
; %bb.8:
	s_sub_i32 s8, s10, s11
	v_add_u32_e32 v10, s8, v0
	v_mad_u64_u32 v[8:9], s[8:9], v10, s3, 0
	s_ashr_i32 s8, s3, 31
	v_mov_b32_e32 v3, v9
	s_waitcnt vmcnt(0)
	v_mad_u64_u32 v[9:10], s[8:9], v10, s8, v[3:4]
	v_mov_b32_e32 v3, s12
	v_mad_u64_u32 v[10:11], s[8:9], v0, s20, 0
	v_lshlrev_b64 v[8:9], 3, v[8:9]
	s_ashr_i32 s8, s20, 31
	v_add_co_u32_e32 v8, vcc, s2, v8
	v_addc_co_u32_e32 v3, vcc, v3, v9, vcc
	v_add_co_u32_e32 v8, vcc, v8, v6
	v_addc_co_u32_e32 v9, vcc, v3, v7, vcc
	global_load_dwordx2 v[8:9], v[8:9], off
	v_mov_b32_e32 v3, v11
	v_mad_u64_u32 v[11:12], s[8:9], v0, s8, v[3:4]
	v_mov_b32_e32 v3, s15
	s_mov_b64 s[8:9], 0
	v_lshlrev_b64 v[10:11], 3, v[10:11]
	v_add_co_u32_e32 v10, vcc, s14, v10
	v_addc_co_u32_e32 v3, vcc, v3, v11, vcc
	v_add_co_u32_e32 v10, vcc, v10, v6
	v_addc_co_u32_e32 v11, vcc, v3, v7, vcc
	s_waitcnt vmcnt(0)
	v_mul_f32_e32 v3, v4, v8
	v_mul_f32_e32 v13, v4, v9
	v_fma_f32 v12, v5, v9, -v3
	v_fma_f32 v13, v8, -v5, -v13
	global_store_dwordx2 v[10:11], v[12:13], off
.LBB109_9:
	s_andn2_b64 vcc, exec, s[8:9]
	s_cbranch_vccnz .LBB109_11
; %bb.10:
	v_mad_u64_u32 v[8:9], s[8:9], v0, s20, 0
	s_ashr_i32 s8, s20, 31
	v_mov_b32_e32 v3, v9
	s_waitcnt vmcnt(0)
	v_mad_u64_u32 v[9:10], s[8:9], v0, s8, v[3:4]
	s_sub_i32 s8, s10, s11
	v_add_u32_e32 v12, s8, v0
	v_mad_u64_u32 v[10:11], s[8:9], v12, s3, 0
	v_lshlrev_b64 v[8:9], 3, v[8:9]
	v_mov_b32_e32 v3, s15
	v_add_co_u32_e32 v13, vcc, s14, v8
	v_addc_co_u32_e32 v14, vcc, v3, v9, vcc
	s_ashr_i32 s8, s3, 31
	v_mov_b32_e32 v3, v11
	v_mad_u64_u32 v[8:9], s[8:9], v12, s8, v[3:4]
	v_add_co_u32_e32 v12, vcc, v13, v6
	v_mov_b32_e32 v11, v8
	v_lshlrev_b64 v[8:9], 3, v[10:11]
	v_addc_co_u32_e32 v13, vcc, v14, v7, vcc
	v_mov_b32_e32 v3, s12
	v_add_co_u32_e32 v8, vcc, s2, v8
	v_addc_co_u32_e32 v3, vcc, v3, v9, vcc
	v_add_co_u32_e32 v6, vcc, v8, v6
	v_addc_co_u32_e32 v7, vcc, v3, v7, vcc
	global_load_dwordx2 v[8:9], v[12:13], off
	global_load_dwordx2 v[10:11], v[6:7], off
	s_waitcnt vmcnt(0)
	v_add_f32_e32 v3, v10, v8
	v_add_f32_e32 v6, v11, v9
	v_mul_f32_e32 v7, v4, v3
	v_mul_f32_e32 v8, v4, v6
	v_fma_f32 v6, v5, v6, -v7
	v_fma_f32 v7, v3, -v5, -v8
	global_store_dwordx2 v[12:13], v[6:7], off
.LBB109_11:
	s_mov_b64 s[8:9], 0
.LBB109_12:
	s_andn2_b64 vcc, exec, s[8:9]
	s_cbranch_vccnz .LBB109_17
; %bb.13:
	s_andn2_b64 vcc, exec, s[0:1]
	s_mov_b64 s[8:9], -1
	s_cbranch_vccnz .LBB109_15
; %bb.14:
	v_mad_u64_u32 v[6:7], s[8:9], v2, s3, 0
	s_ashr_i32 s8, s3, 31
	v_mov_b32_e32 v9, 0
	v_mov_b32_e32 v3, v7
	s_waitcnt vmcnt(0)
	v_mad_u64_u32 v[7:8], s[8:9], v2, s8, v[3:4]
	s_sub_i32 s8, s10, s11
	v_add_u32_e32 v8, s8, v0
	v_lshlrev_b64 v[6:7], 3, v[6:7]
	v_mov_b32_e32 v3, s12
	v_add_co_u32_e32 v10, vcc, s2, v6
	v_addc_co_u32_e32 v3, vcc, v3, v7, vcc
	v_lshlrev_b64 v[6:7], 3, v[8:9]
	v_add_co_u32_e32 v6, vcc, v10, v6
	v_addc_co_u32_e32 v7, vcc, v3, v7, vcc
	global_load_dwordx2 v[6:7], v[6:7], off
	v_mad_u64_u32 v[10:11], s[8:9], v0, s20, 0
	s_ashr_i32 s8, s20, 31
	v_mov_b32_e32 v3, v11
	v_mad_u64_u32 v[11:12], s[8:9], v0, s8, v[3:4]
	v_mov_b32_e32 v3, v9
	v_mov_b32_e32 v12, s15
	v_lshlrev_b64 v[10:11], 3, v[10:11]
	v_lshlrev_b64 v[8:9], 3, v[2:3]
	v_add_co_u32_e32 v3, vcc, s14, v10
	v_addc_co_u32_e32 v10, vcc, v12, v11, vcc
	v_add_co_u32_e32 v8, vcc, v3, v8
	v_addc_co_u32_e32 v9, vcc, v10, v9, vcc
	s_mov_b64 s[8:9], 0
	s_waitcnt vmcnt(0)
	v_mul_f32_e32 v3, v5, v7
	v_mul_f32_e32 v10, v5, v6
	v_fma_f32 v6, v6, -v4, -v3
	v_fma_f32 v7, v4, v7, -v10
	global_store_dwordx2 v[8:9], v[6:7], off
.LBB109_15:
	s_andn2_b64 vcc, exec, s[8:9]
	s_cbranch_vccnz .LBB109_17
; %bb.16:
	v_mad_u64_u32 v[6:7], s[8:9], v0, s20, 0
	s_ashr_i32 s8, s20, 31
	v_mov_b32_e32 v3, v7
	s_waitcnt vmcnt(0)
	v_mad_u64_u32 v[7:8], s[8:9], v0, s8, v[3:4]
	v_mov_b32_e32 v8, s15
	v_mov_b32_e32 v3, 0
	v_lshlrev_b64 v[6:7], 3, v[6:7]
	v_add_co_u32_e32 v10, vcc, s14, v6
	v_addc_co_u32_e32 v11, vcc, v8, v7, vcc
	v_mad_u64_u32 v[8:9], s[8:9], v2, s3, 0
	v_lshlrev_b64 v[6:7], 3, v[2:3]
	s_ashr_i32 s8, s3, 31
	v_add_co_u32_e32 v6, vcc, v10, v6
	v_mad_u64_u32 v[9:10], s[8:9], v2, s8, v[9:10]
	v_addc_co_u32_e32 v7, vcc, v11, v7, vcc
	v_lshlrev_b64 v[8:9], 3, v[8:9]
	s_sub_i32 s8, s10, s11
	v_add_u32_e32 v10, s8, v0
	v_mov_b32_e32 v11, v3
	v_mov_b32_e32 v3, s12
	v_add_co_u32_e32 v12, vcc, s2, v8
	v_addc_co_u32_e32 v3, vcc, v3, v9, vcc
	v_lshlrev_b64 v[8:9], 3, v[10:11]
	v_add_co_u32_e32 v8, vcc, v12, v8
	v_addc_co_u32_e32 v9, vcc, v3, v9, vcc
	global_load_dwordx2 v[10:11], v[8:9], off
	global_load_dwordx2 v[12:13], v[6:7], off
	s_waitcnt vmcnt(0)
	v_add_f32_e32 v8, v10, v12
	v_sub_f32_e32 v3, v13, v11
	v_mul_f32_e32 v9, v4, v8
	v_mul_f32_e32 v4, v4, v3
	v_fma_f32 v3, v5, v3, -v9
	v_fma_f32 v4, v8, -v5, -v4
	global_store_dwordx2 v[6:7], v[3:4], off
.LBB109_17:
	s_or_b64 exec, exec, s[4:5]
	s_mov_b64 s[4:5], 0
.LBB109_18:
	s_andn2_b64 vcc, exec, s[4:5]
	s_cbranch_vccnz .LBB109_34
; %bb.19:
	v_cmp_ge_u32_e32 vcc, v2, v0
	s_and_saveexec_b64 s[4:5], vcc
	s_xor_b64 s[4:5], exec, s[4:5]
	s_cbranch_execz .LBB109_21
; %bb.20:
	s_waitcnt vmcnt(0)
	v_mad_u64_u32 v[4:5], s[8:9], v0, s20, 0
	s_ashr_i32 s8, s20, 31
	v_mov_b32_e32 v3, 0
	v_mov_b32_e32 v1, v5
	v_mad_u64_u32 v[0:1], s[8:9], v0, s8, v[1:2]
	v_mov_b32_e32 v6, s15
	v_mov_b32_e32 v5, v0
	v_lshlrev_b64 v[0:1], 3, v[4:5]
	v_add_co_u32_e32 v4, vcc, s14, v0
	v_addc_co_u32_e32 v5, vcc, v6, v1, vcc
	v_lshlrev_b64 v[0:1], 3, v[2:3]
	v_mov_b32_e32 v2, v3
	v_add_co_u32_e32 v0, vcc, v4, v0
	v_addc_co_u32_e32 v1, vcc, v5, v1, vcc
	global_store_dwordx2 v[0:1], v[2:3], off
                                        ; implicit-def: $vgpr0_vgpr1
                                        ; implicit-def: $vgpr2
.LBB109_21:
	s_andn2_saveexec_b64 s[4:5], s[4:5]
	s_cbranch_execz .LBB109_33
; %bb.22:
	v_lshlrev_b64 v[6:7], 3, v[0:1]
	v_mov_b32_e32 v1, s22
	v_add_co_u32_e32 v3, vcc, s21, v6
	s_waitcnt vmcnt(0)
	v_addc_co_u32_e32 v4, vcc, v1, v7, vcc
	global_load_dwordx2 v[4:5], v[3:4], off
	v_cndmask_b32_e64 v1, 0, 1, s[0:1]
	s_cmpk_lg_i32 s17, 0xb5
	s_mov_b64 s[8:9], -1
	v_cmp_ne_u32_e64 s[0:1], 1, v1
	s_cbranch_scc0 .LBB109_28
; %bb.23:
	v_mov_b32_e32 v3, 0
	v_lshlrev_b64 v[8:9], 3, v[2:3]
	s_and_b64 vcc, exec, s[0:1]
	s_cbranch_vccnz .LBB109_25
; %bb.24:
	v_mad_u64_u32 v[10:11], s[8:9], v0, s3, 0
	s_ashr_i32 s8, s3, 31
	v_mov_b32_e32 v1, v11
	v_mad_u64_u32 v[11:12], s[8:9], v0, s8, v[1:2]
	v_mov_b32_e32 v1, s12
	v_mad_u64_u32 v[12:13], s[8:9], v0, s20, 0
	v_lshlrev_b64 v[10:11], 3, v[10:11]
	s_ashr_i32 s8, s20, 31
	v_add_co_u32_e32 v3, vcc, s2, v10
	v_addc_co_u32_e32 v1, vcc, v1, v11, vcc
	v_add_co_u32_e32 v10, vcc, v3, v8
	v_addc_co_u32_e32 v11, vcc, v1, v9, vcc
	global_load_dwordx2 v[10:11], v[10:11], off
	v_mov_b32_e32 v1, v13
	v_mad_u64_u32 v[13:14], s[8:9], v0, s8, v[1:2]
	v_mov_b32_e32 v1, s15
	s_mov_b64 s[8:9], 0
	v_lshlrev_b64 v[12:13], 3, v[12:13]
	v_add_co_u32_e32 v3, vcc, s14, v12
	v_addc_co_u32_e32 v1, vcc, v1, v13, vcc
	v_add_co_u32_e32 v12, vcc, v3, v8
	v_addc_co_u32_e32 v13, vcc, v1, v9, vcc
	s_waitcnt vmcnt(0)
	v_mul_f32_e32 v1, v4, v10
	v_mul_f32_e32 v3, v4, v11
	v_fma_f32 v14, v5, v11, -v1
	v_fma_f32 v15, v10, -v5, -v3
	global_store_dwordx2 v[12:13], v[14:15], off
.LBB109_25:
	s_andn2_b64 vcc, exec, s[8:9]
	s_cbranch_vccnz .LBB109_27
; %bb.26:
	v_mad_u64_u32 v[10:11], s[8:9], v0, s20, 0
	s_ashr_i32 s8, s20, 31
	v_mov_b32_e32 v1, v11
	v_mad_u64_u32 v[11:12], s[8:9], v0, s8, v[1:2]
	v_mad_u64_u32 v[12:13], s[8:9], v0, s3, 0
	v_lshlrev_b64 v[10:11], 3, v[10:11]
	v_mov_b32_e32 v1, s15
	v_add_co_u32_e32 v3, vcc, s14, v10
	v_addc_co_u32_e32 v15, vcc, v1, v11, vcc
	s_ashr_i32 s8, s3, 31
	v_mov_b32_e32 v1, v13
	v_mad_u64_u32 v[10:11], s[8:9], v0, s8, v[1:2]
	v_add_co_u32_e32 v14, vcc, v3, v8
	v_mov_b32_e32 v13, v10
	v_lshlrev_b64 v[10:11], 3, v[12:13]
	v_addc_co_u32_e32 v15, vcc, v15, v9, vcc
	v_mov_b32_e32 v1, s12
	v_add_co_u32_e32 v3, vcc, s2, v10
	v_addc_co_u32_e32 v1, vcc, v1, v11, vcc
	v_add_co_u32_e32 v8, vcc, v3, v8
	v_addc_co_u32_e32 v9, vcc, v1, v9, vcc
	global_load_dwordx2 v[10:11], v[14:15], off
	global_load_dwordx2 v[12:13], v[8:9], off
	s_waitcnt vmcnt(0)
	v_add_f32_e32 v1, v12, v10
	v_add_f32_e32 v3, v13, v11
	v_mul_f32_e32 v8, v4, v1
	v_mul_f32_e32 v9, v4, v3
	v_fma_f32 v8, v5, v3, -v8
	v_fma_f32 v9, v1, -v5, -v9
	global_store_dwordx2 v[14:15], v[8:9], off
.LBB109_27:
	s_mov_b64 s[8:9], 0
.LBB109_28:
	s_andn2_b64 vcc, exec, s[8:9]
	s_cbranch_vccnz .LBB109_33
; %bb.29:
	v_mov_b32_e32 v3, 0
	v_lshlrev_b64 v[8:9], 3, v[2:3]
	s_and_b64 vcc, exec, s[0:1]
	s_mov_b64 s[0:1], -1
	s_cbranch_vccnz .LBB109_31
; %bb.30:
	v_mad_u64_u32 v[10:11], s[0:1], v2, s3, 0
	s_ashr_i32 s0, s3, 31
	v_mov_b32_e32 v1, v11
	v_mad_u64_u32 v[11:12], s[0:1], v2, s0, v[1:2]
	v_mov_b32_e32 v1, s12
	v_mad_u64_u32 v[12:13], s[0:1], v0, s20, 0
	v_lshlrev_b64 v[10:11], 3, v[10:11]
	s_ashr_i32 s0, s20, 31
	v_add_co_u32_e32 v3, vcc, s2, v10
	v_addc_co_u32_e32 v1, vcc, v1, v11, vcc
	v_add_co_u32_e32 v10, vcc, v3, v6
	v_addc_co_u32_e32 v11, vcc, v1, v7, vcc
	global_load_dwordx2 v[10:11], v[10:11], off
	v_mov_b32_e32 v1, v13
	v_mad_u64_u32 v[13:14], s[0:1], v0, s0, v[1:2]
	v_mov_b32_e32 v1, s15
	s_mov_b64 s[0:1], 0
	v_lshlrev_b64 v[12:13], 3, v[12:13]
	v_add_co_u32_e32 v3, vcc, s14, v12
	v_addc_co_u32_e32 v1, vcc, v1, v13, vcc
	v_add_co_u32_e32 v12, vcc, v3, v8
	v_addc_co_u32_e32 v13, vcc, v1, v9, vcc
	s_waitcnt vmcnt(0)
	v_mul_f32_e32 v1, v5, v11
	v_mul_f32_e32 v3, v5, v10
	v_fma_f32 v10, v10, -v4, -v1
	v_fma_f32 v11, v4, v11, -v3
	global_store_dwordx2 v[12:13], v[10:11], off
.LBB109_31:
	s_andn2_b64 vcc, exec, s[0:1]
	s_cbranch_vccnz .LBB109_33
; %bb.32:
	v_mad_u64_u32 v[10:11], s[0:1], v0, s20, 0
	s_ashr_i32 s0, s20, 31
	v_mov_b32_e32 v3, s15
	v_mov_b32_e32 v1, v11
	v_mad_u64_u32 v[0:1], s[0:1], v0, s0, v[1:2]
	v_mad_u64_u32 v[12:13], s[0:1], v2, s3, 0
	v_mov_b32_e32 v11, v0
	v_lshlrev_b64 v[0:1], 3, v[10:11]
	s_ashr_i32 s0, s3, 31
	v_add_co_u32_e32 v10, vcc, s14, v0
	v_mov_b32_e32 v0, v13
	v_addc_co_u32_e32 v3, vcc, v3, v1, vcc
	v_mad_u64_u32 v[0:1], s[0:1], v2, s0, v[0:1]
	v_add_co_u32_e32 v1, vcc, v10, v8
	v_mov_b32_e32 v13, v0
	v_addc_co_u32_e32 v2, vcc, v3, v9, vcc
	v_lshlrev_b64 v[8:9], 3, v[12:13]
	v_mov_b32_e32 v0, s12
	v_add_co_u32_e32 v3, vcc, s2, v8
	v_addc_co_u32_e32 v0, vcc, v0, v9, vcc
	v_add_co_u32_e32 v6, vcc, v3, v6
	v_addc_co_u32_e32 v7, vcc, v0, v7, vcc
	global_load_dwordx2 v[8:9], v[6:7], off
	global_load_dwordx2 v[10:11], v[1:2], off
	s_waitcnt vmcnt(0)
	v_add_f32_e32 v0, v8, v10
	v_sub_f32_e32 v3, v11, v9
	v_mul_f32_e32 v6, v4, v0
	v_mul_f32_e32 v4, v4, v3
	v_fma_f32 v3, v5, v3, -v6
	v_fma_f32 v4, v0, -v5, -v4
	global_store_dwordx2 v[1:2], v[3:4], off
.LBB109_33:
	s_or_b64 exec, exec, s[4:5]
                                        ; implicit-def: $vgpr0
.LBB109_34:
	s_andn2_saveexec_b64 s[0:1], s[6:7]
	s_cbranch_execz .LBB109_36
; %bb.35:
	v_mov_b32_e32 v1, 0
	v_lshlrev_b64 v[1:2], 3, v[0:1]
	s_waitcnt vmcnt(0)
	v_mov_b32_e32 v4, s22
	v_add_co_u32_e32 v3, vcc, s21, v1
	v_addc_co_u32_e32 v4, vcc, v4, v2, vcc
	global_load_dwordx2 v[3:4], v[3:4], off
	v_mad_u64_u32 v[5:6], s[0:1], v0, s20, 0
	s_ashr_i32 s0, s20, 31
	v_mad_u64_u32 v[6:7], s[0:1], v0, s0, v[6:7]
	v_mov_b32_e32 v0, s15
	v_lshlrev_b64 v[5:6], 3, v[5:6]
	v_add_co_u32_e32 v5, vcc, s14, v5
	v_addc_co_u32_e32 v6, vcc, v0, v6, vcc
	v_add_co_u32_e32 v0, vcc, v5, v1
	v_addc_co_u32_e32 v1, vcc, v6, v2, vcc
	s_waitcnt vmcnt(0)
	global_store_dwordx2 v[0:1], v[3:4], off
.LBB109_36:
	s_endpgm
	.section	.rodata,"a",@progbits
	.p2align	6, 0x0
	.amdhsa_kernel _ZN9rocsolver6v33100L14set_triangularI19rocblas_complex_numIfEPS3_TnNSt9enable_ifIX18rocblas_is_complexIT_EEiE4typeELi0EEEviiT0_iilPS6_lSA_il15rocblas_direct_15rocblas_storev_b
		.amdhsa_group_segment_fixed_size 0
		.amdhsa_private_segment_fixed_size 0
		.amdhsa_kernarg_size 344
		.amdhsa_user_sgpr_count 6
		.amdhsa_user_sgpr_private_segment_buffer 1
		.amdhsa_user_sgpr_dispatch_ptr 0
		.amdhsa_user_sgpr_queue_ptr 0
		.amdhsa_user_sgpr_kernarg_segment_ptr 1
		.amdhsa_user_sgpr_dispatch_id 0
		.amdhsa_user_sgpr_flat_scratch_init 0
		.amdhsa_user_sgpr_private_segment_size 0
		.amdhsa_uses_dynamic_stack 0
		.amdhsa_system_sgpr_private_segment_wavefront_offset 0
		.amdhsa_system_sgpr_workgroup_id_x 1
		.amdhsa_system_sgpr_workgroup_id_y 1
		.amdhsa_system_sgpr_workgroup_id_z 1
		.amdhsa_system_sgpr_workgroup_info 0
		.amdhsa_system_vgpr_workitem_id 1
		.amdhsa_next_free_vgpr 16
		.amdhsa_next_free_sgpr 23
		.amdhsa_reserve_vcc 1
		.amdhsa_reserve_flat_scratch 0
		.amdhsa_float_round_mode_32 0
		.amdhsa_float_round_mode_16_64 0
		.amdhsa_float_denorm_mode_32 3
		.amdhsa_float_denorm_mode_16_64 3
		.amdhsa_dx10_clamp 1
		.amdhsa_ieee_mode 1
		.amdhsa_fp16_overflow 0
		.amdhsa_exception_fp_ieee_invalid_op 0
		.amdhsa_exception_fp_denorm_src 0
		.amdhsa_exception_fp_ieee_div_zero 0
		.amdhsa_exception_fp_ieee_overflow 0
		.amdhsa_exception_fp_ieee_underflow 0
		.amdhsa_exception_fp_ieee_inexact 0
		.amdhsa_exception_int_div_zero 0
	.end_amdhsa_kernel
	.section	.text._ZN9rocsolver6v33100L14set_triangularI19rocblas_complex_numIfEPS3_TnNSt9enable_ifIX18rocblas_is_complexIT_EEiE4typeELi0EEEviiT0_iilPS6_lSA_il15rocblas_direct_15rocblas_storev_b,"axG",@progbits,_ZN9rocsolver6v33100L14set_triangularI19rocblas_complex_numIfEPS3_TnNSt9enable_ifIX18rocblas_is_complexIT_EEiE4typeELi0EEEviiT0_iilPS6_lSA_il15rocblas_direct_15rocblas_storev_b,comdat
.Lfunc_end109:
	.size	_ZN9rocsolver6v33100L14set_triangularI19rocblas_complex_numIfEPS3_TnNSt9enable_ifIX18rocblas_is_complexIT_EEiE4typeELi0EEEviiT0_iilPS6_lSA_il15rocblas_direct_15rocblas_storev_b, .Lfunc_end109-_ZN9rocsolver6v33100L14set_triangularI19rocblas_complex_numIfEPS3_TnNSt9enable_ifIX18rocblas_is_complexIT_EEiE4typeELi0EEEviiT0_iilPS6_lSA_il15rocblas_direct_15rocblas_storev_b
                                        ; -- End function
	.set _ZN9rocsolver6v33100L14set_triangularI19rocblas_complex_numIfEPS3_TnNSt9enable_ifIX18rocblas_is_complexIT_EEiE4typeELi0EEEviiT0_iilPS6_lSA_il15rocblas_direct_15rocblas_storev_b.num_vgpr, 16
	.set _ZN9rocsolver6v33100L14set_triangularI19rocblas_complex_numIfEPS3_TnNSt9enable_ifIX18rocblas_is_complexIT_EEiE4typeELi0EEEviiT0_iilPS6_lSA_il15rocblas_direct_15rocblas_storev_b.num_agpr, 0
	.set _ZN9rocsolver6v33100L14set_triangularI19rocblas_complex_numIfEPS3_TnNSt9enable_ifIX18rocblas_is_complexIT_EEiE4typeELi0EEEviiT0_iilPS6_lSA_il15rocblas_direct_15rocblas_storev_b.numbered_sgpr, 23
	.set _ZN9rocsolver6v33100L14set_triangularI19rocblas_complex_numIfEPS3_TnNSt9enable_ifIX18rocblas_is_complexIT_EEiE4typeELi0EEEviiT0_iilPS6_lSA_il15rocblas_direct_15rocblas_storev_b.num_named_barrier, 0
	.set _ZN9rocsolver6v33100L14set_triangularI19rocblas_complex_numIfEPS3_TnNSt9enable_ifIX18rocblas_is_complexIT_EEiE4typeELi0EEEviiT0_iilPS6_lSA_il15rocblas_direct_15rocblas_storev_b.private_seg_size, 0
	.set _ZN9rocsolver6v33100L14set_triangularI19rocblas_complex_numIfEPS3_TnNSt9enable_ifIX18rocblas_is_complexIT_EEiE4typeELi0EEEviiT0_iilPS6_lSA_il15rocblas_direct_15rocblas_storev_b.uses_vcc, 1
	.set _ZN9rocsolver6v33100L14set_triangularI19rocblas_complex_numIfEPS3_TnNSt9enable_ifIX18rocblas_is_complexIT_EEiE4typeELi0EEEviiT0_iilPS6_lSA_il15rocblas_direct_15rocblas_storev_b.uses_flat_scratch, 0
	.set _ZN9rocsolver6v33100L14set_triangularI19rocblas_complex_numIfEPS3_TnNSt9enable_ifIX18rocblas_is_complexIT_EEiE4typeELi0EEEviiT0_iilPS6_lSA_il15rocblas_direct_15rocblas_storev_b.has_dyn_sized_stack, 0
	.set _ZN9rocsolver6v33100L14set_triangularI19rocblas_complex_numIfEPS3_TnNSt9enable_ifIX18rocblas_is_complexIT_EEiE4typeELi0EEEviiT0_iilPS6_lSA_il15rocblas_direct_15rocblas_storev_b.has_recursion, 0
	.set _ZN9rocsolver6v33100L14set_triangularI19rocblas_complex_numIfEPS3_TnNSt9enable_ifIX18rocblas_is_complexIT_EEiE4typeELi0EEEviiT0_iilPS6_lSA_il15rocblas_direct_15rocblas_storev_b.has_indirect_call, 0
	.section	.AMDGPU.csdata,"",@progbits
; Kernel info:
; codeLenInByte = 2204
; TotalNumSgprs: 27
; NumVgprs: 16
; ScratchSize: 0
; MemoryBound: 0
; FloatMode: 240
; IeeeMode: 1
; LDSByteSize: 0 bytes/workgroup (compile time only)
; SGPRBlocks: 3
; VGPRBlocks: 3
; NumSGPRsForWavesPerEU: 27
; NumVGPRsForWavesPerEU: 16
; Occupancy: 10
; WaveLimiterHint : 0
; COMPUTE_PGM_RSRC2:SCRATCH_EN: 0
; COMPUTE_PGM_RSRC2:USER_SGPR: 6
; COMPUTE_PGM_RSRC2:TRAP_HANDLER: 0
; COMPUTE_PGM_RSRC2:TGID_X_EN: 1
; COMPUTE_PGM_RSRC2:TGID_Y_EN: 1
; COMPUTE_PGM_RSRC2:TGID_Z_EN: 1
; COMPUTE_PGM_RSRC2:TIDIG_COMP_CNT: 1
	.section	.text._ZN9rocsolver6v33100L7set_tauI19rocblas_complex_numIfEEEviPT_l,"axG",@progbits,_ZN9rocsolver6v33100L7set_tauI19rocblas_complex_numIfEEEviPT_l,comdat
	.globl	_ZN9rocsolver6v33100L7set_tauI19rocblas_complex_numIfEEEviPT_l ; -- Begin function _ZN9rocsolver6v33100L7set_tauI19rocblas_complex_numIfEEEviPT_l
	.p2align	8
	.type	_ZN9rocsolver6v33100L7set_tauI19rocblas_complex_numIfEEEviPT_l,@function
_ZN9rocsolver6v33100L7set_tauI19rocblas_complex_numIfEEEviPT_l: ; @_ZN9rocsolver6v33100L7set_tauI19rocblas_complex_numIfEEEviPT_l
; %bb.0:
	s_load_dword s0, s[4:5], 0x24
	s_load_dword s1, s[4:5], 0x0
	s_waitcnt lgkmcnt(0)
	s_and_b32 s0, s0, 0xffff
	s_mul_i32 s6, s6, s0
	v_add_u32_e32 v0, s6, v0
	v_cmp_gt_u32_e32 vcc, s1, v0
	s_and_saveexec_b64 s[0:1], vcc
	s_cbranch_execz .LBB110_2
; %bb.1:
	s_load_dwordx4 s[0:3], s[4:5], 0x8
	v_mov_b32_e32 v1, 0
	v_lshlrev_b64 v[0:1], 3, v[0:1]
	s_waitcnt lgkmcnt(0)
	s_mul_i32 s3, s3, s7
	s_mul_hi_u32 s4, s2, s7
	s_mul_i32 s2, s2, s7
	s_add_i32 s3, s4, s3
	s_lshl_b64 s[2:3], s[2:3], 3
	s_add_u32 s0, s0, s2
	s_addc_u32 s1, s1, s3
	v_mov_b32_e32 v2, s1
	v_add_co_u32_e32 v0, vcc, s0, v0
	v_addc_co_u32_e32 v1, vcc, v2, v1, vcc
	global_load_dwordx2 v[2:3], v[0:1], off
	s_waitcnt vmcnt(0)
	v_xor_b32_e32 v2, 0x80000000, v2
	v_xor_b32_e32 v3, 0x80000000, v3
	global_store_dwordx2 v[0:1], v[2:3], off
.LBB110_2:
	s_endpgm
	.section	.rodata,"a",@progbits
	.p2align	6, 0x0
	.amdhsa_kernel _ZN9rocsolver6v33100L7set_tauI19rocblas_complex_numIfEEEviPT_l
		.amdhsa_group_segment_fixed_size 0
		.amdhsa_private_segment_fixed_size 0
		.amdhsa_kernarg_size 280
		.amdhsa_user_sgpr_count 6
		.amdhsa_user_sgpr_private_segment_buffer 1
		.amdhsa_user_sgpr_dispatch_ptr 0
		.amdhsa_user_sgpr_queue_ptr 0
		.amdhsa_user_sgpr_kernarg_segment_ptr 1
		.amdhsa_user_sgpr_dispatch_id 0
		.amdhsa_user_sgpr_flat_scratch_init 0
		.amdhsa_user_sgpr_private_segment_size 0
		.amdhsa_uses_dynamic_stack 0
		.amdhsa_system_sgpr_private_segment_wavefront_offset 0
		.amdhsa_system_sgpr_workgroup_id_x 1
		.amdhsa_system_sgpr_workgroup_id_y 1
		.amdhsa_system_sgpr_workgroup_id_z 0
		.amdhsa_system_sgpr_workgroup_info 0
		.amdhsa_system_vgpr_workitem_id 0
		.amdhsa_next_free_vgpr 4
		.amdhsa_next_free_sgpr 8
		.amdhsa_reserve_vcc 1
		.amdhsa_reserve_flat_scratch 0
		.amdhsa_float_round_mode_32 0
		.amdhsa_float_round_mode_16_64 0
		.amdhsa_float_denorm_mode_32 3
		.amdhsa_float_denorm_mode_16_64 3
		.amdhsa_dx10_clamp 1
		.amdhsa_ieee_mode 1
		.amdhsa_fp16_overflow 0
		.amdhsa_exception_fp_ieee_invalid_op 0
		.amdhsa_exception_fp_denorm_src 0
		.amdhsa_exception_fp_ieee_div_zero 0
		.amdhsa_exception_fp_ieee_overflow 0
		.amdhsa_exception_fp_ieee_underflow 0
		.amdhsa_exception_fp_ieee_inexact 0
		.amdhsa_exception_int_div_zero 0
	.end_amdhsa_kernel
	.section	.text._ZN9rocsolver6v33100L7set_tauI19rocblas_complex_numIfEEEviPT_l,"axG",@progbits,_ZN9rocsolver6v33100L7set_tauI19rocblas_complex_numIfEEEviPT_l,comdat
.Lfunc_end110:
	.size	_ZN9rocsolver6v33100L7set_tauI19rocblas_complex_numIfEEEviPT_l, .Lfunc_end110-_ZN9rocsolver6v33100L7set_tauI19rocblas_complex_numIfEEEviPT_l
                                        ; -- End function
	.set _ZN9rocsolver6v33100L7set_tauI19rocblas_complex_numIfEEEviPT_l.num_vgpr, 4
	.set _ZN9rocsolver6v33100L7set_tauI19rocblas_complex_numIfEEEviPT_l.num_agpr, 0
	.set _ZN9rocsolver6v33100L7set_tauI19rocblas_complex_numIfEEEviPT_l.numbered_sgpr, 8
	.set _ZN9rocsolver6v33100L7set_tauI19rocblas_complex_numIfEEEviPT_l.num_named_barrier, 0
	.set _ZN9rocsolver6v33100L7set_tauI19rocblas_complex_numIfEEEviPT_l.private_seg_size, 0
	.set _ZN9rocsolver6v33100L7set_tauI19rocblas_complex_numIfEEEviPT_l.uses_vcc, 1
	.set _ZN9rocsolver6v33100L7set_tauI19rocblas_complex_numIfEEEviPT_l.uses_flat_scratch, 0
	.set _ZN9rocsolver6v33100L7set_tauI19rocblas_complex_numIfEEEviPT_l.has_dyn_sized_stack, 0
	.set _ZN9rocsolver6v33100L7set_tauI19rocblas_complex_numIfEEEviPT_l.has_recursion, 0
	.set _ZN9rocsolver6v33100L7set_tauI19rocblas_complex_numIfEEEviPT_l.has_indirect_call, 0
	.section	.AMDGPU.csdata,"",@progbits
; Kernel info:
; codeLenInByte = 152
; TotalNumSgprs: 12
; NumVgprs: 4
; ScratchSize: 0
; MemoryBound: 0
; FloatMode: 240
; IeeeMode: 1
; LDSByteSize: 0 bytes/workgroup (compile time only)
; SGPRBlocks: 1
; VGPRBlocks: 0
; NumSGPRsForWavesPerEU: 12
; NumVGPRsForWavesPerEU: 4
; Occupancy: 10
; WaveLimiterHint : 0
; COMPUTE_PGM_RSRC2:SCRATCH_EN: 0
; COMPUTE_PGM_RSRC2:USER_SGPR: 6
; COMPUTE_PGM_RSRC2:TRAP_HANDLER: 0
; COMPUTE_PGM_RSRC2:TGID_X_EN: 1
; COMPUTE_PGM_RSRC2:TGID_Y_EN: 1
; COMPUTE_PGM_RSRC2:TGID_Z_EN: 0
; COMPUTE_PGM_RSRC2:TIDIG_COMP_CNT: 0
	.section	.text._ZN9rocsolver6v33100L20larft_kernel_forwardI19rocblas_complex_numIfEPS3_EEv15rocblas_storev_iiT0_iilPT_lS8_il,"axG",@progbits,_ZN9rocsolver6v33100L20larft_kernel_forwardI19rocblas_complex_numIfEPS3_EEv15rocblas_storev_iiT0_iilPT_lS8_il,comdat
	.globl	_ZN9rocsolver6v33100L20larft_kernel_forwardI19rocblas_complex_numIfEPS3_EEv15rocblas_storev_iiT0_iilPT_lS8_il ; -- Begin function _ZN9rocsolver6v33100L20larft_kernel_forwardI19rocblas_complex_numIfEPS3_EEv15rocblas_storev_iiT0_iilPT_lS8_il
	.p2align	8
	.type	_ZN9rocsolver6v33100L20larft_kernel_forwardI19rocblas_complex_numIfEPS3_EEv15rocblas_storev_iiT0_iilPT_lS8_il,@function
_ZN9rocsolver6v33100L20larft_kernel_forwardI19rocblas_complex_numIfEPS3_EEv15rocblas_storev_iiT0_iilPT_lS8_il: ; @_ZN9rocsolver6v33100L20larft_kernel_forwardI19rocblas_complex_numIfEPS3_EEv15rocblas_storev_iiT0_iilPT_lS8_il
; %bb.0:
	s_load_dword s2, s[4:5], 0x5c
	s_load_dword s33, s[4:5], 0x40
	s_load_dwordx2 s[0:1], s[4:5], 0x48
	s_load_dwordx4 s[16:19], s[4:5], 0x0
	s_load_dwordx8 s[8:15], s[4:5], 0x20
	s_ashr_i32 s6, s7, 31
	s_waitcnt lgkmcnt(0)
	s_and_b32 s19, s2, 0xffff
	s_mul_hi_u32 s2, s0, s7
	s_mul_i32 s3, s0, s6
	s_add_i32 s2, s2, s3
	s_mul_i32 s1, s1, s7
	s_add_i32 s1, s2, s1
	s_mul_i32 s0, s0, s7
	s_lshl_b64 s[0:1], s[0:1], 3
	s_add_u32 s36, s14, s0
	s_addc_u32 s37, s15, s1
	v_cmp_gt_i32_e64 s[0:1], s18, v0
	v_lshlrev_b32_e32 v6, 3, v0
	s_and_saveexec_b64 s[2:3], s[0:1]
	s_cbranch_execz .LBB111_5
; %bb.1:
	v_add_u32_e32 v1, 8, v6
	v_mul_lo_u32 v1, s18, v1
	s_lshl_b32 s22, s18, 3
	s_add_i32 s23, s22, 8
	s_add_i32 s24, s33, 1
	v_add3_u32 v4, v1, v6, 0
	v_mad_u64_u32 v[1:2], s[14:15], v0, s33, v[0:1]
	s_mul_i32 s23, s23, s19
	s_mul_i32 s24, s24, s19
	s_mov_b64 s[14:15], 0
	v_mov_b32_e32 v5, s37
	v_mov_b32_e32 v7, v0
.LBB111_2:                              ; =>This Loop Header: Depth=1
                                        ;     Child Loop BB111_3 Depth 2
	s_mov_b64 s[20:21], 0
	v_mov_b32_e32 v2, v1
	v_mov_b32_e32 v8, v4
	;; [unrolled: 1-line block ×3, first 2 shown]
.LBB111_3:                              ;   Parent Loop BB111_2 Depth=1
                                        ; =>  This Inner Loop Header: Depth=2
	v_ashrrev_i32_e32 v3, 31, v2
	v_lshlrev_b64 v[10:11], 3, v[2:3]
	v_add_u32_e32 v9, 1, v9
	v_add_co_u32_e32 v10, vcc, s36, v10
	v_addc_co_u32_e32 v11, vcc, v5, v11, vcc
	global_load_dwordx2 v[10:11], v[10:11], off
	v_cmp_le_i32_e32 vcc, s18, v9
	v_add_u32_e32 v2, s33, v2
	s_or_b64 s[20:21], vcc, s[20:21]
	s_waitcnt vmcnt(0)
	ds_write_b64 v8, v[10:11]
	v_add_u32_e32 v8, s22, v8
	s_andn2_b64 exec, exec, s[20:21]
	s_cbranch_execnz .LBB111_3
; %bb.4:                                ;   in Loop: Header=BB111_2 Depth=1
	s_or_b64 exec, exec, s[20:21]
	v_add_u32_e32 v7, s19, v7
	v_cmp_le_i32_e32 vcc, s18, v7
	v_add_u32_e32 v4, s23, v4
	s_or_b64 s[14:15], vcc, s[14:15]
	v_add_u32_e32 v1, s24, v1
	s_andn2_b64 exec, exec, s[14:15]
	s_cbranch_execnz .LBB111_2
.LBB111_5:
	s_or_b64 exec, exec, s[2:3]
	s_cmp_lt_i32 s18, 2
	s_waitcnt lgkmcnt(0)
	s_barrier
	s_cbranch_scc1 .LBB111_31
; %bb.6:
	s_load_dwordx4 s[20:23], s[4:5], 0x10
	s_mul_i32 s2, s12, s6
	s_mul_hi_u32 s3, s12, s7
	s_add_i32 s4, s3, s2
	s_mul_i32 s5, s13, s7
	s_add_i32 s5, s4, s5
	s_mul_i32 s4, s12, s7
	s_waitcnt lgkmcnt(0)
	s_ashr_i32 s3, s22, 31
	s_lshl_b64 s[4:5], s[4:5], 3
	s_mov_b32 s2, s22
	s_add_u32 s22, s10, s4
	s_addc_u32 s38, s11, s5
	s_lshl_b32 s39, s18, 3
	s_add_i32 s40, s39, 0
	s_cmpk_lg_i32 s16, 0xb5
	s_mul_i32 s4, s8, s6
	s_mul_hi_u32 s6, s8, s7
	s_cselect_b64 s[10:11], -1, 0
	s_add_i32 s4, s6, s4
	s_mul_i32 s6, s9, s7
	s_add_i32 s9, s4, s6
	s_mul_i32 s8, s8, s7
	s_add_i32 s16, s17, -2
	s_lshl_b64 s[6:7], s[8:9], 3
	s_lshl_b64 s[2:3], s[2:3], 3
	s_add_u32 s41, s20, s2
	s_addc_u32 s42, s21, s3
	s_ashr_i32 s13, s23, 31
	s_mov_b32 s12, s23
	s_lshl_b32 s8, s23, 1
	s_lshl_b64 s[12:13], s[12:13], 3
	s_lshl_b32 s43, s19, 3
	s_add_u32 s2, s6, s2
	s_addc_u32 s3, s7, s3
	v_add_u32_e32 v3, 8, v6
	s_add_u32 s2, s20, s2
	v_mul_lo_u32 v3, s18, v3
	v_mul_lo_u32 v7, v0, s23
	s_addc_u32 s3, s21, s3
	s_add_u32 s14, s2, 20
	v_mov_b32_e32 v2, s7
	v_add_co_u32_e32 v1, vcc, s6, v6
	s_addc_u32 s15, s3, 0
	s_add_i32 s45, s39, 8
	s_mov_b32 s5, 0
	s_mov_b32 s4, 1
	v_addc_co_u32_e32 v2, vcc, 0, v2, vcc
	s_mul_i32 s44, s23, s19
	v_add3_u32 v8, v3, v6, 0
	s_mul_i32 s45, s45, s19
	v_add_u32_e32 v9, 0, v6
	s_mov_b32 s20, s23
	s_branch .LBB111_8
.LBB111_7:                              ;   in Loop: Header=BB111_8 Depth=1
	s_or_b64 exec, exec, s[2:3]
	s_add_i32 s4, s4, 1
	s_add_i32 s16, s16, -1
	s_add_u32 s6, s6, 8
	s_addc_u32 s7, s7, 0
	s_add_i32 s8, s8, s23
	s_add_u32 s14, s14, 8
	s_addc_u32 s15, s15, 0
	s_add_i32 s20, s20, s23
	s_cmp_eq_u32 s4, s18
	s_waitcnt lgkmcnt(0)
	s_barrier
	s_cbranch_scc1 .LBB111_31
.LBB111_8:                              ; =>This Loop Header: Depth=1
                                        ;     Child Loop BB111_13 Depth 2
                                        ;       Child Loop BB111_15 Depth 3
                                        ;     Child Loop BB111_22 Depth 2
                                        ;       Child Loop BB111_24 Depth 3
	;; [unrolled: 2-line block ×3, first 2 shown]
	s_not_b32 s2, s4
	s_add_i32 s47, s17, s2
	s_mul_i32 s2, s4, s18
	s_lshl_b32 s2, s2, 3
	s_add_i32 s46, s40, s2
	s_mov_b64 s[24:25], -1
	s_and_b64 vcc, exec, s[10:11]
	v_cmp_gt_u32_e64 s[2:3], s4, v0
	s_cbranch_vccz .LBB111_17
; %bb.9:                                ;   in Loop: Header=BB111_8 Depth=1
	s_and_saveexec_b64 s[24:25], s[2:3]
	s_cbranch_execz .LBB111_16
; %bb.10:                               ;   in Loop: Header=BB111_8 Depth=1
	s_ashr_i32 s9, s8, 31
	s_lshl_b64 s[2:3], s[8:9], 3
	s_add_u32 s26, s41, s2
	s_addc_u32 s27, s42, s3
	s_cmp_gt_i32 s47, 0
	s_cselect_b64 s[2:3], -1, 0
	s_lshl_b64 s[28:29], s[4:5], 3
	s_add_u32 s30, s22, s28
	s_addc_u32 s31, s38, s29
	s_load_dwordx2 s[28:29], s[30:31], 0x0
	v_cndmask_b32_e64 v3, 0, 1, s[2:3]
	v_cmp_ne_u32_e64 s[2:3], 1, v3
	v_mov_b32_e32 v4, v2
	s_mov_b64 s[30:31], 0
	v_mov_b32_e32 v3, v1
	v_mov_b32_e32 v5, v0
	s_branch .LBB111_13
.LBB111_11:                             ;   in Loop: Header=BB111_13 Depth=2
	v_mov_b32_e32 v11, 0
.LBB111_12:                             ;   in Loop: Header=BB111_13 Depth=2
	v_lshlrev_b32_e32 v14, 3, v5
	v_add_u32_e32 v12, s46, v14
	ds_read_b64 v[12:13], v12
	v_add_u32_e32 v5, s19, v5
	s_waitcnt lgkmcnt(0)
	v_mul_f32_e32 v15, s29, v10
	v_mul_f32_e32 v16, s29, v11
	v_cmp_le_u32_e32 vcc, s4, v5
	v_fma_f32 v11, v11, s28, -v15
	v_fmac_f32_e32 v16, s28, v10
	s_or_b64 s[30:31], vcc, s[30:31]
	v_add_co_u32_e32 v3, vcc, s43, v3
	v_add_f32_e32 v10, v12, v11
	v_add_f32_e32 v11, v13, v16
	v_add_u32_e32 v12, 0, v14
	v_addc_co_u32_e32 v4, vcc, 0, v4, vcc
	ds_write_b64 v12, v[10:11]
	s_andn2_b64 exec, exec, s[30:31]
	s_cbranch_execz .LBB111_16
.LBB111_13:                             ;   Parent Loop BB111_8 Depth=1
                                        ; =>  This Loop Header: Depth=2
                                        ;       Child Loop BB111_15 Depth 3
	v_mov_b32_e32 v10, 0
	s_and_b64 vcc, exec, s[2:3]
	s_cbranch_vccnz .LBB111_11
; %bb.14:                               ;   in Loop: Header=BB111_13 Depth=2
	s_mov_b32 s9, 0
	s_mov_b64 s[34:35], s[26:27]
	v_mov_b32_e32 v11, 0
.LBB111_15:                             ;   Parent Loop BB111_8 Depth=1
                                        ;     Parent Loop BB111_13 Depth=2
                                        ; =>    This Inner Loop Header: Depth=3
	v_mov_b32_e32 v13, s35
	v_add_co_u32_e32 v12, vcc, s34, v3
	v_addc_co_u32_e32 v13, vcc, v13, v4, vcc
	global_load_dwordx2 v[12:13], v[12:13], off
	s_add_u32 s48, s34, s6
	s_addc_u32 s49, s35, s7
	s_load_dwordx2 s[50:51], s[48:49], 0x8
	s_add_i32 s9, s9, 1
	s_add_u32 s34, s34, s12
	s_addc_u32 s35, s35, s13
	s_cmp_eq_u32 s16, s9
	s_waitcnt vmcnt(0) lgkmcnt(0)
	v_mul_f32_e32 v14, s51, v13
	v_mul_f32_e32 v15, s51, v12
	v_fmac_f32_e32 v14, s50, v12
	v_fma_f32 v12, s50, v13, -v15
	v_add_f32_e32 v11, v11, v14
	v_add_f32_e32 v10, v10, v12
	s_cbranch_scc0 .LBB111_15
	s_branch .LBB111_12
.LBB111_16:                             ;   in Loop: Header=BB111_8 Depth=1
	s_or_b64 exec, exec, s[24:25]
	s_mov_b64 s[24:25], 0
.LBB111_17:                             ;   in Loop: Header=BB111_8 Depth=1
	s_andn2_b64 vcc, exec, s[24:25]
	s_cbranch_vccnz .LBB111_26
; %bb.18:                               ;   in Loop: Header=BB111_8 Depth=1
	v_cmp_gt_u32_e32 vcc, s4, v0
	s_and_saveexec_b64 s[2:3], vcc
	s_cbranch_execz .LBB111_25
; %bb.19:                               ;   in Loop: Header=BB111_8 Depth=1
	s_ashr_i32 s21, s20, 31
	s_lshl_b64 s[24:25], s[20:21], 3
	s_cmp_gt_i32 s47, 0
	s_cselect_b64 s[26:27], -1, 0
	s_lshl_b64 s[28:29], s[4:5], 3
	s_add_u32 s30, s22, s28
	s_addc_u32 s31, s38, s29
	s_load_dwordx2 s[28:29], s[30:31], 0x0
	s_mov_b64 s[30:31], 0
	v_mov_b32_e32 v3, v7
	v_mov_b32_e32 v10, v0
	s_branch .LBB111_22
.LBB111_20:                             ;   in Loop: Header=BB111_22 Depth=2
	v_mov_b32_e32 v11, 0
	v_mov_b32_e32 v12, 0
.LBB111_21:                             ;   in Loop: Header=BB111_22 Depth=2
	v_lshlrev_b32_e32 v13, 3, v10
	v_add_u32_e32 v4, s46, v13
	ds_read_b64 v[4:5], v4
	s_waitcnt lgkmcnt(0)
	v_mul_f32_e32 v14, s29, v11
	v_mul_f32_e32 v15, s29, v12
	v_add_u32_e32 v10, s19, v10
	v_fma_f32 v12, v12, s28, -v14
	v_fmac_f32_e32 v15, s28, v11
	v_cmp_le_u32_e32 vcc, s4, v10
	v_add_f32_e32 v4, v4, v12
	v_add_f32_e32 v5, v5, v15
	v_add_u32_e32 v11, 0, v13
	s_or_b64 s[30:31], vcc, s[30:31]
	v_add_u32_e32 v3, s44, v3
	ds_write_b64 v11, v[4:5]
	s_andn2_b64 exec, exec, s[30:31]
	s_cbranch_execz .LBB111_25
.LBB111_22:                             ;   Parent Loop BB111_8 Depth=1
                                        ; =>  This Loop Header: Depth=2
                                        ;       Child Loop BB111_24 Depth 3
	s_andn2_b64 vcc, exec, s[26:27]
	s_cbranch_vccnz .LBB111_20
; %bb.23:                               ;   in Loop: Header=BB111_22 Depth=2
	v_ashrrev_i32_e32 v4, 31, v3
	v_lshlrev_b64 v[4:5], 3, v[3:4]
	v_mov_b32_e32 v11, 0
	s_mov_b32 s9, 0
	s_mov_b64 s[34:35], s[14:15]
	v_mov_b32_e32 v12, 0
.LBB111_24:                             ;   Parent Loop BB111_8 Depth=1
                                        ;     Parent Loop BB111_22 Depth=2
                                        ; =>    This Inner Loop Header: Depth=3
	v_mov_b32_e32 v14, s35
	v_add_co_u32_e32 v13, vcc, s34, v4
	v_addc_co_u32_e32 v14, vcc, v14, v5, vcc
	global_load_dwordx2 v[13:14], v[13:14], off offset:-4
	s_add_u32 s21, s34, s24
	s_addc_u32 s47, s35, s25
	s_add_u32 s48, s21, -4
	s_addc_u32 s49, s47, -1
	s_load_dwordx2 s[50:51], s[48:49], 0x0
	s_add_i32 s9, s9, 1
	s_add_u32 s34, s34, 8
	s_addc_u32 s35, s35, 0
	s_cmp_eq_u32 s16, s9
	s_waitcnt vmcnt(0) lgkmcnt(0)
	v_mul_f32_e32 v15, s51, v14
	v_mul_f32_e32 v14, s50, v14
	v_fmac_f32_e32 v15, s50, v13
	v_fma_f32 v13, v13, s51, -v14
	v_add_f32_e32 v12, v12, v15
	v_add_f32_e32 v11, v11, v13
	s_cbranch_scc0 .LBB111_24
	s_branch .LBB111_21
.LBB111_25:                             ;   in Loop: Header=BB111_8 Depth=1
	s_or_b64 exec, exec, s[2:3]
.LBB111_26:                             ;   in Loop: Header=BB111_8 Depth=1
	v_cmp_gt_u32_e32 vcc, s4, v0
	s_waitcnt lgkmcnt(0)
	s_barrier
	s_and_saveexec_b64 s[2:3], vcc
	s_cbranch_execz .LBB111_7
; %bb.27:                               ;   in Loop: Header=BB111_8 Depth=1
	s_mov_b64 s[24:25], 0
	v_mov_b32_e32 v5, v9
	v_mov_b32_e32 v10, v8
	;; [unrolled: 1-line block ×3, first 2 shown]
.LBB111_28:                             ;   Parent Loop BB111_8 Depth=1
                                        ; =>  This Loop Header: Depth=2
                                        ;       Child Loop BB111_29 Depth 3
	v_mov_b32_e32 v3, 0
	s_mov_b64 s[26:27], 0
	v_mov_b32_e32 v12, v5
	v_mov_b32_e32 v13, v10
	;; [unrolled: 1-line block ×4, first 2 shown]
.LBB111_29:                             ;   Parent Loop BB111_8 Depth=1
                                        ;     Parent Loop BB111_28 Depth=2
                                        ; =>    This Inner Loop Header: Depth=3
	ds_read_b64 v[15:16], v13
	ds_read_b64 v[17:18], v12
	v_add_u32_e32 v14, 1, v14
	v_cmp_le_u32_e32 vcc, s4, v14
	v_add_u32_e32 v13, s39, v13
	v_add_u32_e32 v12, 8, v12
	s_waitcnt lgkmcnt(0)
	v_mul_f32_e32 v19, v18, v16
	v_mul_f32_e32 v16, v17, v16
	v_fma_f32 v17, v17, v15, -v19
	v_fmac_f32_e32 v16, v18, v15
	s_or_b64 s[26:27], vcc, s[26:27]
	v_add_f32_e32 v3, v3, v17
	v_add_f32_e32 v4, v4, v16
	s_andn2_b64 exec, exec, s[26:27]
	s_cbranch_execnz .LBB111_29
; %bb.30:                               ;   in Loop: Header=BB111_28 Depth=2
	s_or_b64 exec, exec, s[26:27]
	v_lshl_add_u32 v12, v11, 3, s46
	v_add_u32_e32 v11, s19, v11
	v_cmp_le_u32_e32 vcc, s4, v11
	v_add_u32_e32 v10, s45, v10
	s_or_b64 s[24:25], vcc, s[24:25]
	v_add_u32_e32 v5, s43, v5
	ds_write_b64 v12, v[3:4]
	s_andn2_b64 exec, exec, s[24:25]
	s_cbranch_execnz .LBB111_28
	s_branch .LBB111_7
.LBB111_31:
	s_and_saveexec_b64 s[2:3], s[0:1]
	s_cbranch_execz .LBB111_36
; %bb.32:
	v_add_u32_e32 v1, 8, v6
	v_mul_lo_u32 v3, s18, v1
	v_mad_u64_u32 v[1:2], s[0:1], v0, s33, v[0:1]
	s_lshl_b32 s5, s18, 3
	s_add_i32 s4, s33, 1
	s_add_i32 s6, s5, 8
	s_mul_i32 s4, s4, s19
	v_add3_u32 v4, v3, v6, 0
	s_mul_i32 s6, s6, s19
	s_mov_b64 s[0:1], 0
	v_mov_b32_e32 v5, s37
.LBB111_33:                             ; =>This Loop Header: Depth=1
                                        ;     Child Loop BB111_34 Depth 2
	s_mov_b64 s[2:3], 0
	v_mov_b32_e32 v6, v4
	v_mov_b32_e32 v2, v1
	;; [unrolled: 1-line block ×3, first 2 shown]
.LBB111_34:                             ;   Parent Loop BB111_33 Depth=1
                                        ; =>  This Inner Loop Header: Depth=2
	v_ashrrev_i32_e32 v3, 31, v2
	ds_read_b64 v[8:9], v6
	v_add_u32_e32 v7, 1, v7
	v_lshlrev_b64 v[10:11], 3, v[2:3]
	v_cmp_le_i32_e32 vcc, s18, v7
	s_or_b64 s[2:3], vcc, s[2:3]
	v_add_co_u32_e32 v10, vcc, s36, v10
	v_add_u32_e32 v6, s5, v6
	v_add_u32_e32 v2, s33, v2
	v_addc_co_u32_e32 v11, vcc, v5, v11, vcc
	s_waitcnt lgkmcnt(0)
	global_store_dwordx2 v[10:11], v[8:9], off
	s_andn2_b64 exec, exec, s[2:3]
	s_cbranch_execnz .LBB111_34
; %bb.35:                               ;   in Loop: Header=BB111_33 Depth=1
	s_or_b64 exec, exec, s[2:3]
	v_add_u32_e32 v0, s19, v0
	v_cmp_le_i32_e32 vcc, s18, v0
	v_add_u32_e32 v1, s4, v1
	s_or_b64 s[0:1], vcc, s[0:1]
	v_add_u32_e32 v4, s6, v4
	s_andn2_b64 exec, exec, s[0:1]
	s_cbranch_execnz .LBB111_33
.LBB111_36:
	s_endpgm
	.section	.rodata,"a",@progbits
	.p2align	6, 0x0
	.amdhsa_kernel _ZN9rocsolver6v33100L20larft_kernel_forwardI19rocblas_complex_numIfEPS3_EEv15rocblas_storev_iiT0_iilPT_lS8_il
		.amdhsa_group_segment_fixed_size 0
		.amdhsa_private_segment_fixed_size 0
		.amdhsa_kernarg_size 336
		.amdhsa_user_sgpr_count 6
		.amdhsa_user_sgpr_private_segment_buffer 1
		.amdhsa_user_sgpr_dispatch_ptr 0
		.amdhsa_user_sgpr_queue_ptr 0
		.amdhsa_user_sgpr_kernarg_segment_ptr 1
		.amdhsa_user_sgpr_dispatch_id 0
		.amdhsa_user_sgpr_flat_scratch_init 0
		.amdhsa_user_sgpr_private_segment_size 0
		.amdhsa_uses_dynamic_stack 0
		.amdhsa_system_sgpr_private_segment_wavefront_offset 0
		.amdhsa_system_sgpr_workgroup_id_x 1
		.amdhsa_system_sgpr_workgroup_id_y 1
		.amdhsa_system_sgpr_workgroup_id_z 0
		.amdhsa_system_sgpr_workgroup_info 0
		.amdhsa_system_vgpr_workitem_id 0
		.amdhsa_next_free_vgpr 20
		.amdhsa_next_free_sgpr 52
		.amdhsa_reserve_vcc 1
		.amdhsa_reserve_flat_scratch 0
		.amdhsa_float_round_mode_32 0
		.amdhsa_float_round_mode_16_64 0
		.amdhsa_float_denorm_mode_32 3
		.amdhsa_float_denorm_mode_16_64 3
		.amdhsa_dx10_clamp 1
		.amdhsa_ieee_mode 1
		.amdhsa_fp16_overflow 0
		.amdhsa_exception_fp_ieee_invalid_op 0
		.amdhsa_exception_fp_denorm_src 0
		.amdhsa_exception_fp_ieee_div_zero 0
		.amdhsa_exception_fp_ieee_overflow 0
		.amdhsa_exception_fp_ieee_underflow 0
		.amdhsa_exception_fp_ieee_inexact 0
		.amdhsa_exception_int_div_zero 0
	.end_amdhsa_kernel
	.section	.text._ZN9rocsolver6v33100L20larft_kernel_forwardI19rocblas_complex_numIfEPS3_EEv15rocblas_storev_iiT0_iilPT_lS8_il,"axG",@progbits,_ZN9rocsolver6v33100L20larft_kernel_forwardI19rocblas_complex_numIfEPS3_EEv15rocblas_storev_iiT0_iilPT_lS8_il,comdat
.Lfunc_end111:
	.size	_ZN9rocsolver6v33100L20larft_kernel_forwardI19rocblas_complex_numIfEPS3_EEv15rocblas_storev_iiT0_iilPT_lS8_il, .Lfunc_end111-_ZN9rocsolver6v33100L20larft_kernel_forwardI19rocblas_complex_numIfEPS3_EEv15rocblas_storev_iiT0_iilPT_lS8_il
                                        ; -- End function
	.set _ZN9rocsolver6v33100L20larft_kernel_forwardI19rocblas_complex_numIfEPS3_EEv15rocblas_storev_iiT0_iilPT_lS8_il.num_vgpr, 20
	.set _ZN9rocsolver6v33100L20larft_kernel_forwardI19rocblas_complex_numIfEPS3_EEv15rocblas_storev_iiT0_iilPT_lS8_il.num_agpr, 0
	.set _ZN9rocsolver6v33100L20larft_kernel_forwardI19rocblas_complex_numIfEPS3_EEv15rocblas_storev_iiT0_iilPT_lS8_il.numbered_sgpr, 52
	.set _ZN9rocsolver6v33100L20larft_kernel_forwardI19rocblas_complex_numIfEPS3_EEv15rocblas_storev_iiT0_iilPT_lS8_il.num_named_barrier, 0
	.set _ZN9rocsolver6v33100L20larft_kernel_forwardI19rocblas_complex_numIfEPS3_EEv15rocblas_storev_iiT0_iilPT_lS8_il.private_seg_size, 0
	.set _ZN9rocsolver6v33100L20larft_kernel_forwardI19rocblas_complex_numIfEPS3_EEv15rocblas_storev_iiT0_iilPT_lS8_il.uses_vcc, 1
	.set _ZN9rocsolver6v33100L20larft_kernel_forwardI19rocblas_complex_numIfEPS3_EEv15rocblas_storev_iiT0_iilPT_lS8_il.uses_flat_scratch, 0
	.set _ZN9rocsolver6v33100L20larft_kernel_forwardI19rocblas_complex_numIfEPS3_EEv15rocblas_storev_iiT0_iilPT_lS8_il.has_dyn_sized_stack, 0
	.set _ZN9rocsolver6v33100L20larft_kernel_forwardI19rocblas_complex_numIfEPS3_EEv15rocblas_storev_iiT0_iilPT_lS8_il.has_recursion, 0
	.set _ZN9rocsolver6v33100L20larft_kernel_forwardI19rocblas_complex_numIfEPS3_EEv15rocblas_storev_iiT0_iilPT_lS8_il.has_indirect_call, 0
	.section	.AMDGPU.csdata,"",@progbits
; Kernel info:
; codeLenInByte = 1612
; TotalNumSgprs: 56
; NumVgprs: 20
; ScratchSize: 0
; MemoryBound: 0
; FloatMode: 240
; IeeeMode: 1
; LDSByteSize: 0 bytes/workgroup (compile time only)
; SGPRBlocks: 6
; VGPRBlocks: 4
; NumSGPRsForWavesPerEU: 56
; NumVGPRsForWavesPerEU: 20
; Occupancy: 10
; WaveLimiterHint : 0
; COMPUTE_PGM_RSRC2:SCRATCH_EN: 0
; COMPUTE_PGM_RSRC2:USER_SGPR: 6
; COMPUTE_PGM_RSRC2:TRAP_HANDLER: 0
; COMPUTE_PGM_RSRC2:TGID_X_EN: 1
; COMPUTE_PGM_RSRC2:TGID_Y_EN: 1
; COMPUTE_PGM_RSRC2:TGID_Z_EN: 0
; COMPUTE_PGM_RSRC2:TIDIG_COMP_CNT: 0
	.section	.text._ZN9rocsolver6v33100L21larft_kernel_backwardI19rocblas_complex_numIfEPS3_EEv15rocblas_storev_iiT0_iilPT_lS8_il,"axG",@progbits,_ZN9rocsolver6v33100L21larft_kernel_backwardI19rocblas_complex_numIfEPS3_EEv15rocblas_storev_iiT0_iilPT_lS8_il,comdat
	.globl	_ZN9rocsolver6v33100L21larft_kernel_backwardI19rocblas_complex_numIfEPS3_EEv15rocblas_storev_iiT0_iilPT_lS8_il ; -- Begin function _ZN9rocsolver6v33100L21larft_kernel_backwardI19rocblas_complex_numIfEPS3_EEv15rocblas_storev_iiT0_iilPT_lS8_il
	.p2align	8
	.type	_ZN9rocsolver6v33100L21larft_kernel_backwardI19rocblas_complex_numIfEPS3_EEv15rocblas_storev_iiT0_iilPT_lS8_il,@function
_ZN9rocsolver6v33100L21larft_kernel_backwardI19rocblas_complex_numIfEPS3_EEv15rocblas_storev_iiT0_iilPT_lS8_il: ; @_ZN9rocsolver6v33100L21larft_kernel_backwardI19rocblas_complex_numIfEPS3_EEv15rocblas_storev_iiT0_iilPT_lS8_il
; %bb.0:
	s_load_dword s2, s[4:5], 0x5c
	s_load_dword s28, s[4:5], 0x40
	s_load_dwordx2 s[0:1], s[4:5], 0x48
	s_load_dwordx4 s[16:19], s[4:5], 0x0
	s_load_dwordx8 s[8:15], s[4:5], 0x20
	s_ashr_i32 s6, s7, 31
	s_waitcnt lgkmcnt(0)
	s_and_b32 s19, s2, 0xffff
	s_mul_hi_u32 s2, s0, s7
	s_mul_i32 s3, s0, s6
	s_add_i32 s2, s2, s3
	s_mul_i32 s1, s1, s7
	s_add_i32 s1, s2, s1
	s_mul_i32 s0, s0, s7
	s_lshl_b64 s[0:1], s[0:1], 3
	s_add_u32 s29, s14, s0
	s_addc_u32 s30, s15, s1
	v_cmp_gt_i32_e64 s[0:1], s18, v0
	v_add_u32_e32 v6, 1, v0
	s_and_saveexec_b64 s[2:3], s[0:1]
	s_cbranch_execz .LBB112_5
; %bb.1:
	s_lshl_b32 s22, s18, 3
	s_add_i32 s14, s22, 0
	v_add_u32_e32 v3, 1, v0
	v_lshl_add_u32 v4, v0, 3, s14
	s_lshl_b32 s23, s19, 3
	s_mov_b64 s[14:15], 0
	v_mov_b32_e32 v5, s30
	v_mov_b32_e32 v7, v0
.LBB112_2:                              ; =>This Loop Header: Depth=1
                                        ;     Child Loop BB112_3 Depth 2
	s_mov_b64 s[20:21], 0
	v_mov_b32_e32 v1, v7
	v_mov_b32_e32 v8, v4
	s_mov_b32 s24, 0
.LBB112_3:                              ;   Parent Loop BB112_2 Depth=1
                                        ; =>  This Inner Loop Header: Depth=2
	v_ashrrev_i32_e32 v2, 31, v1
	v_lshlrev_b64 v[9:10], 3, v[1:2]
	s_add_i32 s24, s24, 1
	v_add_co_u32_e32 v9, vcc, s29, v9
	v_addc_co_u32_e32 v10, vcc, v5, v10, vcc
	global_load_dwordx2 v[9:10], v[9:10], off
	v_cmp_eq_u32_e32 vcc, s24, v3
	v_add_u32_e32 v1, s28, v1
	s_or_b64 s[20:21], vcc, s[20:21]
	s_waitcnt vmcnt(0)
	ds_write_b64 v8, v[9:10]
	v_add_u32_e32 v8, s22, v8
	s_andn2_b64 exec, exec, s[20:21]
	s_cbranch_execnz .LBB112_3
; %bb.4:                                ;   in Loop: Header=BB112_2 Depth=1
	s_or_b64 exec, exec, s[20:21]
	v_add_u32_e32 v7, s19, v7
	v_cmp_le_i32_e32 vcc, s18, v7
	v_add_u32_e32 v3, s19, v3
	s_or_b64 s[14:15], vcc, s[14:15]
	v_add_u32_e32 v4, s23, v4
	s_andn2_b64 exec, exec, s[14:15]
	s_cbranch_execnz .LBB112_2
.LBB112_5:
	s_or_b64 exec, exec, s[2:3]
	s_cmp_lt_i32 s18, 2
	s_waitcnt lgkmcnt(0)
	s_barrier
	s_cbranch_scc1 .LBB112_31
; %bb.6:
	s_load_dwordx4 s[20:23], s[4:5], 0x10
	s_mul_i32 s2, s12, s6
	s_mul_hi_u32 s3, s12, s7
	s_add_i32 s4, s3, s2
	s_mul_i32 s5, s13, s7
	s_add_i32 s5, s4, s5
	s_mul_i32 s4, s12, s7
	s_waitcnt lgkmcnt(0)
	s_ashr_i32 s3, s22, 31
	s_lshl_b64 s[4:5], s[4:5], 3
	s_mov_b32 s2, s22
	s_add_u32 s22, s10, s4
	s_addc_u32 s31, s11, s5
	s_lshl_b32 s33, s18, 3
	s_add_i32 s34, s33, 0
	s_add_i32 s4, s18, -2
	s_sub_i32 s35, s17, s18
	s_cmpk_lg_i32 s16, 0xb5
	s_mul_i32 s6, s8, s6
	s_mul_hi_u32 s12, s8, s7
	s_cselect_b64 s[10:11], -1, 0
	s_add_i32 s6, s12, s6
	s_mul_i32 s9, s9, s7
	s_add_i32 s9, s6, s9
	s_mul_i32 s8, s8, s7
	s_add_i32 s36, s17, -2
	s_lshl_b64 s[6:7], s[8:9], 3
	s_lshl_b64 s[2:3], s[2:3], 3
	s_mov_b32 s5, 0
	s_add_u32 s8, s6, s2
	s_addc_u32 s9, s7, s3
	s_lshl_b64 s[2:3], s[4:5], 3
	s_add_u32 s6, s20, s2
	s_addc_u32 s7, s21, s3
	s_add_u32 s6, s6, s8
	v_lshlrev_b32_e32 v3, 3, v0
	s_addc_u32 s7, s7, s9
	v_mov_b32_e32 v1, s7
	v_add_co_u32_e32 v2, vcc, s6, v3
	s_ashr_i32 s7, s23, 31
	s_mov_b32 s6, s23
	s_lshl_b32 s37, s19, 3
	s_lshl_b64 s[6:7], s[6:7], 3
	s_add_u32 s2, s8, s2
	s_addc_u32 s3, s9, s3
	s_add_u32 s2, s20, s2
	s_addc_u32 s3, s21, s3
	;; [unrolled: 2-line block ×5, first 2 shown]
	s_add_i32 s2, s18, -1
	s_mul_i32 s12, s23, s2
	v_mul_lo_u32 v7, v0, s23
	s_add_i32 s2, s33, 8
	v_addc_co_u32_e32 v4, vcc, 0, v1, vcc
	s_mul_i32 s2, s18, s2
	v_add_co_u32_e32 v1, vcc, 8, v2
	s_add_i32 s2, s2, 0
	v_addc_co_u32_e32 v2, vcc, 0, v4, vcc
	s_mul_i32 s8, s23, s4
	s_mul_i32 s42, s23, s19
	v_add3_u32 v8, s2, v3, -8
	s_xor_b32 s43, s33, -8
	s_branch .LBB112_8
.LBB112_7:                              ;   in Loop: Header=BB112_8 Depth=1
	s_or_b64 exec, exec, s[2:3]
	s_add_i32 s2, s4, -1
	s_add_i32 s36, s36, -1
	s_add_u32 s38, s38, -8
	v_add_co_u32_e32 v1, vcc, -8, v1
	s_addc_u32 s39, s39, -1
	s_sub_i32 s8, s8, s23
	s_sub_i32 s12, s12, s23
	v_addc_co_u32_e32 v2, vcc, -1, v2, vcc
	v_add_u32_e32 v8, s43, v8
	s_cmp_lt_i32 s4, 1
	s_mov_b32 s4, s2
	s_waitcnt lgkmcnt(0)
	s_barrier
	s_cbranch_scc1 .LBB112_31
.LBB112_8:                              ; =>This Loop Header: Depth=1
                                        ;     Child Loop BB112_13 Depth 2
                                        ;       Child Loop BB112_15 Depth 3
                                        ;     Child Loop BB112_22 Depth 2
                                        ;       Child Loop BB112_24 Depth 3
	;; [unrolled: 2-line block ×3, first 2 shown]
	s_not_b32 s2, s4
	s_add_i32 s44, s18, s2
	s_lshl_b32 s2, s4, 3
	s_add_i32 s45, s34, s2
	s_mul_i32 s2, s4, s18
	s_lshl_b32 s2, s2, 3
	s_add_i32 s26, s4, s35
	s_add_i32 s45, s45, s2
	s_mov_b64 s[14:15], -1
	s_and_b64 vcc, exec, s[10:11]
	v_cmp_gt_i32_e64 s[2:3], s44, v0
	s_cbranch_vccz .LBB112_17
; %bb.9:                                ;   in Loop: Header=BB112_8 Depth=1
	s_and_saveexec_b64 s[14:15], s[2:3]
	s_cbranch_execz .LBB112_16
; %bb.10:                               ;   in Loop: Header=BB112_8 Depth=1
	s_cmp_gt_i32 s26, 0
	s_cselect_b64 s[2:3], -1, 0
	s_lshl_b64 s[16:17], s[4:5], 3
	s_add_u32 s20, s22, s16
	s_addc_u32 s21, s31, s17
	s_load_dwordx2 s[16:17], s[20:21], 0x0
	v_cndmask_b32_e64 v3, 0, 1, s[2:3]
	v_cmp_ne_u32_e64 s[2:3], 1, v3
	v_mov_b32_e32 v4, v2
	s_mov_b64 s[20:21], 0
	v_mov_b32_e32 v3, v1
	v_mov_b32_e32 v5, v0
	s_branch .LBB112_13
.LBB112_11:                             ;   in Loop: Header=BB112_13 Depth=2
	v_mov_b32_e32 v10, 0
.LBB112_12:                             ;   in Loop: Header=BB112_13 Depth=2
	v_lshlrev_b32_e32 v13, 3, v5
	v_add_u32_e32 v11, s45, v13
	ds_read_b64 v[11:12], v11 offset:8
	v_add_u32_e32 v5, s19, v5
	s_waitcnt lgkmcnt(0)
	v_mul_f32_e32 v14, s17, v9
	v_mul_f32_e32 v15, s17, v10
	v_cmp_le_i32_e32 vcc, s44, v5
	v_fma_f32 v10, v10, s16, -v14
	v_fmac_f32_e32 v15, s16, v9
	s_or_b64 s[20:21], vcc, s[20:21]
	v_add_co_u32_e32 v3, vcc, s37, v3
	v_add_f32_e32 v9, v11, v10
	v_add_f32_e32 v10, v12, v15
	v_add_u32_e32 v11, 0, v13
	v_addc_co_u32_e32 v4, vcc, 0, v4, vcc
	ds_write_b64 v11, v[9:10]
	s_andn2_b64 exec, exec, s[20:21]
	s_cbranch_execz .LBB112_16
.LBB112_13:                             ;   Parent Loop BB112_8 Depth=1
                                        ; =>  This Loop Header: Depth=2
                                        ;       Child Loop BB112_15 Depth 3
	v_mov_b32_e32 v9, 0
	s_and_b64 vcc, exec, s[2:3]
	s_cbranch_vccnz .LBB112_11
; %bb.14:                               ;   in Loop: Header=BB112_13 Depth=2
	s_mov_b32 s9, 0
	s_mov_b64 s[24:25], 0
	v_mov_b32_e32 v10, 0
.LBB112_15:                             ;   Parent Loop BB112_8 Depth=1
                                        ;     Parent Loop BB112_13 Depth=2
                                        ; =>    This Inner Loop Header: Depth=3
	v_mov_b32_e32 v12, s25
	v_add_co_u32_e32 v11, vcc, s24, v3
	v_addc_co_u32_e32 v12, vcc, v4, v12, vcc
	global_load_dwordx2 v[11:12], v[11:12], off
	s_add_u32 s13, s38, s24
	s_addc_u32 s27, s39, s25
	s_add_u32 s46, s13, -4
	s_addc_u32 s47, s27, -1
	s_load_dwordx2 s[48:49], s[46:47], 0x0
	s_add_i32 s9, s9, 1
	s_add_u32 s24, s24, s6
	s_addc_u32 s25, s25, s7
	s_cmp_eq_u32 s36, s9
	s_waitcnt vmcnt(0) lgkmcnt(0)
	v_mul_f32_e32 v13, s49, v12
	v_mul_f32_e32 v14, s49, v11
	v_fmac_f32_e32 v13, s48, v11
	v_fma_f32 v11, s48, v12, -v14
	v_add_f32_e32 v10, v10, v13
	v_add_f32_e32 v9, v9, v11
	s_cbranch_scc0 .LBB112_15
	s_branch .LBB112_12
.LBB112_16:                             ;   in Loop: Header=BB112_8 Depth=1
	s_or_b64 exec, exec, s[14:15]
	s_mov_b64 s[14:15], 0
.LBB112_17:                             ;   in Loop: Header=BB112_8 Depth=1
	s_andn2_b64 vcc, exec, s[14:15]
	s_cbranch_vccnz .LBB112_26
; %bb.18:                               ;   in Loop: Header=BB112_8 Depth=1
	v_cmp_gt_i32_e32 vcc, s44, v0
	s_and_saveexec_b64 s[2:3], vcc
	s_cbranch_execz .LBB112_25
; %bb.19:                               ;   in Loop: Header=BB112_8 Depth=1
	s_ashr_i32 s9, s8, 31
	s_lshl_b64 s[14:15], s[8:9], 3
	s_add_u32 s14, s40, s14
	s_addc_u32 s15, s41, s15
	s_ashr_i32 s13, s12, 31
	s_lshl_b64 s[24:25], s[12:13], 3
	s_cmp_gt_i32 s26, 0
	s_cselect_b64 s[16:17], -1, 0
	s_lshl_b64 s[20:21], s[4:5], 3
	s_add_u32 s26, s22, s20
	s_addc_u32 s27, s31, s21
	s_load_dwordx2 s[20:21], s[26:27], 0x0
	s_add_u32 s9, s40, s24
	s_addc_u32 s13, s41, s25
	s_mov_b64 s[24:25], 0
	v_mov_b32_e32 v3, v7
	v_mov_b32_e32 v9, v0
	s_branch .LBB112_22
.LBB112_20:                             ;   in Loop: Header=BB112_22 Depth=2
	v_mov_b32_e32 v10, 0
	v_mov_b32_e32 v11, 0
.LBB112_21:                             ;   in Loop: Header=BB112_22 Depth=2
	v_lshlrev_b32_e32 v12, 3, v9
	v_add_u32_e32 v4, s45, v12
	ds_read_b64 v[4:5], v4 offset:8
	s_waitcnt lgkmcnt(0)
	v_mul_f32_e32 v13, s21, v10
	v_mul_f32_e32 v14, s21, v11
	v_add_u32_e32 v9, s19, v9
	v_fma_f32 v11, v11, s20, -v13
	v_fmac_f32_e32 v14, s20, v10
	v_cmp_le_i32_e32 vcc, s44, v9
	v_add_f32_e32 v4, v4, v11
	v_add_f32_e32 v5, v5, v14
	v_add_u32_e32 v10, 0, v12
	s_or_b64 s[24:25], vcc, s[24:25]
	v_add_u32_e32 v3, s42, v3
	ds_write_b64 v10, v[4:5]
	s_andn2_b64 exec, exec, s[24:25]
	s_cbranch_execz .LBB112_25
.LBB112_22:                             ;   Parent Loop BB112_8 Depth=1
                                        ; =>  This Loop Header: Depth=2
                                        ;       Child Loop BB112_24 Depth 3
	s_andn2_b64 vcc, exec, s[16:17]
	s_cbranch_vccnz .LBB112_20
; %bb.23:                               ;   in Loop: Header=BB112_22 Depth=2
	v_ashrrev_i32_e32 v4, 31, v3
	v_lshlrev_b64 v[4:5], 3, v[3:4]
	v_mov_b32_e32 v10, s13
	v_add_co_u32_e32 v4, vcc, s9, v4
	v_addc_co_u32_e32 v5, vcc, v10, v5, vcc
	v_mov_b32_e32 v10, 0
	s_mov_b32 s46, 0
	s_mov_b64 s[26:27], s[14:15]
	v_mov_b32_e32 v11, 0
.LBB112_24:                             ;   Parent Loop BB112_8 Depth=1
                                        ;     Parent Loop BB112_22 Depth=2
                                        ; =>    This Inner Loop Header: Depth=3
	global_load_dwordx2 v[12:13], v[4:5], off offset:-4
	s_add_u32 s48, s26, -4
	s_addc_u32 s49, s27, -1
	s_load_dwordx2 s[50:51], s[48:49], 0x0
	s_add_i32 s46, s46, 1
	s_add_u32 s26, s26, 8
	v_add_co_u32_e32 v4, vcc, 8, v4
	s_addc_u32 s27, s27, 0
	v_addc_co_u32_e32 v5, vcc, 0, v5, vcc
	s_cmp_eq_u32 s36, s46
	s_waitcnt vmcnt(0) lgkmcnt(0)
	v_mul_f32_e32 v14, s51, v13
	v_mul_f32_e32 v13, s50, v13
	v_fmac_f32_e32 v14, s50, v12
	v_fma_f32 v12, v12, s51, -v13
	v_add_f32_e32 v11, v11, v14
	v_add_f32_e32 v10, v10, v12
	s_cbranch_scc0 .LBB112_24
	s_branch .LBB112_21
.LBB112_25:                             ;   in Loop: Header=BB112_8 Depth=1
	s_or_b64 exec, exec, s[2:3]
.LBB112_26:                             ;   in Loop: Header=BB112_8 Depth=1
	v_cmp_gt_i32_e32 vcc, s44, v0
	s_waitcnt lgkmcnt(0)
	s_barrier
	s_and_saveexec_b64 s[2:3], vcc
	s_cbranch_execz .LBB112_7
; %bb.27:                               ;   in Loop: Header=BB112_8 Depth=1
	s_mov_b64 s[14:15], 0
	v_mov_b32_e32 v5, v8
	v_mov_b32_e32 v9, v0
.LBB112_28:                             ;   Parent Loop BB112_8 Depth=1
                                        ; =>  This Loop Header: Depth=2
                                        ;       Child Loop BB112_29 Depth 3
	v_mov_b32_e32 v3, 0
	s_mov_b32 s9, -1
	s_mov_b32 s13, 0
	s_mov_b64 s[16:17], 0
	v_mov_b32_e32 v10, v5
	v_mov_b32_e32 v4, 0
.LBB112_29:                             ;   Parent Loop BB112_8 Depth=1
                                        ;     Parent Loop BB112_28 Depth=2
                                        ; =>    This Inner Loop Header: Depth=3
	v_mov_b32_e32 v13, s13
	ds_read_b64 v[11:12], v10
	ds_read_b64 v[13:14], v13
	s_add_i32 s9, s9, 1
	s_add_i32 s13, s13, 8
	v_cmp_eq_u32_e32 vcc, s9, v9
	v_add_u32_e32 v10, s33, v10
	s_waitcnt lgkmcnt(0)
	v_mul_f32_e32 v15, v14, v12
	v_mul_f32_e32 v12, v13, v12
	v_fma_f32 v13, v13, v11, -v15
	v_fmac_f32_e32 v12, v14, v11
	s_or_b64 s[16:17], vcc, s[16:17]
	v_add_f32_e32 v3, v3, v13
	v_add_f32_e32 v4, v4, v12
	s_andn2_b64 exec, exec, s[16:17]
	s_cbranch_execnz .LBB112_29
; %bb.30:                               ;   in Loop: Header=BB112_28 Depth=2
	s_or_b64 exec, exec, s[16:17]
	v_lshl_add_u32 v10, v9, 3, s45
	v_add_u32_e32 v9, s19, v9
	v_cmp_le_i32_e32 vcc, s44, v9
	s_or_b64 s[14:15], vcc, s[14:15]
	v_add_u32_e32 v5, s37, v5
	ds_write_b64 v10, v[3:4] offset:8
	s_andn2_b64 exec, exec, s[14:15]
	s_cbranch_execnz .LBB112_28
	s_branch .LBB112_7
.LBB112_31:
	s_and_saveexec_b64 s[2:3], s[0:1]
	s_cbranch_execz .LBB112_36
; %bb.32:
	s_lshl_b32 s4, s18, 3
	s_add_i32 s0, s4, 0
	v_lshl_add_u32 v3, v0, 3, s0
	s_lshl_b32 s5, s19, 3
	s_mov_b64 s[0:1], 0
	v_mov_b32_e32 v4, s30
.LBB112_33:                             ; =>This Loop Header: Depth=1
                                        ;     Child Loop BB112_34 Depth 2
	s_mov_b64 s[2:3], 0
	v_mov_b32_e32 v5, v3
	v_mov_b32_e32 v1, v0
	s_mov_b32 s6, 0
.LBB112_34:                             ;   Parent Loop BB112_33 Depth=1
                                        ; =>  This Inner Loop Header: Depth=2
	v_ashrrev_i32_e32 v2, 31, v1
	ds_read_b64 v[7:8], v5
	s_add_i32 s6, s6, 1
	v_lshlrev_b64 v[9:10], 3, v[1:2]
	v_cmp_eq_u32_e32 vcc, s6, v6
	s_or_b64 s[2:3], vcc, s[2:3]
	v_add_co_u32_e32 v9, vcc, s29, v9
	v_add_u32_e32 v5, s4, v5
	v_add_u32_e32 v1, s28, v1
	v_addc_co_u32_e32 v10, vcc, v4, v10, vcc
	s_waitcnt lgkmcnt(0)
	global_store_dwordx2 v[9:10], v[7:8], off
	s_andn2_b64 exec, exec, s[2:3]
	s_cbranch_execnz .LBB112_34
; %bb.35:                               ;   in Loop: Header=BB112_33 Depth=1
	s_or_b64 exec, exec, s[2:3]
	v_add_u32_e32 v0, s19, v0
	v_cmp_le_i32_e32 vcc, s18, v0
	v_add_u32_e32 v6, s19, v6
	s_or_b64 s[0:1], vcc, s[0:1]
	v_add_u32_e32 v3, s5, v3
	s_andn2_b64 exec, exec, s[0:1]
	s_cbranch_execnz .LBB112_33
.LBB112_36:
	s_endpgm
	.section	.rodata,"a",@progbits
	.p2align	6, 0x0
	.amdhsa_kernel _ZN9rocsolver6v33100L21larft_kernel_backwardI19rocblas_complex_numIfEPS3_EEv15rocblas_storev_iiT0_iilPT_lS8_il
		.amdhsa_group_segment_fixed_size 0
		.amdhsa_private_segment_fixed_size 0
		.amdhsa_kernarg_size 336
		.amdhsa_user_sgpr_count 6
		.amdhsa_user_sgpr_private_segment_buffer 1
		.amdhsa_user_sgpr_dispatch_ptr 0
		.amdhsa_user_sgpr_queue_ptr 0
		.amdhsa_user_sgpr_kernarg_segment_ptr 1
		.amdhsa_user_sgpr_dispatch_id 0
		.amdhsa_user_sgpr_flat_scratch_init 0
		.amdhsa_user_sgpr_private_segment_size 0
		.amdhsa_uses_dynamic_stack 0
		.amdhsa_system_sgpr_private_segment_wavefront_offset 0
		.amdhsa_system_sgpr_workgroup_id_x 1
		.amdhsa_system_sgpr_workgroup_id_y 1
		.amdhsa_system_sgpr_workgroup_id_z 0
		.amdhsa_system_sgpr_workgroup_info 0
		.amdhsa_system_vgpr_workitem_id 0
		.amdhsa_next_free_vgpr 16
		.amdhsa_next_free_sgpr 52
		.amdhsa_reserve_vcc 1
		.amdhsa_reserve_flat_scratch 0
		.amdhsa_float_round_mode_32 0
		.amdhsa_float_round_mode_16_64 0
		.amdhsa_float_denorm_mode_32 3
		.amdhsa_float_denorm_mode_16_64 3
		.amdhsa_dx10_clamp 1
		.amdhsa_ieee_mode 1
		.amdhsa_fp16_overflow 0
		.amdhsa_exception_fp_ieee_invalid_op 0
		.amdhsa_exception_fp_denorm_src 0
		.amdhsa_exception_fp_ieee_div_zero 0
		.amdhsa_exception_fp_ieee_overflow 0
		.amdhsa_exception_fp_ieee_underflow 0
		.amdhsa_exception_fp_ieee_inexact 0
		.amdhsa_exception_int_div_zero 0
	.end_amdhsa_kernel
	.section	.text._ZN9rocsolver6v33100L21larft_kernel_backwardI19rocblas_complex_numIfEPS3_EEv15rocblas_storev_iiT0_iilPT_lS8_il,"axG",@progbits,_ZN9rocsolver6v33100L21larft_kernel_backwardI19rocblas_complex_numIfEPS3_EEv15rocblas_storev_iiT0_iilPT_lS8_il,comdat
.Lfunc_end112:
	.size	_ZN9rocsolver6v33100L21larft_kernel_backwardI19rocblas_complex_numIfEPS3_EEv15rocblas_storev_iiT0_iilPT_lS8_il, .Lfunc_end112-_ZN9rocsolver6v33100L21larft_kernel_backwardI19rocblas_complex_numIfEPS3_EEv15rocblas_storev_iiT0_iilPT_lS8_il
                                        ; -- End function
	.set _ZN9rocsolver6v33100L21larft_kernel_backwardI19rocblas_complex_numIfEPS3_EEv15rocblas_storev_iiT0_iilPT_lS8_il.num_vgpr, 16
	.set _ZN9rocsolver6v33100L21larft_kernel_backwardI19rocblas_complex_numIfEPS3_EEv15rocblas_storev_iiT0_iilPT_lS8_il.num_agpr, 0
	.set _ZN9rocsolver6v33100L21larft_kernel_backwardI19rocblas_complex_numIfEPS3_EEv15rocblas_storev_iiT0_iilPT_lS8_il.numbered_sgpr, 52
	.set _ZN9rocsolver6v33100L21larft_kernel_backwardI19rocblas_complex_numIfEPS3_EEv15rocblas_storev_iiT0_iilPT_lS8_il.num_named_barrier, 0
	.set _ZN9rocsolver6v33100L21larft_kernel_backwardI19rocblas_complex_numIfEPS3_EEv15rocblas_storev_iiT0_iilPT_lS8_il.private_seg_size, 0
	.set _ZN9rocsolver6v33100L21larft_kernel_backwardI19rocblas_complex_numIfEPS3_EEv15rocblas_storev_iiT0_iilPT_lS8_il.uses_vcc, 1
	.set _ZN9rocsolver6v33100L21larft_kernel_backwardI19rocblas_complex_numIfEPS3_EEv15rocblas_storev_iiT0_iilPT_lS8_il.uses_flat_scratch, 0
	.set _ZN9rocsolver6v33100L21larft_kernel_backwardI19rocblas_complex_numIfEPS3_EEv15rocblas_storev_iiT0_iilPT_lS8_il.has_dyn_sized_stack, 0
	.set _ZN9rocsolver6v33100L21larft_kernel_backwardI19rocblas_complex_numIfEPS3_EEv15rocblas_storev_iiT0_iilPT_lS8_il.has_recursion, 0
	.set _ZN9rocsolver6v33100L21larft_kernel_backwardI19rocblas_complex_numIfEPS3_EEv15rocblas_storev_iiT0_iilPT_lS8_il.has_indirect_call, 0
	.section	.AMDGPU.csdata,"",@progbits
; Kernel info:
; codeLenInByte = 1640
; TotalNumSgprs: 56
; NumVgprs: 16
; ScratchSize: 0
; MemoryBound: 0
; FloatMode: 240
; IeeeMode: 1
; LDSByteSize: 0 bytes/workgroup (compile time only)
; SGPRBlocks: 6
; VGPRBlocks: 3
; NumSGPRsForWavesPerEU: 56
; NumVGPRsForWavesPerEU: 16
; Occupancy: 10
; WaveLimiterHint : 0
; COMPUTE_PGM_RSRC2:SCRATCH_EN: 0
; COMPUTE_PGM_RSRC2:USER_SGPR: 6
; COMPUTE_PGM_RSRC2:TRAP_HANDLER: 0
; COMPUTE_PGM_RSRC2:TGID_X_EN: 1
; COMPUTE_PGM_RSRC2:TGID_Y_EN: 1
; COMPUTE_PGM_RSRC2:TGID_Z_EN: 0
; COMPUTE_PGM_RSRC2:TIDIG_COMP_CNT: 0
	.section	.text._ZN9rocsolver6v33100L9copymatA1I19rocblas_complex_numIfEPS3_EEviiT0_iilPT_,"axG",@progbits,_ZN9rocsolver6v33100L9copymatA1I19rocblas_complex_numIfEPS3_EEviiT0_iilPT_,comdat
	.globl	_ZN9rocsolver6v33100L9copymatA1I19rocblas_complex_numIfEPS3_EEviiT0_iilPT_ ; -- Begin function _ZN9rocsolver6v33100L9copymatA1I19rocblas_complex_numIfEPS3_EEviiT0_iilPT_
	.p2align	8
	.type	_ZN9rocsolver6v33100L9copymatA1I19rocblas_complex_numIfEPS3_EEviiT0_iilPT_,@function
_ZN9rocsolver6v33100L9copymatA1I19rocblas_complex_numIfEPS3_EEviiT0_iilPT_: ; @_ZN9rocsolver6v33100L9copymatA1I19rocblas_complex_numIfEPS3_EEviiT0_iilPT_
; %bb.0:
	s_load_dword s0, s[4:5], 0x34
	s_load_dwordx2 s[2:3], s[4:5], 0x0
	s_waitcnt lgkmcnt(0)
	s_lshr_b32 s1, s0, 16
	s_and_b32 s0, s0, 0xffff
	s_mul_i32 s6, s6, s0
	s_mul_i32 s7, s7, s1
	v_add_u32_e32 v2, s6, v0
	v_add_u32_e32 v0, s7, v1
	v_cmp_gt_u32_e32 vcc, s2, v0
	v_cmp_gt_u32_e64 s[0:1], s3, v2
	s_and_b64 s[0:1], s[0:1], vcc
	s_and_saveexec_b64 s[6:7], s[0:1]
	s_cbranch_execz .LBB113_2
; %bb.1:
	s_ashr_i32 s0, s2, 31
	s_load_dwordx8 s[12:19], s[4:5], 0x8
	s_mul_hi_u32 s4, s2, s8
	s_mul_i32 s0, s0, s8
	s_ashr_i32 s1, s3, 31
	s_add_i32 s0, s4, s0
	s_mul_i32 s4, s2, s8
	s_mul_i32 s1, s4, s1
	s_mul_hi_u32 s5, s4, s3
	s_add_i32 s1, s5, s1
	s_mul_i32 s0, s0, s3
	s_add_i32 s1, s1, s0
	s_mul_i32 s0, s4, s3
	s_lshl_b64 s[0:1], s[0:1], 3
	s_waitcnt lgkmcnt(0)
	s_add_u32 s3, s18, s0
	s_mul_i32 s4, s17, s8
	s_mul_hi_u32 s5, s16, s8
	s_addc_u32 s6, s19, s1
	s_add_i32 s5, s5, s4
	s_mul_i32 s4, s16, s8
	s_ashr_i32 s1, s14, 31
	s_lshl_b64 s[4:5], s[4:5], 3
	s_add_u32 s7, s12, s4
	s_addc_u32 s8, s13, s5
	v_mad_u64_u32 v[3:4], s[4:5], v2, s15, v[0:1]
	s_mov_b32 s0, s14
	s_lshl_b64 s[0:1], s[0:1], 3
	v_mov_b32_e32 v4, 0
	s_add_u32 s0, s7, s0
	v_lshlrev_b64 v[5:6], 3, v[3:4]
	s_addc_u32 s1, s8, s1
	v_mov_b32_e32 v1, s1
	v_add_co_u32_e32 v5, vcc, s0, v5
	v_addc_co_u32_e32 v6, vcc, v1, v6, vcc
	global_load_dwordx2 v[5:6], v[5:6], off
	v_mad_u64_u32 v[0:1], s[0:1], v2, s2, v[0:1]
	v_mov_b32_e32 v1, v4
	v_mov_b32_e32 v2, s6
	v_lshlrev_b64 v[0:1], 3, v[0:1]
	v_add_co_u32_e32 v0, vcc, s3, v0
	v_addc_co_u32_e32 v1, vcc, v2, v1, vcc
	s_waitcnt vmcnt(0)
	global_store_dwordx2 v[0:1], v[5:6], off
.LBB113_2:
	s_endpgm
	.section	.rodata,"a",@progbits
	.p2align	6, 0x0
	.amdhsa_kernel _ZN9rocsolver6v33100L9copymatA1I19rocblas_complex_numIfEPS3_EEviiT0_iilPT_
		.amdhsa_group_segment_fixed_size 0
		.amdhsa_private_segment_fixed_size 0
		.amdhsa_kernarg_size 296
		.amdhsa_user_sgpr_count 6
		.amdhsa_user_sgpr_private_segment_buffer 1
		.amdhsa_user_sgpr_dispatch_ptr 0
		.amdhsa_user_sgpr_queue_ptr 0
		.amdhsa_user_sgpr_kernarg_segment_ptr 1
		.amdhsa_user_sgpr_dispatch_id 0
		.amdhsa_user_sgpr_flat_scratch_init 0
		.amdhsa_user_sgpr_private_segment_size 0
		.amdhsa_uses_dynamic_stack 0
		.amdhsa_system_sgpr_private_segment_wavefront_offset 0
		.amdhsa_system_sgpr_workgroup_id_x 1
		.amdhsa_system_sgpr_workgroup_id_y 1
		.amdhsa_system_sgpr_workgroup_id_z 1
		.amdhsa_system_sgpr_workgroup_info 0
		.amdhsa_system_vgpr_workitem_id 1
		.amdhsa_next_free_vgpr 7
		.amdhsa_next_free_sgpr 20
		.amdhsa_reserve_vcc 1
		.amdhsa_reserve_flat_scratch 0
		.amdhsa_float_round_mode_32 0
		.amdhsa_float_round_mode_16_64 0
		.amdhsa_float_denorm_mode_32 3
		.amdhsa_float_denorm_mode_16_64 3
		.amdhsa_dx10_clamp 1
		.amdhsa_ieee_mode 1
		.amdhsa_fp16_overflow 0
		.amdhsa_exception_fp_ieee_invalid_op 0
		.amdhsa_exception_fp_denorm_src 0
		.amdhsa_exception_fp_ieee_div_zero 0
		.amdhsa_exception_fp_ieee_overflow 0
		.amdhsa_exception_fp_ieee_underflow 0
		.amdhsa_exception_fp_ieee_inexact 0
		.amdhsa_exception_int_div_zero 0
	.end_amdhsa_kernel
	.section	.text._ZN9rocsolver6v33100L9copymatA1I19rocblas_complex_numIfEPS3_EEviiT0_iilPT_,"axG",@progbits,_ZN9rocsolver6v33100L9copymatA1I19rocblas_complex_numIfEPS3_EEviiT0_iilPT_,comdat
.Lfunc_end113:
	.size	_ZN9rocsolver6v33100L9copymatA1I19rocblas_complex_numIfEPS3_EEviiT0_iilPT_, .Lfunc_end113-_ZN9rocsolver6v33100L9copymatA1I19rocblas_complex_numIfEPS3_EEviiT0_iilPT_
                                        ; -- End function
	.set _ZN9rocsolver6v33100L9copymatA1I19rocblas_complex_numIfEPS3_EEviiT0_iilPT_.num_vgpr, 7
	.set _ZN9rocsolver6v33100L9copymatA1I19rocblas_complex_numIfEPS3_EEviiT0_iilPT_.num_agpr, 0
	.set _ZN9rocsolver6v33100L9copymatA1I19rocblas_complex_numIfEPS3_EEviiT0_iilPT_.numbered_sgpr, 20
	.set _ZN9rocsolver6v33100L9copymatA1I19rocblas_complex_numIfEPS3_EEviiT0_iilPT_.num_named_barrier, 0
	.set _ZN9rocsolver6v33100L9copymatA1I19rocblas_complex_numIfEPS3_EEviiT0_iilPT_.private_seg_size, 0
	.set _ZN9rocsolver6v33100L9copymatA1I19rocblas_complex_numIfEPS3_EEviiT0_iilPT_.uses_vcc, 1
	.set _ZN9rocsolver6v33100L9copymatA1I19rocblas_complex_numIfEPS3_EEviiT0_iilPT_.uses_flat_scratch, 0
	.set _ZN9rocsolver6v33100L9copymatA1I19rocblas_complex_numIfEPS3_EEviiT0_iilPT_.has_dyn_sized_stack, 0
	.set _ZN9rocsolver6v33100L9copymatA1I19rocblas_complex_numIfEPS3_EEviiT0_iilPT_.has_recursion, 0
	.set _ZN9rocsolver6v33100L9copymatA1I19rocblas_complex_numIfEPS3_EEviiT0_iilPT_.has_indirect_call, 0
	.section	.AMDGPU.csdata,"",@progbits
; Kernel info:
; codeLenInByte = 280
; TotalNumSgprs: 24
; NumVgprs: 7
; ScratchSize: 0
; MemoryBound: 0
; FloatMode: 240
; IeeeMode: 1
; LDSByteSize: 0 bytes/workgroup (compile time only)
; SGPRBlocks: 2
; VGPRBlocks: 1
; NumSGPRsForWavesPerEU: 24
; NumVGPRsForWavesPerEU: 7
; Occupancy: 10
; WaveLimiterHint : 0
; COMPUTE_PGM_RSRC2:SCRATCH_EN: 0
; COMPUTE_PGM_RSRC2:USER_SGPR: 6
; COMPUTE_PGM_RSRC2:TRAP_HANDLER: 0
; COMPUTE_PGM_RSRC2:TGID_X_EN: 1
; COMPUTE_PGM_RSRC2:TGID_Y_EN: 1
; COMPUTE_PGM_RSRC2:TGID_Z_EN: 1
; COMPUTE_PGM_RSRC2:TIDIG_COMP_CNT: 1
	.section	.text._ZN9rocsolver6v33100L8addmatA1I19rocblas_complex_numIfEPS3_EEviiT0_iilPT_,"axG",@progbits,_ZN9rocsolver6v33100L8addmatA1I19rocblas_complex_numIfEPS3_EEviiT0_iilPT_,comdat
	.globl	_ZN9rocsolver6v33100L8addmatA1I19rocblas_complex_numIfEPS3_EEviiT0_iilPT_ ; -- Begin function _ZN9rocsolver6v33100L8addmatA1I19rocblas_complex_numIfEPS3_EEviiT0_iilPT_
	.p2align	8
	.type	_ZN9rocsolver6v33100L8addmatA1I19rocblas_complex_numIfEPS3_EEviiT0_iilPT_,@function
_ZN9rocsolver6v33100L8addmatA1I19rocblas_complex_numIfEPS3_EEviiT0_iilPT_: ; @_ZN9rocsolver6v33100L8addmatA1I19rocblas_complex_numIfEPS3_EEviiT0_iilPT_
; %bb.0:
	s_load_dword s0, s[4:5], 0x34
	s_load_dwordx2 s[2:3], s[4:5], 0x0
	s_waitcnt lgkmcnt(0)
	s_lshr_b32 s1, s0, 16
	s_and_b32 s0, s0, 0xffff
	s_mul_i32 s6, s6, s0
	s_mul_i32 s7, s7, s1
	v_add_u32_e32 v2, s6, v0
	v_add_u32_e32 v0, s7, v1
	v_cmp_gt_u32_e32 vcc, s2, v0
	v_cmp_gt_u32_e64 s[0:1], s3, v2
	s_and_b64 s[0:1], s[0:1], vcc
	s_and_saveexec_b64 s[6:7], s[0:1]
	s_cbranch_execz .LBB114_2
; %bb.1:
	s_ashr_i32 s0, s2, 31
	s_load_dwordx8 s[12:19], s[4:5], 0x8
	s_mul_hi_u32 s4, s2, s8
	s_mul_i32 s0, s0, s8
	s_ashr_i32 s1, s3, 31
	s_add_i32 s0, s4, s0
	s_mul_i32 s4, s2, s8
	s_mul_i32 s1, s4, s1
	s_mul_hi_u32 s5, s4, s3
	s_add_i32 s1, s5, s1
	s_mul_i32 s0, s0, s3
	s_add_i32 s1, s1, s0
	s_mul_i32 s0, s4, s3
	s_lshl_b64 s[0:1], s[0:1], 3
	s_waitcnt lgkmcnt(0)
	s_add_u32 s6, s18, s0
	s_mul_i32 s3, s17, s8
	s_mul_hi_u32 s4, s16, s8
	s_addc_u32 s7, s19, s1
	s_add_i32 s5, s4, s3
	s_mul_i32 s4, s16, s8
	s_ashr_i32 s1, s14, 31
	s_lshl_b64 s[4:5], s[4:5], 3
	s_mov_b32 s0, s14
	s_add_u32 s4, s12, s4
	s_addc_u32 s5, s13, s5
	s_lshl_b64 s[0:1], s[0:1], 3
	v_mad_u64_u32 v[3:4], s[2:3], v2, s2, v[0:1]
	s_add_u32 s2, s4, s0
	s_addc_u32 s3, s5, s1
	v_mad_u64_u32 v[0:1], s[0:1], v2, s15, v[0:1]
	v_mov_b32_e32 v4, 0
	v_lshlrev_b64 v[5:6], 3, v[3:4]
	v_mov_b32_e32 v1, v4
	v_mov_b32_e32 v3, s7
	v_add_co_u32_e32 v2, vcc, s6, v5
	v_lshlrev_b64 v[0:1], 3, v[0:1]
	v_addc_co_u32_e32 v3, vcc, v3, v6, vcc
	v_mov_b32_e32 v4, s3
	v_add_co_u32_e32 v0, vcc, s2, v0
	v_addc_co_u32_e32 v1, vcc, v4, v1, vcc
	global_load_dwordx2 v[4:5], v[2:3], off
	global_load_dwordx2 v[6:7], v[0:1], off
	s_waitcnt vmcnt(0)
	v_sub_f32_e32 v2, v6, v4
	v_sub_f32_e32 v3, v7, v5
	global_store_dwordx2 v[0:1], v[2:3], off
.LBB114_2:
	s_endpgm
	.section	.rodata,"a",@progbits
	.p2align	6, 0x0
	.amdhsa_kernel _ZN9rocsolver6v33100L8addmatA1I19rocblas_complex_numIfEPS3_EEviiT0_iilPT_
		.amdhsa_group_segment_fixed_size 0
		.amdhsa_private_segment_fixed_size 0
		.amdhsa_kernarg_size 296
		.amdhsa_user_sgpr_count 6
		.amdhsa_user_sgpr_private_segment_buffer 1
		.amdhsa_user_sgpr_dispatch_ptr 0
		.amdhsa_user_sgpr_queue_ptr 0
		.amdhsa_user_sgpr_kernarg_segment_ptr 1
		.amdhsa_user_sgpr_dispatch_id 0
		.amdhsa_user_sgpr_flat_scratch_init 0
		.amdhsa_user_sgpr_private_segment_size 0
		.amdhsa_uses_dynamic_stack 0
		.amdhsa_system_sgpr_private_segment_wavefront_offset 0
		.amdhsa_system_sgpr_workgroup_id_x 1
		.amdhsa_system_sgpr_workgroup_id_y 1
		.amdhsa_system_sgpr_workgroup_id_z 1
		.amdhsa_system_sgpr_workgroup_info 0
		.amdhsa_system_vgpr_workitem_id 1
		.amdhsa_next_free_vgpr 8
		.amdhsa_next_free_sgpr 20
		.amdhsa_reserve_vcc 1
		.amdhsa_reserve_flat_scratch 0
		.amdhsa_float_round_mode_32 0
		.amdhsa_float_round_mode_16_64 0
		.amdhsa_float_denorm_mode_32 3
		.amdhsa_float_denorm_mode_16_64 3
		.amdhsa_dx10_clamp 1
		.amdhsa_ieee_mode 1
		.amdhsa_fp16_overflow 0
		.amdhsa_exception_fp_ieee_invalid_op 0
		.amdhsa_exception_fp_denorm_src 0
		.amdhsa_exception_fp_ieee_div_zero 0
		.amdhsa_exception_fp_ieee_overflow 0
		.amdhsa_exception_fp_ieee_underflow 0
		.amdhsa_exception_fp_ieee_inexact 0
		.amdhsa_exception_int_div_zero 0
	.end_amdhsa_kernel
	.section	.text._ZN9rocsolver6v33100L8addmatA1I19rocblas_complex_numIfEPS3_EEviiT0_iilPT_,"axG",@progbits,_ZN9rocsolver6v33100L8addmatA1I19rocblas_complex_numIfEPS3_EEviiT0_iilPT_,comdat
.Lfunc_end114:
	.size	_ZN9rocsolver6v33100L8addmatA1I19rocblas_complex_numIfEPS3_EEviiT0_iilPT_, .Lfunc_end114-_ZN9rocsolver6v33100L8addmatA1I19rocblas_complex_numIfEPS3_EEviiT0_iilPT_
                                        ; -- End function
	.set _ZN9rocsolver6v33100L8addmatA1I19rocblas_complex_numIfEPS3_EEviiT0_iilPT_.num_vgpr, 8
	.set _ZN9rocsolver6v33100L8addmatA1I19rocblas_complex_numIfEPS3_EEviiT0_iilPT_.num_agpr, 0
	.set _ZN9rocsolver6v33100L8addmatA1I19rocblas_complex_numIfEPS3_EEviiT0_iilPT_.numbered_sgpr, 20
	.set _ZN9rocsolver6v33100L8addmatA1I19rocblas_complex_numIfEPS3_EEviiT0_iilPT_.num_named_barrier, 0
	.set _ZN9rocsolver6v33100L8addmatA1I19rocblas_complex_numIfEPS3_EEviiT0_iilPT_.private_seg_size, 0
	.set _ZN9rocsolver6v33100L8addmatA1I19rocblas_complex_numIfEPS3_EEviiT0_iilPT_.uses_vcc, 1
	.set _ZN9rocsolver6v33100L8addmatA1I19rocblas_complex_numIfEPS3_EEviiT0_iilPT_.uses_flat_scratch, 0
	.set _ZN9rocsolver6v33100L8addmatA1I19rocblas_complex_numIfEPS3_EEviiT0_iilPT_.has_dyn_sized_stack, 0
	.set _ZN9rocsolver6v33100L8addmatA1I19rocblas_complex_numIfEPS3_EEviiT0_iilPT_.has_recursion, 0
	.set _ZN9rocsolver6v33100L8addmatA1I19rocblas_complex_numIfEPS3_EEviiT0_iilPT_.has_indirect_call, 0
	.section	.AMDGPU.csdata,"",@progbits
; Kernel info:
; codeLenInByte = 296
; TotalNumSgprs: 24
; NumVgprs: 8
; ScratchSize: 0
; MemoryBound: 0
; FloatMode: 240
; IeeeMode: 1
; LDSByteSize: 0 bytes/workgroup (compile time only)
; SGPRBlocks: 2
; VGPRBlocks: 1
; NumSGPRsForWavesPerEU: 24
; NumVGPRsForWavesPerEU: 8
; Occupancy: 10
; WaveLimiterHint : 0
; COMPUTE_PGM_RSRC2:SCRATCH_EN: 0
; COMPUTE_PGM_RSRC2:USER_SGPR: 6
; COMPUTE_PGM_RSRC2:TRAP_HANDLER: 0
; COMPUTE_PGM_RSRC2:TGID_X_EN: 1
; COMPUTE_PGM_RSRC2:TGID_Y_EN: 1
; COMPUTE_PGM_RSRC2:TGID_Z_EN: 1
; COMPUTE_PGM_RSRC2:TIDIG_COMP_CNT: 1
	.section	.text._ZN9rocsolver6v33100L15gesvdj_finalizeI19rocblas_complex_numIfEfEEviPT0_lPT_ilS7_il,"axG",@progbits,_ZN9rocsolver6v33100L15gesvdj_finalizeI19rocblas_complex_numIfEfEEviPT0_lPT_ilS7_il,comdat
	.globl	_ZN9rocsolver6v33100L15gesvdj_finalizeI19rocblas_complex_numIfEfEEviPT0_lPT_ilS7_il ; -- Begin function _ZN9rocsolver6v33100L15gesvdj_finalizeI19rocblas_complex_numIfEfEEviPT0_lPT_ilS7_il
	.p2align	8
	.type	_ZN9rocsolver6v33100L15gesvdj_finalizeI19rocblas_complex_numIfEfEEviPT0_lPT_ilS7_il,@function
_ZN9rocsolver6v33100L15gesvdj_finalizeI19rocblas_complex_numIfEfEEviPT0_lPT_ilS7_il: ; @_ZN9rocsolver6v33100L15gesvdj_finalizeI19rocblas_complex_numIfEfEEviPT0_lPT_ilS7_il
; %bb.0:
	s_load_dword s0, s[4:5], 0x54
	s_load_dword s8, s[4:5], 0x0
	s_mov_b32 s2, 0
	s_waitcnt lgkmcnt(0)
	s_and_b32 s0, s0, 0xffff
	s_mul_i32 s6, s6, s0
	v_add_u32_e32 v0, s6, v0
	v_max_i32_e32 v1, 0, v0
	v_cmp_gt_i32_e32 vcc, s8, v1
	s_and_saveexec_b64 s[0:1], vcc
	s_cbranch_execz .LBB115_7
; %bb.1:
	s_ashr_i32 s6, s7, 31
	s_load_dwordx4 s[12:15], s[4:5], 0x8
	s_load_dwordx2 s[0:1], s[4:5], 0x18
	s_load_dword s3, s[4:5], 0x20
	s_load_dwordx4 s[16:19], s[4:5], 0x28
	s_load_dword s9, s[4:5], 0x38
	s_load_dwordx2 s[20:21], s[4:5], 0x40
	s_waitcnt lgkmcnt(0)
	s_mul_hi_u32 s4, s14, s7
	s_mul_i32 s5, s14, s6
	s_add_i32 s4, s4, s5
	s_mul_i32 s5, s15, s7
	s_add_i32 s5, s4, s5
	s_mul_i32 s4, s14, s7
	s_lshl_b64 s[4:5], s[4:5], 2
	s_add_u32 s4, s12, s4
	s_mul_hi_u32 s10, s16, s7
	s_mul_i32 s11, s16, s6
	s_addc_u32 s5, s13, s5
	s_add_i32 s10, s10, s11
	s_mul_i32 s11, s17, s7
	s_add_i32 s11, s10, s11
	s_mul_i32 s10, s16, s7
	s_lshl_b64 s[10:11], s[10:11], 3
	s_add_u32 s10, s0, s10
	s_addc_u32 s11, s1, s11
	s_mul_hi_u32 s0, s20, s7
	s_mul_i32 s1, s20, s6
	s_add_i32 s0, s0, s1
	s_mul_i32 s1, s21, s7
	s_add_i32 s1, s0, s1
	s_mul_i32 s0, s20, s7
	s_lshl_b64 s[0:1], s[0:1], 3
	s_add_u32 s12, s18, s0
	s_addc_u32 s13, s19, s1
	s_add_i32 s14, s3, 1
	v_cmp_eq_u32_e64 s[0:1], 0, v0
	v_mov_b32_e32 v2, 0
	s_branch .LBB115_3
.LBB115_2:                              ;   in Loop: Header=BB115_3 Depth=1
	s_add_i32 s8, s8, -1
	s_add_i32 s2, s2, s14
	s_add_u32 s4, s4, 4
	s_addc_u32 s5, s5, 0
	s_cmp_lg_u32 s8, 0
	v_add_u32_e32 v0, s9, v0
	s_cbranch_scc0 .LBB115_7
.LBB115_3:                              ; =>This Inner Loop Header: Depth=1
	s_ashr_i32 s3, s2, 31
	s_lshl_b64 s[6:7], s[2:3], 3
	s_add_u32 s6, s10, s6
	s_addc_u32 s7, s11, s7
	global_load_dword v1, v2, s[6:7]
	s_and_saveexec_b64 s[6:7], s[0:1]
	s_cbranch_execz .LBB115_5
; %bb.4:                                ;   in Loop: Header=BB115_3 Depth=1
	s_waitcnt vmcnt(0)
	v_and_b32_e32 v3, 0x7fffffff, v1
	global_store_dword v2, v3, s[4:5]
.LBB115_5:                              ;   in Loop: Header=BB115_3 Depth=1
	s_or_b64 exec, exec, s[6:7]
	s_waitcnt vmcnt(0)
	v_cmp_ngt_f32_e32 vcc, 0, v1
	s_cbranch_vccnz .LBB115_2
; %bb.6:                                ;   in Loop: Header=BB115_3 Depth=1
	v_ashrrev_i32_e32 v1, 31, v0
	v_lshlrev_b64 v[3:4], 3, v[0:1]
	v_mov_b32_e32 v1, s13
	v_add_co_u32_e32 v3, vcc, s12, v3
	v_addc_co_u32_e32 v4, vcc, v1, v4, vcc
	global_load_dwordx2 v[5:6], v[3:4], off
	s_waitcnt vmcnt(0)
	v_xor_b32_e32 v5, 0x80000000, v5
	v_xor_b32_e32 v6, 0x80000000, v6
	global_store_dwordx2 v[3:4], v[5:6], off
	s_branch .LBB115_2
.LBB115_7:
	s_endpgm
	.section	.rodata,"a",@progbits
	.p2align	6, 0x0
	.amdhsa_kernel _ZN9rocsolver6v33100L15gesvdj_finalizeI19rocblas_complex_numIfEfEEviPT0_lPT_ilS7_il
		.amdhsa_group_segment_fixed_size 0
		.amdhsa_private_segment_fixed_size 0
		.amdhsa_kernarg_size 328
		.amdhsa_user_sgpr_count 6
		.amdhsa_user_sgpr_private_segment_buffer 1
		.amdhsa_user_sgpr_dispatch_ptr 0
		.amdhsa_user_sgpr_queue_ptr 0
		.amdhsa_user_sgpr_kernarg_segment_ptr 1
		.amdhsa_user_sgpr_dispatch_id 0
		.amdhsa_user_sgpr_flat_scratch_init 0
		.amdhsa_user_sgpr_private_segment_size 0
		.amdhsa_uses_dynamic_stack 0
		.amdhsa_system_sgpr_private_segment_wavefront_offset 0
		.amdhsa_system_sgpr_workgroup_id_x 1
		.amdhsa_system_sgpr_workgroup_id_y 1
		.amdhsa_system_sgpr_workgroup_id_z 0
		.amdhsa_system_sgpr_workgroup_info 0
		.amdhsa_system_vgpr_workitem_id 0
		.amdhsa_next_free_vgpr 7
		.amdhsa_next_free_sgpr 22
		.amdhsa_reserve_vcc 1
		.amdhsa_reserve_flat_scratch 0
		.amdhsa_float_round_mode_32 0
		.amdhsa_float_round_mode_16_64 0
		.amdhsa_float_denorm_mode_32 3
		.amdhsa_float_denorm_mode_16_64 3
		.amdhsa_dx10_clamp 1
		.amdhsa_ieee_mode 1
		.amdhsa_fp16_overflow 0
		.amdhsa_exception_fp_ieee_invalid_op 0
		.amdhsa_exception_fp_denorm_src 0
		.amdhsa_exception_fp_ieee_div_zero 0
		.amdhsa_exception_fp_ieee_overflow 0
		.amdhsa_exception_fp_ieee_underflow 0
		.amdhsa_exception_fp_ieee_inexact 0
		.amdhsa_exception_int_div_zero 0
	.end_amdhsa_kernel
	.section	.text._ZN9rocsolver6v33100L15gesvdj_finalizeI19rocblas_complex_numIfEfEEviPT0_lPT_ilS7_il,"axG",@progbits,_ZN9rocsolver6v33100L15gesvdj_finalizeI19rocblas_complex_numIfEfEEviPT0_lPT_ilS7_il,comdat
.Lfunc_end115:
	.size	_ZN9rocsolver6v33100L15gesvdj_finalizeI19rocblas_complex_numIfEfEEviPT0_lPT_ilS7_il, .Lfunc_end115-_ZN9rocsolver6v33100L15gesvdj_finalizeI19rocblas_complex_numIfEfEEviPT0_lPT_ilS7_il
                                        ; -- End function
	.set _ZN9rocsolver6v33100L15gesvdj_finalizeI19rocblas_complex_numIfEfEEviPT0_lPT_ilS7_il.num_vgpr, 7
	.set _ZN9rocsolver6v33100L15gesvdj_finalizeI19rocblas_complex_numIfEfEEviPT0_lPT_ilS7_il.num_agpr, 0
	.set _ZN9rocsolver6v33100L15gesvdj_finalizeI19rocblas_complex_numIfEfEEviPT0_lPT_ilS7_il.numbered_sgpr, 22
	.set _ZN9rocsolver6v33100L15gesvdj_finalizeI19rocblas_complex_numIfEfEEviPT0_lPT_ilS7_il.num_named_barrier, 0
	.set _ZN9rocsolver6v33100L15gesvdj_finalizeI19rocblas_complex_numIfEfEEviPT0_lPT_ilS7_il.private_seg_size, 0
	.set _ZN9rocsolver6v33100L15gesvdj_finalizeI19rocblas_complex_numIfEfEEviPT0_lPT_ilS7_il.uses_vcc, 1
	.set _ZN9rocsolver6v33100L15gesvdj_finalizeI19rocblas_complex_numIfEfEEviPT0_lPT_ilS7_il.uses_flat_scratch, 0
	.set _ZN9rocsolver6v33100L15gesvdj_finalizeI19rocblas_complex_numIfEfEEviPT0_lPT_ilS7_il.has_dyn_sized_stack, 0
	.set _ZN9rocsolver6v33100L15gesvdj_finalizeI19rocblas_complex_numIfEfEEviPT0_lPT_ilS7_il.has_recursion, 0
	.set _ZN9rocsolver6v33100L15gesvdj_finalizeI19rocblas_complex_numIfEfEEviPT0_lPT_ilS7_il.has_indirect_call, 0
	.section	.AMDGPU.csdata,"",@progbits
; Kernel info:
; codeLenInByte = 404
; TotalNumSgprs: 26
; NumVgprs: 7
; ScratchSize: 0
; MemoryBound: 0
; FloatMode: 240
; IeeeMode: 1
; LDSByteSize: 0 bytes/workgroup (compile time only)
; SGPRBlocks: 3
; VGPRBlocks: 1
; NumSGPRsForWavesPerEU: 26
; NumVGPRsForWavesPerEU: 7
; Occupancy: 10
; WaveLimiterHint : 0
; COMPUTE_PGM_RSRC2:SCRATCH_EN: 0
; COMPUTE_PGM_RSRC2:USER_SGPR: 6
; COMPUTE_PGM_RSRC2:TRAP_HANDLER: 0
; COMPUTE_PGM_RSRC2:TGID_X_EN: 1
; COMPUTE_PGM_RSRC2:TGID_Y_EN: 1
; COMPUTE_PGM_RSRC2:TGID_Z_EN: 0
; COMPUTE_PGM_RSRC2:TIDIG_COMP_CNT: 0
	.section	.text._ZN9rocsolver6v33100L16org2r_init_identI19rocblas_complex_numIfEPS3_EEviiiT0_iil,"axG",@progbits,_ZN9rocsolver6v33100L16org2r_init_identI19rocblas_complex_numIfEPS3_EEviiiT0_iil,comdat
	.globl	_ZN9rocsolver6v33100L16org2r_init_identI19rocblas_complex_numIfEPS3_EEviiiT0_iil ; -- Begin function _ZN9rocsolver6v33100L16org2r_init_identI19rocblas_complex_numIfEPS3_EEviiiT0_iil
	.p2align	8
	.type	_ZN9rocsolver6v33100L16org2r_init_identI19rocblas_complex_numIfEPS3_EEviiiT0_iil,@function
_ZN9rocsolver6v33100L16org2r_init_identI19rocblas_complex_numIfEPS3_EEviiiT0_iil: ; @_ZN9rocsolver6v33100L16org2r_init_identI19rocblas_complex_numIfEPS3_EEviiiT0_iil
; %bb.0:
	s_load_dword s0, s[4:5], 0x34
	s_load_dwordx4 s[12:15], s[4:5], 0x0
	s_waitcnt lgkmcnt(0)
	s_lshr_b32 s1, s0, 16
	s_and_b32 s0, s0, 0xffff
	s_mul_i32 s7, s7, s1
	s_mul_i32 s6, s6, s0
	v_add_u32_e32 v1, s7, v1
	v_add_u32_e32 v0, s6, v0
	v_cmp_gt_u32_e32 vcc, s12, v0
	v_cmp_gt_u32_e64 s[0:1], s13, v1
	s_and_b64 s[0:1], vcc, s[0:1]
	s_and_saveexec_b64 s[2:3], s[0:1]
	s_cbranch_execz .LBB116_11
; %bb.1:
	s_load_dwordx4 s[0:3], s[4:5], 0x10
	s_load_dwordx2 s[6:7], s[4:5], 0x20
	v_cmp_ne_u32_e32 vcc, v0, v1
	s_waitcnt lgkmcnt(0)
	s_ashr_i32 s5, s2, 31
	s_mov_b32 s4, s2
	s_mul_i32 s2, s7, s8
	s_mul_hi_u32 s7, s6, s8
	s_add_i32 s7, s7, s2
	s_mul_i32 s6, s6, s8
	s_lshl_b64 s[6:7], s[6:7], 3
	s_add_u32 s2, s0, s6
	s_addc_u32 s6, s1, s7
	s_lshl_b64 s[0:1], s[4:5], 3
	s_add_u32 s2, s2, s0
	s_addc_u32 s8, s6, s1
	s_and_saveexec_b64 s[0:1], vcc
	s_xor_b64 s[0:1], exec, s[0:1]
	s_cbranch_execz .LBB116_9
; %bb.2:
	v_cmp_le_u32_e32 vcc, v1, v0
	s_and_saveexec_b64 s[4:5], vcc
	s_xor_b64 s[4:5], exec, s[4:5]
	s_cbranch_execz .LBB116_6
; %bb.3:
	v_cmp_le_u32_e32 vcc, s14, v1
	s_and_saveexec_b64 s[6:7], vcc
	s_cbranch_execz .LBB116_5
; %bb.4:
	v_mad_u64_u32 v[0:1], s[10:11], v1, s3, v[0:1]
	v_mov_b32_e32 v1, 0
	v_mov_b32_e32 v4, s8
	v_lshlrev_b64 v[2:3], 3, v[0:1]
	v_mov_b32_e32 v0, v1
	v_add_co_u32_e32 v2, vcc, s2, v2
	v_addc_co_u32_e32 v3, vcc, v4, v3, vcc
	global_store_dwordx2 v[2:3], v[0:1], off
.LBB116_5:
	s_or_b64 exec, exec, s[6:7]
                                        ; implicit-def: $vgpr0
                                        ; implicit-def: $vgpr1
.LBB116_6:
	s_andn2_saveexec_b64 s[4:5], s[4:5]
	s_cbranch_execz .LBB116_8
; %bb.7:
	v_mad_u64_u32 v[0:1], s[6:7], v1, s3, v[0:1]
	v_mov_b32_e32 v1, 0
	v_mov_b32_e32 v4, s8
	v_lshlrev_b64 v[2:3], 3, v[0:1]
	v_mov_b32_e32 v0, v1
	v_add_co_u32_e32 v2, vcc, s2, v2
	v_addc_co_u32_e32 v3, vcc, v4, v3, vcc
	global_store_dwordx2 v[2:3], v[0:1], off
.LBB116_8:
	s_or_b64 exec, exec, s[4:5]
                                        ; implicit-def: $vgpr1
.LBB116_9:
	s_andn2_saveexec_b64 s[0:1], s[0:1]
	s_cbranch_execz .LBB116_11
; %bb.10:
	v_mad_u64_u32 v[0:1], s[0:1], v1, s3, v[1:2]
	v_mov_b32_e32 v1, 0
	v_mov_b32_e32 v4, s8
	v_lshlrev_b64 v[2:3], 3, v[0:1]
	v_mov_b32_e32 v0, 1.0
	v_add_co_u32_e32 v2, vcc, s2, v2
	v_addc_co_u32_e32 v3, vcc, v4, v3, vcc
	global_store_dwordx2 v[2:3], v[0:1], off
.LBB116_11:
	s_endpgm
	.section	.rodata,"a",@progbits
	.p2align	6, 0x0
	.amdhsa_kernel _ZN9rocsolver6v33100L16org2r_init_identI19rocblas_complex_numIfEPS3_EEviiiT0_iil
		.amdhsa_group_segment_fixed_size 0
		.amdhsa_private_segment_fixed_size 0
		.amdhsa_kernarg_size 296
		.amdhsa_user_sgpr_count 6
		.amdhsa_user_sgpr_private_segment_buffer 1
		.amdhsa_user_sgpr_dispatch_ptr 0
		.amdhsa_user_sgpr_queue_ptr 0
		.amdhsa_user_sgpr_kernarg_segment_ptr 1
		.amdhsa_user_sgpr_dispatch_id 0
		.amdhsa_user_sgpr_flat_scratch_init 0
		.amdhsa_user_sgpr_private_segment_size 0
		.amdhsa_uses_dynamic_stack 0
		.amdhsa_system_sgpr_private_segment_wavefront_offset 0
		.amdhsa_system_sgpr_workgroup_id_x 1
		.amdhsa_system_sgpr_workgroup_id_y 1
		.amdhsa_system_sgpr_workgroup_id_z 1
		.amdhsa_system_sgpr_workgroup_info 0
		.amdhsa_system_vgpr_workitem_id 1
		.amdhsa_next_free_vgpr 5
		.amdhsa_next_free_sgpr 16
		.amdhsa_reserve_vcc 1
		.amdhsa_reserve_flat_scratch 0
		.amdhsa_float_round_mode_32 0
		.amdhsa_float_round_mode_16_64 0
		.amdhsa_float_denorm_mode_32 3
		.amdhsa_float_denorm_mode_16_64 3
		.amdhsa_dx10_clamp 1
		.amdhsa_ieee_mode 1
		.amdhsa_fp16_overflow 0
		.amdhsa_exception_fp_ieee_invalid_op 0
		.amdhsa_exception_fp_denorm_src 0
		.amdhsa_exception_fp_ieee_div_zero 0
		.amdhsa_exception_fp_ieee_overflow 0
		.amdhsa_exception_fp_ieee_underflow 0
		.amdhsa_exception_fp_ieee_inexact 0
		.amdhsa_exception_int_div_zero 0
	.end_amdhsa_kernel
	.section	.text._ZN9rocsolver6v33100L16org2r_init_identI19rocblas_complex_numIfEPS3_EEviiiT0_iil,"axG",@progbits,_ZN9rocsolver6v33100L16org2r_init_identI19rocblas_complex_numIfEPS3_EEviiiT0_iil,comdat
.Lfunc_end116:
	.size	_ZN9rocsolver6v33100L16org2r_init_identI19rocblas_complex_numIfEPS3_EEviiiT0_iil, .Lfunc_end116-_ZN9rocsolver6v33100L16org2r_init_identI19rocblas_complex_numIfEPS3_EEviiiT0_iil
                                        ; -- End function
	.set _ZN9rocsolver6v33100L16org2r_init_identI19rocblas_complex_numIfEPS3_EEviiiT0_iil.num_vgpr, 5
	.set _ZN9rocsolver6v33100L16org2r_init_identI19rocblas_complex_numIfEPS3_EEviiiT0_iil.num_agpr, 0
	.set _ZN9rocsolver6v33100L16org2r_init_identI19rocblas_complex_numIfEPS3_EEviiiT0_iil.numbered_sgpr, 16
	.set _ZN9rocsolver6v33100L16org2r_init_identI19rocblas_complex_numIfEPS3_EEviiiT0_iil.num_named_barrier, 0
	.set _ZN9rocsolver6v33100L16org2r_init_identI19rocblas_complex_numIfEPS3_EEviiiT0_iil.private_seg_size, 0
	.set _ZN9rocsolver6v33100L16org2r_init_identI19rocblas_complex_numIfEPS3_EEviiiT0_iil.uses_vcc, 1
	.set _ZN9rocsolver6v33100L16org2r_init_identI19rocblas_complex_numIfEPS3_EEviiiT0_iil.uses_flat_scratch, 0
	.set _ZN9rocsolver6v33100L16org2r_init_identI19rocblas_complex_numIfEPS3_EEviiiT0_iil.has_dyn_sized_stack, 0
	.set _ZN9rocsolver6v33100L16org2r_init_identI19rocblas_complex_numIfEPS3_EEviiiT0_iil.has_recursion, 0
	.set _ZN9rocsolver6v33100L16org2r_init_identI19rocblas_complex_numIfEPS3_EEviiiT0_iil.has_indirect_call, 0
	.section	.AMDGPU.csdata,"",@progbits
; Kernel info:
; codeLenInByte = 344
; TotalNumSgprs: 20
; NumVgprs: 5
; ScratchSize: 0
; MemoryBound: 0
; FloatMode: 240
; IeeeMode: 1
; LDSByteSize: 0 bytes/workgroup (compile time only)
; SGPRBlocks: 2
; VGPRBlocks: 1
; NumSGPRsForWavesPerEU: 20
; NumVGPRsForWavesPerEU: 5
; Occupancy: 10
; WaveLimiterHint : 0
; COMPUTE_PGM_RSRC2:SCRATCH_EN: 0
; COMPUTE_PGM_RSRC2:USER_SGPR: 6
; COMPUTE_PGM_RSRC2:TRAP_HANDLER: 0
; COMPUTE_PGM_RSRC2:TGID_X_EN: 1
; COMPUTE_PGM_RSRC2:TGID_Y_EN: 1
; COMPUTE_PGM_RSRC2:TGID_Z_EN: 1
; COMPUTE_PGM_RSRC2:TIDIG_COMP_CNT: 1
	.section	.text._ZN9rocsolver6v33100L12subtract_tauI19rocblas_complex_numIfEPS3_EEviiT0_iilPT_l,"axG",@progbits,_ZN9rocsolver6v33100L12subtract_tauI19rocblas_complex_numIfEPS3_EEviiT0_iilPT_l,comdat
	.globl	_ZN9rocsolver6v33100L12subtract_tauI19rocblas_complex_numIfEPS3_EEviiT0_iilPT_l ; -- Begin function _ZN9rocsolver6v33100L12subtract_tauI19rocblas_complex_numIfEPS3_EEviiT0_iilPT_l
	.p2align	8
	.type	_ZN9rocsolver6v33100L12subtract_tauI19rocblas_complex_numIfEPS3_EEviiT0_iilPT_l,@function
_ZN9rocsolver6v33100L12subtract_tauI19rocblas_complex_numIfEPS3_EEviiT0_iilPT_l: ; @_ZN9rocsolver6v33100L12subtract_tauI19rocblas_complex_numIfEPS3_EEviiT0_iilPT_l
; %bb.0:
	s_load_dwordx2 s[12:13], s[4:5], 0x10
	s_load_dwordx4 s[0:3], s[4:5], 0x18
	s_load_dwordx4 s[8:11], s[4:5], 0x0
	s_load_dwordx2 s[14:15], s[4:5], 0x28
	v_mov_b32_e32 v2, 0
	s_waitcnt lgkmcnt(0)
	s_ashr_i32 s5, s12, 31
	s_mul_i32 s1, s1, s6
	s_mul_hi_u32 s7, s0, s6
	s_add_i32 s1, s7, s1
	s_mul_i32 s0, s0, s6
	s_lshl_b64 s[0:1], s[0:1], 3
	s_mov_b32 s4, s12
	s_add_u32 s7, s10, s0
	s_addc_u32 s10, s11, s1
	s_lshl_b64 s[0:1], s[4:5], 3
	s_add_u32 s4, s7, s0
	s_addc_u32 s5, s10, s1
	s_mul_i32 s0, s15, s6
	s_mul_hi_u32 s1, s14, s6
	s_add_i32 s1, s1, s0
	s_mul_i32 s0, s14, s6
	s_lshl_b64 s[0:1], s[0:1], 3
	s_add_u32 s0, s2, s0
	s_addc_u32 s1, s3, s1
	s_load_dwordx2 s[2:3], s[0:1], 0x0
	s_waitcnt lgkmcnt(0)
	s_xor_b32 s6, s2, 0x80000000
	s_xor_b32 s3, s3, 0x80000000
	v_mov_b32_e32 v0, s6
	v_mov_b32_e32 v1, s3
	global_store_dwordx2 v2, v[0:1], s[0:1]
	s_mul_i32 s0, s13, s9
	s_add_i32 s0, s0, s8
	s_ashr_i32 s1, s0, 31
	s_lshl_b64 s[0:1], s[0:1], 3
	s_add_u32 s0, s4, s0
	v_sub_f32_e64 v0, 1.0, s2
	s_addc_u32 s1, s5, s1
	global_store_dwordx2 v2, v[0:1], s[0:1]
	s_endpgm
	.section	.rodata,"a",@progbits
	.p2align	6, 0x0
	.amdhsa_kernel _ZN9rocsolver6v33100L12subtract_tauI19rocblas_complex_numIfEPS3_EEviiT0_iilPT_l
		.amdhsa_group_segment_fixed_size 0
		.amdhsa_private_segment_fixed_size 0
		.amdhsa_kernarg_size 48
		.amdhsa_user_sgpr_count 6
		.amdhsa_user_sgpr_private_segment_buffer 1
		.amdhsa_user_sgpr_dispatch_ptr 0
		.amdhsa_user_sgpr_queue_ptr 0
		.amdhsa_user_sgpr_kernarg_segment_ptr 1
		.amdhsa_user_sgpr_dispatch_id 0
		.amdhsa_user_sgpr_flat_scratch_init 0
		.amdhsa_user_sgpr_private_segment_size 0
		.amdhsa_uses_dynamic_stack 0
		.amdhsa_system_sgpr_private_segment_wavefront_offset 0
		.amdhsa_system_sgpr_workgroup_id_x 1
		.amdhsa_system_sgpr_workgroup_id_y 0
		.amdhsa_system_sgpr_workgroup_id_z 0
		.amdhsa_system_sgpr_workgroup_info 0
		.amdhsa_system_vgpr_workitem_id 0
		.amdhsa_next_free_vgpr 3
		.amdhsa_next_free_sgpr 16
		.amdhsa_reserve_vcc 0
		.amdhsa_reserve_flat_scratch 0
		.amdhsa_float_round_mode_32 0
		.amdhsa_float_round_mode_16_64 0
		.amdhsa_float_denorm_mode_32 3
		.amdhsa_float_denorm_mode_16_64 3
		.amdhsa_dx10_clamp 1
		.amdhsa_ieee_mode 1
		.amdhsa_fp16_overflow 0
		.amdhsa_exception_fp_ieee_invalid_op 0
		.amdhsa_exception_fp_denorm_src 0
		.amdhsa_exception_fp_ieee_div_zero 0
		.amdhsa_exception_fp_ieee_overflow 0
		.amdhsa_exception_fp_ieee_underflow 0
		.amdhsa_exception_fp_ieee_inexact 0
		.amdhsa_exception_int_div_zero 0
	.end_amdhsa_kernel
	.section	.text._ZN9rocsolver6v33100L12subtract_tauI19rocblas_complex_numIfEPS3_EEviiT0_iilPT_l,"axG",@progbits,_ZN9rocsolver6v33100L12subtract_tauI19rocblas_complex_numIfEPS3_EEviiT0_iilPT_l,comdat
.Lfunc_end117:
	.size	_ZN9rocsolver6v33100L12subtract_tauI19rocblas_complex_numIfEPS3_EEviiT0_iilPT_l, .Lfunc_end117-_ZN9rocsolver6v33100L12subtract_tauI19rocblas_complex_numIfEPS3_EEviiT0_iilPT_l
                                        ; -- End function
	.set _ZN9rocsolver6v33100L12subtract_tauI19rocblas_complex_numIfEPS3_EEviiT0_iilPT_l.num_vgpr, 3
	.set _ZN9rocsolver6v33100L12subtract_tauI19rocblas_complex_numIfEPS3_EEviiT0_iilPT_l.num_agpr, 0
	.set _ZN9rocsolver6v33100L12subtract_tauI19rocblas_complex_numIfEPS3_EEviiT0_iilPT_l.numbered_sgpr, 16
	.set _ZN9rocsolver6v33100L12subtract_tauI19rocblas_complex_numIfEPS3_EEviiT0_iilPT_l.num_named_barrier, 0
	.set _ZN9rocsolver6v33100L12subtract_tauI19rocblas_complex_numIfEPS3_EEviiT0_iilPT_l.private_seg_size, 0
	.set _ZN9rocsolver6v33100L12subtract_tauI19rocblas_complex_numIfEPS3_EEviiT0_iilPT_l.uses_vcc, 0
	.set _ZN9rocsolver6v33100L12subtract_tauI19rocblas_complex_numIfEPS3_EEviiT0_iilPT_l.uses_flat_scratch, 0
	.set _ZN9rocsolver6v33100L12subtract_tauI19rocblas_complex_numIfEPS3_EEviiT0_iilPT_l.has_dyn_sized_stack, 0
	.set _ZN9rocsolver6v33100L12subtract_tauI19rocblas_complex_numIfEPS3_EEviiT0_iilPT_l.has_recursion, 0
	.set _ZN9rocsolver6v33100L12subtract_tauI19rocblas_complex_numIfEPS3_EEviiT0_iilPT_l.has_indirect_call, 0
	.section	.AMDGPU.csdata,"",@progbits
; Kernel info:
; codeLenInByte = 204
; TotalNumSgprs: 20
; NumVgprs: 3
; ScratchSize: 0
; MemoryBound: 0
; FloatMode: 240
; IeeeMode: 1
; LDSByteSize: 0 bytes/workgroup (compile time only)
; SGPRBlocks: 2
; VGPRBlocks: 0
; NumSGPRsForWavesPerEU: 20
; NumVGPRsForWavesPerEU: 3
; Occupancy: 10
; WaveLimiterHint : 0
; COMPUTE_PGM_RSRC2:SCRATCH_EN: 0
; COMPUTE_PGM_RSRC2:USER_SGPR: 6
; COMPUTE_PGM_RSRC2:TRAP_HANDLER: 0
; COMPUTE_PGM_RSRC2:TGID_X_EN: 1
; COMPUTE_PGM_RSRC2:TGID_Y_EN: 0
; COMPUTE_PGM_RSRC2:TGID_Z_EN: 0
; COMPUTE_PGM_RSRC2:TIDIG_COMP_CNT: 0
	.section	.text._ZN9rocsolver6v33100L6restauI19rocblas_complex_numIfEEEviPT_l,"axG",@progbits,_ZN9rocsolver6v33100L6restauI19rocblas_complex_numIfEEEviPT_l,comdat
	.globl	_ZN9rocsolver6v33100L6restauI19rocblas_complex_numIfEEEviPT_l ; -- Begin function _ZN9rocsolver6v33100L6restauI19rocblas_complex_numIfEEEviPT_l
	.p2align	8
	.type	_ZN9rocsolver6v33100L6restauI19rocblas_complex_numIfEEEviPT_l,@function
_ZN9rocsolver6v33100L6restauI19rocblas_complex_numIfEEEviPT_l: ; @_ZN9rocsolver6v33100L6restauI19rocblas_complex_numIfEEEviPT_l
; %bb.0:
	s_load_dword s0, s[4:5], 0x24
	s_load_dword s1, s[4:5], 0x0
	s_waitcnt lgkmcnt(0)
	s_and_b32 s0, s0, 0xffff
	s_mul_i32 s6, s6, s0
	v_add_u32_e32 v0, s6, v0
	v_cmp_gt_u32_e32 vcc, s1, v0
	s_and_saveexec_b64 s[0:1], vcc
	s_cbranch_execz .LBB118_2
; %bb.1:
	s_load_dwordx4 s[0:3], s[4:5], 0x8
	v_mov_b32_e32 v1, 0
	v_lshlrev_b64 v[0:1], 3, v[0:1]
	s_waitcnt lgkmcnt(0)
	s_mul_i32 s3, s3, s7
	s_mul_hi_u32 s4, s2, s7
	s_mul_i32 s2, s2, s7
	s_add_i32 s3, s4, s3
	s_lshl_b64 s[2:3], s[2:3], 3
	s_add_u32 s0, s0, s2
	s_addc_u32 s1, s1, s3
	v_mov_b32_e32 v2, s1
	v_add_co_u32_e32 v0, vcc, s0, v0
	v_addc_co_u32_e32 v1, vcc, v2, v1, vcc
	global_load_dwordx2 v[2:3], v[0:1], off
	s_waitcnt vmcnt(0)
	v_xor_b32_e32 v2, 0x80000000, v2
	v_xor_b32_e32 v3, 0x80000000, v3
	global_store_dwordx2 v[0:1], v[2:3], off
.LBB118_2:
	s_endpgm
	.section	.rodata,"a",@progbits
	.p2align	6, 0x0
	.amdhsa_kernel _ZN9rocsolver6v33100L6restauI19rocblas_complex_numIfEEEviPT_l
		.amdhsa_group_segment_fixed_size 0
		.amdhsa_private_segment_fixed_size 0
		.amdhsa_kernarg_size 280
		.amdhsa_user_sgpr_count 6
		.amdhsa_user_sgpr_private_segment_buffer 1
		.amdhsa_user_sgpr_dispatch_ptr 0
		.amdhsa_user_sgpr_queue_ptr 0
		.amdhsa_user_sgpr_kernarg_segment_ptr 1
		.amdhsa_user_sgpr_dispatch_id 0
		.amdhsa_user_sgpr_flat_scratch_init 0
		.amdhsa_user_sgpr_private_segment_size 0
		.amdhsa_uses_dynamic_stack 0
		.amdhsa_system_sgpr_private_segment_wavefront_offset 0
		.amdhsa_system_sgpr_workgroup_id_x 1
		.amdhsa_system_sgpr_workgroup_id_y 1
		.amdhsa_system_sgpr_workgroup_id_z 0
		.amdhsa_system_sgpr_workgroup_info 0
		.amdhsa_system_vgpr_workitem_id 0
		.amdhsa_next_free_vgpr 4
		.amdhsa_next_free_sgpr 8
		.amdhsa_reserve_vcc 1
		.amdhsa_reserve_flat_scratch 0
		.amdhsa_float_round_mode_32 0
		.amdhsa_float_round_mode_16_64 0
		.amdhsa_float_denorm_mode_32 3
		.amdhsa_float_denorm_mode_16_64 3
		.amdhsa_dx10_clamp 1
		.amdhsa_ieee_mode 1
		.amdhsa_fp16_overflow 0
		.amdhsa_exception_fp_ieee_invalid_op 0
		.amdhsa_exception_fp_denorm_src 0
		.amdhsa_exception_fp_ieee_div_zero 0
		.amdhsa_exception_fp_ieee_overflow 0
		.amdhsa_exception_fp_ieee_underflow 0
		.amdhsa_exception_fp_ieee_inexact 0
		.amdhsa_exception_int_div_zero 0
	.end_amdhsa_kernel
	.section	.text._ZN9rocsolver6v33100L6restauI19rocblas_complex_numIfEEEviPT_l,"axG",@progbits,_ZN9rocsolver6v33100L6restauI19rocblas_complex_numIfEEEviPT_l,comdat
.Lfunc_end118:
	.size	_ZN9rocsolver6v33100L6restauI19rocblas_complex_numIfEEEviPT_l, .Lfunc_end118-_ZN9rocsolver6v33100L6restauI19rocblas_complex_numIfEEEviPT_l
                                        ; -- End function
	.set _ZN9rocsolver6v33100L6restauI19rocblas_complex_numIfEEEviPT_l.num_vgpr, 4
	.set _ZN9rocsolver6v33100L6restauI19rocblas_complex_numIfEEEviPT_l.num_agpr, 0
	.set _ZN9rocsolver6v33100L6restauI19rocblas_complex_numIfEEEviPT_l.numbered_sgpr, 8
	.set _ZN9rocsolver6v33100L6restauI19rocblas_complex_numIfEEEviPT_l.num_named_barrier, 0
	.set _ZN9rocsolver6v33100L6restauI19rocblas_complex_numIfEEEviPT_l.private_seg_size, 0
	.set _ZN9rocsolver6v33100L6restauI19rocblas_complex_numIfEEEviPT_l.uses_vcc, 1
	.set _ZN9rocsolver6v33100L6restauI19rocblas_complex_numIfEEEviPT_l.uses_flat_scratch, 0
	.set _ZN9rocsolver6v33100L6restauI19rocblas_complex_numIfEEEviPT_l.has_dyn_sized_stack, 0
	.set _ZN9rocsolver6v33100L6restauI19rocblas_complex_numIfEEEviPT_l.has_recursion, 0
	.set _ZN9rocsolver6v33100L6restauI19rocblas_complex_numIfEEEviPT_l.has_indirect_call, 0
	.section	.AMDGPU.csdata,"",@progbits
; Kernel info:
; codeLenInByte = 152
; TotalNumSgprs: 12
; NumVgprs: 4
; ScratchSize: 0
; MemoryBound: 0
; FloatMode: 240
; IeeeMode: 1
; LDSByteSize: 0 bytes/workgroup (compile time only)
; SGPRBlocks: 1
; VGPRBlocks: 0
; NumSGPRsForWavesPerEU: 12
; NumVGPRsForWavesPerEU: 4
; Occupancy: 10
; WaveLimiterHint : 0
; COMPUTE_PGM_RSRC2:SCRATCH_EN: 0
; COMPUTE_PGM_RSRC2:USER_SGPR: 6
; COMPUTE_PGM_RSRC2:TRAP_HANDLER: 0
; COMPUTE_PGM_RSRC2:TGID_X_EN: 1
; COMPUTE_PGM_RSRC2:TGID_Y_EN: 1
; COMPUTE_PGM_RSRC2:TGID_Z_EN: 0
; COMPUTE_PGM_RSRC2:TIDIG_COMP_CNT: 0
	.section	.text._ZN9rocsolver6v33100L8set_zeroI19rocblas_complex_numIfEPS3_EEviiT0_iil13rocblas_fill_,"axG",@progbits,_ZN9rocsolver6v33100L8set_zeroI19rocblas_complex_numIfEPS3_EEviiT0_iil13rocblas_fill_,comdat
	.globl	_ZN9rocsolver6v33100L8set_zeroI19rocblas_complex_numIfEPS3_EEviiT0_iil13rocblas_fill_ ; -- Begin function _ZN9rocsolver6v33100L8set_zeroI19rocblas_complex_numIfEPS3_EEviiT0_iil13rocblas_fill_
	.p2align	8
	.type	_ZN9rocsolver6v33100L8set_zeroI19rocblas_complex_numIfEPS3_EEviiT0_iil13rocblas_fill_,@function
_ZN9rocsolver6v33100L8set_zeroI19rocblas_complex_numIfEPS3_EEviiT0_iil13rocblas_fill_: ; @_ZN9rocsolver6v33100L8set_zeroI19rocblas_complex_numIfEPS3_EEviiT0_iil13rocblas_fill_
; %bb.0:
	s_load_dword s2, s[4:5], 0x34
	s_load_dwordx2 s[0:1], s[4:5], 0x0
	s_waitcnt lgkmcnt(0)
	s_lshr_b32 s3, s2, 16
	s_and_b32 s2, s2, 0xffff
	s_mul_i32 s6, s6, s2
	s_mul_i32 s7, s7, s3
	v_add_u32_e32 v0, s6, v0
	v_add_u32_e32 v1, s7, v1
	v_cmp_gt_u32_e32 vcc, s0, v0
	v_cmp_gt_u32_e64 s[0:1], s1, v1
	s_and_b64 s[0:1], vcc, s[0:1]
	s_and_saveexec_b64 s[2:3], s[0:1]
	s_cbranch_execz .LBB119_12
; %bb.1:
	s_load_dword s6, s[4:5], 0x20
	s_waitcnt lgkmcnt(0)
	s_cmpk_lt_i32 s6, 0x7a
	s_cbranch_scc1 .LBB119_4
; %bb.2:
	s_cmpk_gt_i32 s6, 0x7a
	s_cbranch_scc0 .LBB119_5
; %bb.3:
	s_cmpk_eq_i32 s6, 0x7b
	s_cselect_b64 s[0:1], -1, 0
	s_cbranch_execz .LBB119_6
	s_branch .LBB119_7
.LBB119_4:
	s_mov_b64 s[0:1], 0
	s_cbranch_execnz .LBB119_8
	s_branch .LBB119_10
.LBB119_5:
	s_mov_b64 s[0:1], 0
.LBB119_6:
	v_cmp_gt_u32_e32 vcc, v1, v0
	s_andn2_b64 s[0:1], s[0:1], exec
	s_and_b64 s[2:3], vcc, exec
	s_or_b64 s[0:1], s[0:1], s[2:3]
.LBB119_7:
	s_branch .LBB119_10
.LBB119_8:
	s_cmpk_eq_i32 s6, 0x79
	s_cbranch_scc0 .LBB119_10
; %bb.9:
	v_cmp_gt_u32_e32 vcc, v0, v1
	s_andn2_b64 s[0:1], s[0:1], exec
	s_and_b64 s[2:3], vcc, exec
	s_or_b64 s[0:1], s[0:1], s[2:3]
.LBB119_10:
	s_and_b64 exec, exec, s[0:1]
	s_cbranch_execz .LBB119_12
; %bb.11:
	s_load_dwordx4 s[0:3], s[4:5], 0x8
	s_load_dwordx2 s[6:7], s[4:5], 0x18
	s_waitcnt lgkmcnt(0)
	s_ashr_i32 s5, s2, 31
	s_mov_b32 s4, s2
	s_mul_i32 s2, s7, s8
	s_mul_hi_u32 s7, s6, s8
	s_add_i32 s7, s7, s2
	s_mul_i32 s6, s6, s8
	v_mad_u64_u32 v[0:1], s[2:3], v1, s3, v[0:1]
	s_lshl_b64 s[6:7], s[6:7], 3
	s_add_u32 s6, s0, s6
	s_addc_u32 s7, s1, s7
	s_lshl_b64 s[0:1], s[4:5], 3
	v_mov_b32_e32 v1, 0
	s_add_u32 s0, s6, s0
	v_lshlrev_b64 v[2:3], 3, v[0:1]
	s_addc_u32 s1, s7, s1
	v_mov_b32_e32 v0, s1
	v_add_co_u32_e32 v2, vcc, s0, v2
	v_addc_co_u32_e32 v3, vcc, v0, v3, vcc
	v_mov_b32_e32 v0, v1
	global_store_dwordx2 v[2:3], v[0:1], off
.LBB119_12:
	s_endpgm
	.section	.rodata,"a",@progbits
	.p2align	6, 0x0
	.amdhsa_kernel _ZN9rocsolver6v33100L8set_zeroI19rocblas_complex_numIfEPS3_EEviiT0_iil13rocblas_fill_
		.amdhsa_group_segment_fixed_size 0
		.amdhsa_private_segment_fixed_size 0
		.amdhsa_kernarg_size 296
		.amdhsa_user_sgpr_count 6
		.amdhsa_user_sgpr_private_segment_buffer 1
		.amdhsa_user_sgpr_dispatch_ptr 0
		.amdhsa_user_sgpr_queue_ptr 0
		.amdhsa_user_sgpr_kernarg_segment_ptr 1
		.amdhsa_user_sgpr_dispatch_id 0
		.amdhsa_user_sgpr_flat_scratch_init 0
		.amdhsa_user_sgpr_private_segment_size 0
		.amdhsa_uses_dynamic_stack 0
		.amdhsa_system_sgpr_private_segment_wavefront_offset 0
		.amdhsa_system_sgpr_workgroup_id_x 1
		.amdhsa_system_sgpr_workgroup_id_y 1
		.amdhsa_system_sgpr_workgroup_id_z 1
		.amdhsa_system_sgpr_workgroup_info 0
		.amdhsa_system_vgpr_workitem_id 1
		.amdhsa_next_free_vgpr 4
		.amdhsa_next_free_sgpr 9
		.amdhsa_reserve_vcc 1
		.amdhsa_reserve_flat_scratch 0
		.amdhsa_float_round_mode_32 0
		.amdhsa_float_round_mode_16_64 0
		.amdhsa_float_denorm_mode_32 3
		.amdhsa_float_denorm_mode_16_64 3
		.amdhsa_dx10_clamp 1
		.amdhsa_ieee_mode 1
		.amdhsa_fp16_overflow 0
		.amdhsa_exception_fp_ieee_invalid_op 0
		.amdhsa_exception_fp_denorm_src 0
		.amdhsa_exception_fp_ieee_div_zero 0
		.amdhsa_exception_fp_ieee_overflow 0
		.amdhsa_exception_fp_ieee_underflow 0
		.amdhsa_exception_fp_ieee_inexact 0
		.amdhsa_exception_int_div_zero 0
	.end_amdhsa_kernel
	.section	.text._ZN9rocsolver6v33100L8set_zeroI19rocblas_complex_numIfEPS3_EEviiT0_iil13rocblas_fill_,"axG",@progbits,_ZN9rocsolver6v33100L8set_zeroI19rocblas_complex_numIfEPS3_EEviiT0_iil13rocblas_fill_,comdat
.Lfunc_end119:
	.size	_ZN9rocsolver6v33100L8set_zeroI19rocblas_complex_numIfEPS3_EEviiT0_iil13rocblas_fill_, .Lfunc_end119-_ZN9rocsolver6v33100L8set_zeroI19rocblas_complex_numIfEPS3_EEviiT0_iil13rocblas_fill_
                                        ; -- End function
	.set _ZN9rocsolver6v33100L8set_zeroI19rocblas_complex_numIfEPS3_EEviiT0_iil13rocblas_fill_.num_vgpr, 4
	.set _ZN9rocsolver6v33100L8set_zeroI19rocblas_complex_numIfEPS3_EEviiT0_iil13rocblas_fill_.num_agpr, 0
	.set _ZN9rocsolver6v33100L8set_zeroI19rocblas_complex_numIfEPS3_EEviiT0_iil13rocblas_fill_.numbered_sgpr, 9
	.set _ZN9rocsolver6v33100L8set_zeroI19rocblas_complex_numIfEPS3_EEviiT0_iil13rocblas_fill_.num_named_barrier, 0
	.set _ZN9rocsolver6v33100L8set_zeroI19rocblas_complex_numIfEPS3_EEviiT0_iil13rocblas_fill_.private_seg_size, 0
	.set _ZN9rocsolver6v33100L8set_zeroI19rocblas_complex_numIfEPS3_EEviiT0_iil13rocblas_fill_.uses_vcc, 1
	.set _ZN9rocsolver6v33100L8set_zeroI19rocblas_complex_numIfEPS3_EEviiT0_iil13rocblas_fill_.uses_flat_scratch, 0
	.set _ZN9rocsolver6v33100L8set_zeroI19rocblas_complex_numIfEPS3_EEviiT0_iil13rocblas_fill_.has_dyn_sized_stack, 0
	.set _ZN9rocsolver6v33100L8set_zeroI19rocblas_complex_numIfEPS3_EEviiT0_iil13rocblas_fill_.has_recursion, 0
	.set _ZN9rocsolver6v33100L8set_zeroI19rocblas_complex_numIfEPS3_EEviiT0_iil13rocblas_fill_.has_indirect_call, 0
	.section	.AMDGPU.csdata,"",@progbits
; Kernel info:
; codeLenInByte = 300
; TotalNumSgprs: 13
; NumVgprs: 4
; ScratchSize: 0
; MemoryBound: 0
; FloatMode: 240
; IeeeMode: 1
; LDSByteSize: 0 bytes/workgroup (compile time only)
; SGPRBlocks: 1
; VGPRBlocks: 0
; NumSGPRsForWavesPerEU: 13
; NumVGPRsForWavesPerEU: 4
; Occupancy: 10
; WaveLimiterHint : 0
; COMPUTE_PGM_RSRC2:SCRATCH_EN: 0
; COMPUTE_PGM_RSRC2:USER_SGPR: 6
; COMPUTE_PGM_RSRC2:TRAP_HANDLER: 0
; COMPUTE_PGM_RSRC2:TGID_X_EN: 1
; COMPUTE_PGM_RSRC2:TGID_Y_EN: 1
; COMPUTE_PGM_RSRC2:TGID_Z_EN: 1
; COMPUTE_PGM_RSRC2:TIDIG_COMP_CNT: 1
	.section	.text._ZN9rocsolver6v33100L14copy_trans_matI19rocblas_complex_numIfES3_PS3_S4_NS0_7no_maskEEEv18rocblas_operation_iiT1_iilT2_iilT3_13rocblas_fill_17rocblas_diagonal_,"axG",@progbits,_ZN9rocsolver6v33100L14copy_trans_matI19rocblas_complex_numIfES3_PS3_S4_NS0_7no_maskEEEv18rocblas_operation_iiT1_iilT2_iilT3_13rocblas_fill_17rocblas_diagonal_,comdat
	.globl	_ZN9rocsolver6v33100L14copy_trans_matI19rocblas_complex_numIfES3_PS3_S4_NS0_7no_maskEEEv18rocblas_operation_iiT1_iilT2_iilT3_13rocblas_fill_17rocblas_diagonal_ ; -- Begin function _ZN9rocsolver6v33100L14copy_trans_matI19rocblas_complex_numIfES3_PS3_S4_NS0_7no_maskEEEv18rocblas_operation_iiT1_iilT2_iilT3_13rocblas_fill_17rocblas_diagonal_
	.p2align	8
	.type	_ZN9rocsolver6v33100L14copy_trans_matI19rocblas_complex_numIfES3_PS3_S4_NS0_7no_maskEEEv18rocblas_operation_iiT1_iilT2_iilT3_13rocblas_fill_17rocblas_diagonal_,@function
_ZN9rocsolver6v33100L14copy_trans_matI19rocblas_complex_numIfES3_PS3_S4_NS0_7no_maskEEEv18rocblas_operation_iiT1_iilT2_iilT3_13rocblas_fill_17rocblas_diagonal_: ; @_ZN9rocsolver6v33100L14copy_trans_matI19rocblas_complex_numIfES3_PS3_S4_NS0_7no_maskEEEv18rocblas_operation_iiT1_iilT2_iilT3_13rocblas_fill_17rocblas_diagonal_
; %bb.0:
	s_load_dword s0, s[4:5], 0x5c
	s_load_dwordx4 s[12:15], s[4:5], 0x0
	s_waitcnt lgkmcnt(0)
	s_lshr_b32 s1, s0, 16
	s_and_b32 s0, s0, 0xffff
	s_mul_i32 s7, s7, s1
	s_mul_i32 s6, s6, s0
	v_add_u32_e32 v1, s7, v1
	v_add_u32_e32 v0, s6, v0
	v_cmp_gt_u32_e32 vcc, s13, v0
	v_cmp_gt_u32_e64 s[0:1], s14, v1
	s_and_b64 s[0:1], s[0:1], vcc
	s_and_saveexec_b64 s[2:3], s[0:1]
	s_cbranch_execz .LBB120_18
; %bb.1:
	s_load_dwordx2 s[2:3], s[4:5], 0x44
	s_waitcnt lgkmcnt(0)
	s_cmpk_lt_i32 s2, 0x7a
	s_cbranch_scc1 .LBB120_4
; %bb.2:
	s_cmpk_gt_i32 s2, 0x7a
	s_cbranch_scc0 .LBB120_5
; %bb.3:
	s_cmpk_lg_i32 s2, 0x7b
	s_mov_b64 s[6:7], -1
	s_cselect_b64 s[10:11], -1, 0
	s_cbranch_execz .LBB120_6
	s_branch .LBB120_7
.LBB120_4:
	s_mov_b64 s[10:11], 0
	s_mov_b64 s[6:7], 0
	s_cbranch_execnz .LBB120_8
	s_branch .LBB120_10
.LBB120_5:
	s_mov_b64 s[6:7], 0
	s_mov_b64 s[10:11], 0
.LBB120_6:
	v_cmp_gt_u32_e32 vcc, v0, v1
	v_cmp_le_u32_e64 s[0:1], v0, v1
	s_andn2_b64 s[6:7], s[6:7], exec
	s_and_b64 s[14:15], vcc, exec
	s_andn2_b64 s[10:11], s[10:11], exec
	s_and_b64 s[0:1], s[0:1], exec
	s_or_b64 s[6:7], s[6:7], s[14:15]
	s_or_b64 s[10:11], s[10:11], s[0:1]
.LBB120_7:
	s_branch .LBB120_10
.LBB120_8:
	s_cmpk_eq_i32 s2, 0x79
	s_mov_b64 s[10:11], -1
	s_cbranch_scc0 .LBB120_10
; %bb.9:
	v_cmp_gt_u32_e32 vcc, v1, v0
	v_cmp_le_u32_e64 s[0:1], v1, v0
	s_andn2_b64 s[6:7], s[6:7], exec
	s_and_b64 s[10:11], vcc, exec
	s_or_b64 s[6:7], s[6:7], s[10:11]
	s_orn2_b64 s[10:11], s[0:1], exec
.LBB120_10:
	s_and_saveexec_b64 s[0:1], s[10:11]
; %bb.11:
	s_cmpk_eq_i32 s3, 0x83
	s_cselect_b64 s[2:3], -1, 0
	v_cmp_eq_u32_e32 vcc, v0, v1
	s_and_b64 s[2:3], s[2:3], vcc
	s_andn2_b64 s[6:7], s[6:7], exec
	s_and_b64 s[2:3], s[2:3], exec
	s_or_b64 s[6:7], s[6:7], s[2:3]
; %bb.12:
	s_or_b64 exec, exec, s[0:1]
	s_and_b64 exec, exec, s[6:7]
	s_cbranch_execz .LBB120_18
; %bb.13:
	s_load_dwordx8 s[16:23], s[4:5], 0x10
	s_load_dwordx4 s[0:3], s[4:5], 0x30
	s_waitcnt lgkmcnt(0)
	s_mul_i32 s6, s21, s8
	s_mul_hi_u32 s7, s20, s8
	s_add_i32 s7, s7, s6
	s_mul_i32 s6, s20, s8
	s_ashr_i32 s5, s18, 31
	s_lshl_b64 s[6:7], s[6:7], 3
	s_mov_b32 s4, s18
	s_add_u32 s6, s16, s6
	s_addc_u32 s7, s17, s7
	s_lshl_b64 s[4:5], s[4:5], 3
	s_add_u32 s6, s6, s4
	s_addc_u32 s7, s7, s5
	s_ashr_i32 s5, s0, 31
	s_mov_b32 s4, s0
	s_mul_i32 s0, s3, s8
	s_mul_hi_u32 s3, s2, s8
	s_add_i32 s3, s3, s0
	s_mul_i32 s2, s2, s8
	s_lshl_b64 s[2:3], s[2:3], 3
	s_add_u32 s0, s22, s2
	s_addc_u32 s8, s23, s3
	s_lshl_b64 s[2:3], s[4:5], 3
	v_mad_u64_u32 v[2:3], s[4:5], v1, s19, v[0:1]
	v_mov_b32_e32 v3, 0
	s_add_u32 s0, s0, s2
	v_lshlrev_b64 v[2:3], 3, v[2:3]
	s_addc_u32 s8, s8, s3
	v_mov_b32_e32 v4, s7
	v_add_co_u32_e32 v2, vcc, s6, v2
	v_addc_co_u32_e32 v3, vcc, v4, v3, vcc
	s_mov_b64 s[6:7], -1
	s_mov_b64 s[2:3], 0
	s_cmpk_lt_i32 s12, 0x71
	s_mov_b64 s[4:5], 0
	s_cbranch_scc0 .LBB120_19
; %bb.14:
	s_and_b64 vcc, exec, s[6:7]
	s_cbranch_vccnz .LBB120_22
.LBB120_15:
	s_andn2_b64 vcc, exec, s[4:5]
	s_cbranch_vccz .LBB120_23
.LBB120_16:
	s_andn2_b64 vcc, exec, s[2:3]
	s_cbranch_vccnz .LBB120_18
.LBB120_17:
	global_load_dwordx2 v[2:3], v[2:3], off
	v_mov_b32_e32 v4, s8
	s_waitcnt vmcnt(0)
	v_mad_u64_u32 v[0:1], s[2:3], v0, s1, v[1:2]
	v_mov_b32_e32 v1, 0
	v_lshlrev_b64 v[0:1], 3, v[0:1]
	v_add_co_u32_e32 v0, vcc, s0, v0
	v_addc_co_u32_e32 v1, vcc, v4, v1, vcc
	global_store_dwordx2 v[0:1], v[2:3], off
.LBB120_18:
	s_endpgm
.LBB120_19:
	s_cmpk_eq_i32 s12, 0x71
	s_mov_b64 s[4:5], -1
	s_cbranch_scc0 .LBB120_21
; %bb.20:
	global_load_dwordx2 v[4:5], v[2:3], off
	v_mad_u64_u32 v[6:7], s[4:5], v0, s1, v[1:2]
	v_mov_b32_e32 v7, 0
	v_mov_b32_e32 v8, s8
	v_lshlrev_b64 v[6:7], 3, v[6:7]
	s_mov_b64 s[4:5], 0
	v_add_co_u32_e32 v6, vcc, s0, v6
	v_addc_co_u32_e32 v7, vcc, v8, v7, vcc
	s_waitcnt vmcnt(0)
	v_xor_b32_e32 v5, 0x80000000, v5
	global_store_dwordx2 v[6:7], v[4:5], off
.LBB120_21:
	s_branch .LBB120_15
.LBB120_22:
	s_cmpk_lg_i32 s12, 0x70
	s_mov_b64 s[2:3], -1
	s_cselect_b64 s[4:5], -1, 0
	s_andn2_b64 vcc, exec, s[4:5]
	s_cbranch_vccnz .LBB120_16
.LBB120_23:
	global_load_dwordx2 v[4:5], v[2:3], off
	v_mad_u64_u32 v[6:7], s[2:3], v1, s1, v[0:1]
	v_mov_b32_e32 v7, 0
	v_mov_b32_e32 v8, s8
	v_lshlrev_b64 v[6:7], 3, v[6:7]
	v_add_co_u32_e32 v6, vcc, s0, v6
	v_addc_co_u32_e32 v7, vcc, v8, v7, vcc
	s_waitcnt vmcnt(0)
	global_store_dwordx2 v[6:7], v[4:5], off
	s_cbranch_execz .LBB120_17
	s_branch .LBB120_18
	.section	.rodata,"a",@progbits
	.p2align	6, 0x0
	.amdhsa_kernel _ZN9rocsolver6v33100L14copy_trans_matI19rocblas_complex_numIfES3_PS3_S4_NS0_7no_maskEEEv18rocblas_operation_iiT1_iilT2_iilT3_13rocblas_fill_17rocblas_diagonal_
		.amdhsa_group_segment_fixed_size 0
		.amdhsa_private_segment_fixed_size 0
		.amdhsa_kernarg_size 336
		.amdhsa_user_sgpr_count 6
		.amdhsa_user_sgpr_private_segment_buffer 1
		.amdhsa_user_sgpr_dispatch_ptr 0
		.amdhsa_user_sgpr_queue_ptr 0
		.amdhsa_user_sgpr_kernarg_segment_ptr 1
		.amdhsa_user_sgpr_dispatch_id 0
		.amdhsa_user_sgpr_flat_scratch_init 0
		.amdhsa_user_sgpr_private_segment_size 0
		.amdhsa_uses_dynamic_stack 0
		.amdhsa_system_sgpr_private_segment_wavefront_offset 0
		.amdhsa_system_sgpr_workgroup_id_x 1
		.amdhsa_system_sgpr_workgroup_id_y 1
		.amdhsa_system_sgpr_workgroup_id_z 1
		.amdhsa_system_sgpr_workgroup_info 0
		.amdhsa_system_vgpr_workitem_id 1
		.amdhsa_next_free_vgpr 9
		.amdhsa_next_free_sgpr 24
		.amdhsa_reserve_vcc 1
		.amdhsa_reserve_flat_scratch 0
		.amdhsa_float_round_mode_32 0
		.amdhsa_float_round_mode_16_64 0
		.amdhsa_float_denorm_mode_32 3
		.amdhsa_float_denorm_mode_16_64 3
		.amdhsa_dx10_clamp 1
		.amdhsa_ieee_mode 1
		.amdhsa_fp16_overflow 0
		.amdhsa_exception_fp_ieee_invalid_op 0
		.amdhsa_exception_fp_denorm_src 0
		.amdhsa_exception_fp_ieee_div_zero 0
		.amdhsa_exception_fp_ieee_overflow 0
		.amdhsa_exception_fp_ieee_underflow 0
		.amdhsa_exception_fp_ieee_inexact 0
		.amdhsa_exception_int_div_zero 0
	.end_amdhsa_kernel
	.section	.text._ZN9rocsolver6v33100L14copy_trans_matI19rocblas_complex_numIfES3_PS3_S4_NS0_7no_maskEEEv18rocblas_operation_iiT1_iilT2_iilT3_13rocblas_fill_17rocblas_diagonal_,"axG",@progbits,_ZN9rocsolver6v33100L14copy_trans_matI19rocblas_complex_numIfES3_PS3_S4_NS0_7no_maskEEEv18rocblas_operation_iiT1_iilT2_iilT3_13rocblas_fill_17rocblas_diagonal_,comdat
.Lfunc_end120:
	.size	_ZN9rocsolver6v33100L14copy_trans_matI19rocblas_complex_numIfES3_PS3_S4_NS0_7no_maskEEEv18rocblas_operation_iiT1_iilT2_iilT3_13rocblas_fill_17rocblas_diagonal_, .Lfunc_end120-_ZN9rocsolver6v33100L14copy_trans_matI19rocblas_complex_numIfES3_PS3_S4_NS0_7no_maskEEEv18rocblas_operation_iiT1_iilT2_iilT3_13rocblas_fill_17rocblas_diagonal_
                                        ; -- End function
	.set _ZN9rocsolver6v33100L14copy_trans_matI19rocblas_complex_numIfES3_PS3_S4_NS0_7no_maskEEEv18rocblas_operation_iiT1_iilT2_iilT3_13rocblas_fill_17rocblas_diagonal_.num_vgpr, 9
	.set _ZN9rocsolver6v33100L14copy_trans_matI19rocblas_complex_numIfES3_PS3_S4_NS0_7no_maskEEEv18rocblas_operation_iiT1_iilT2_iilT3_13rocblas_fill_17rocblas_diagonal_.num_agpr, 0
	.set _ZN9rocsolver6v33100L14copy_trans_matI19rocblas_complex_numIfES3_PS3_S4_NS0_7no_maskEEEv18rocblas_operation_iiT1_iilT2_iilT3_13rocblas_fill_17rocblas_diagonal_.numbered_sgpr, 24
	.set _ZN9rocsolver6v33100L14copy_trans_matI19rocblas_complex_numIfES3_PS3_S4_NS0_7no_maskEEEv18rocblas_operation_iiT1_iilT2_iilT3_13rocblas_fill_17rocblas_diagonal_.num_named_barrier, 0
	.set _ZN9rocsolver6v33100L14copy_trans_matI19rocblas_complex_numIfES3_PS3_S4_NS0_7no_maskEEEv18rocblas_operation_iiT1_iilT2_iilT3_13rocblas_fill_17rocblas_diagonal_.private_seg_size, 0
	.set _ZN9rocsolver6v33100L14copy_trans_matI19rocblas_complex_numIfES3_PS3_S4_NS0_7no_maskEEEv18rocblas_operation_iiT1_iilT2_iilT3_13rocblas_fill_17rocblas_diagonal_.uses_vcc, 1
	.set _ZN9rocsolver6v33100L14copy_trans_matI19rocblas_complex_numIfES3_PS3_S4_NS0_7no_maskEEEv18rocblas_operation_iiT1_iilT2_iilT3_13rocblas_fill_17rocblas_diagonal_.uses_flat_scratch, 0
	.set _ZN9rocsolver6v33100L14copy_trans_matI19rocblas_complex_numIfES3_PS3_S4_NS0_7no_maskEEEv18rocblas_operation_iiT1_iilT2_iilT3_13rocblas_fill_17rocblas_diagonal_.has_dyn_sized_stack, 0
	.set _ZN9rocsolver6v33100L14copy_trans_matI19rocblas_complex_numIfES3_PS3_S4_NS0_7no_maskEEEv18rocblas_operation_iiT1_iilT2_iilT3_13rocblas_fill_17rocblas_diagonal_.has_recursion, 0
	.set _ZN9rocsolver6v33100L14copy_trans_matI19rocblas_complex_numIfES3_PS3_S4_NS0_7no_maskEEEv18rocblas_operation_iiT1_iilT2_iilT3_13rocblas_fill_17rocblas_diagonal_.has_indirect_call, 0
	.section	.AMDGPU.csdata,"",@progbits
; Kernel info:
; codeLenInByte = 676
; TotalNumSgprs: 28
; NumVgprs: 9
; ScratchSize: 0
; MemoryBound: 0
; FloatMode: 240
; IeeeMode: 1
; LDSByteSize: 0 bytes/workgroup (compile time only)
; SGPRBlocks: 3
; VGPRBlocks: 2
; NumSGPRsForWavesPerEU: 28
; NumVGPRsForWavesPerEU: 9
; Occupancy: 10
; WaveLimiterHint : 0
; COMPUTE_PGM_RSRC2:SCRATCH_EN: 0
; COMPUTE_PGM_RSRC2:USER_SGPR: 6
; COMPUTE_PGM_RSRC2:TRAP_HANDLER: 0
; COMPUTE_PGM_RSRC2:TGID_X_EN: 1
; COMPUTE_PGM_RSRC2:TGID_Y_EN: 1
; COMPUTE_PGM_RSRC2:TGID_Z_EN: 1
; COMPUTE_PGM_RSRC2:TIDIG_COMP_CNT: 1
	.section	.text._ZN9rocsolver6v33100L8set_diagI19rocblas_complex_numIfEiS3_PS3_TnNSt9enable_ifIXoont18rocblas_is_complexIT_E18rocblas_is_complexIT1_EEiE4typeELi0EEEvPS7_llT2_lT0_lSC_b,"axG",@progbits,_ZN9rocsolver6v33100L8set_diagI19rocblas_complex_numIfEiS3_PS3_TnNSt9enable_ifIXoont18rocblas_is_complexIT_E18rocblas_is_complexIT1_EEiE4typeELi0EEEvPS7_llT2_lT0_lSC_b,comdat
	.globl	_ZN9rocsolver6v33100L8set_diagI19rocblas_complex_numIfEiS3_PS3_TnNSt9enable_ifIXoont18rocblas_is_complexIT_E18rocblas_is_complexIT1_EEiE4typeELi0EEEvPS7_llT2_lT0_lSC_b ; -- Begin function _ZN9rocsolver6v33100L8set_diagI19rocblas_complex_numIfEiS3_PS3_TnNSt9enable_ifIXoont18rocblas_is_complexIT_E18rocblas_is_complexIT1_EEiE4typeELi0EEEvPS7_llT2_lT0_lSC_b
	.p2align	8
	.type	_ZN9rocsolver6v33100L8set_diagI19rocblas_complex_numIfEiS3_PS3_TnNSt9enable_ifIXoont18rocblas_is_complexIT_E18rocblas_is_complexIT1_EEiE4typeELi0EEEvPS7_llT2_lT0_lSC_b,@function
_ZN9rocsolver6v33100L8set_diagI19rocblas_complex_numIfEiS3_PS3_TnNSt9enable_ifIXoont18rocblas_is_complexIT_E18rocblas_is_complexIT1_EEiE4typeELi0EEEvPS7_llT2_lT0_lSC_b: ; @_ZN9rocsolver6v33100L8set_diagI19rocblas_complex_numIfEiS3_PS3_TnNSt9enable_ifIXoont18rocblas_is_complexIT_E18rocblas_is_complexIT1_EEiE4typeELi0EEEvPS7_llT2_lT0_lSC_b
; %bb.0:
	s_load_dword s2, s[4:5], 0x4c
	s_load_dwordx2 s[0:1], s[4:5], 0x38
	s_waitcnt lgkmcnt(0)
	s_lshr_b32 s2, s2, 16
	s_mul_i32 s7, s7, s2
	v_add_u32_e32 v0, s7, v1
	v_cmp_gt_i32_e32 vcc, s0, v0
	s_and_saveexec_b64 s[2:3], vcc
	s_cbranch_execz .LBB121_5
; %bb.1:
	s_load_dwordx2 s[2:3], s[4:5], 0x20
	s_load_dword s7, s[4:5], 0x28
	s_load_dwordx2 s[16:17], s[4:5], 0x30
	s_load_dwordx8 s[8:15], s[4:5], 0x0
	s_bitcmp1_b32 s1, 0
	s_cselect_b64 s[0:1], -1, 0
	s_ashr_i32 s18, s6, 31
	s_waitcnt lgkmcnt(0)
	s_mul_hi_u32 s4, s16, s6
	s_mul_i32 s5, s16, s18
	s_add_i32 s4, s4, s5
	s_mul_i32 s5, s17, s6
	s_add_i32 s5, s4, s5
	s_mul_i32 s4, s16, s6
	s_lshl_b64 s[4:5], s[4:5], 3
	s_add_u32 s14, s14, s4
	s_addc_u32 s15, s15, s5
	v_mad_u64_u32 v[1:2], s[4:5], v0, s7, v[0:1]
	s_lshl_b64 s[2:3], s[2:3], 3
	s_add_u32 s2, s14, s2
	v_ashrrev_i32_e32 v2, 31, v1
	v_lshlrev_b64 v[2:3], 3, v[1:2]
	s_addc_u32 s3, s15, s3
	v_mov_b32_e32 v1, s3
	v_add_co_u32_e32 v2, vcc, s2, v2
	v_addc_co_u32_e32 v3, vcc, v1, v3, vcc
	global_load_dwordx2 v[4:5], v[2:3], off
	s_mul_hi_u32 s3, s12, s6
	s_mul_i32 s4, s12, s18
	s_mul_i32 s5, s13, s6
	s_add_i32 s3, s3, s4
	s_mul_i32 s2, s12, s6
	s_add_i32 s3, s3, s5
	s_lshl_b64 s[2:3], s[2:3], 3
	s_add_u32 s4, s8, s2
	v_ashrrev_i32_e32 v1, 31, v0
	s_addc_u32 s5, s9, s3
	s_lshl_b64 s[2:3], s[10:11], 3
	v_lshlrev_b64 v[0:1], 3, v[0:1]
	s_add_u32 s2, s4, s2
	s_addc_u32 s3, s5, s3
	s_and_b64 vcc, exec, s[0:1]
	v_mov_b32_e32 v6, s3
	v_add_co_u32_e64 v0, s[0:1], s2, v0
	v_addc_co_u32_e64 v1, s[0:1], v6, v1, s[0:1]
	s_waitcnt vmcnt(0)
	global_store_dwordx2 v[0:1], v[4:5], off
	s_cbranch_vccnz .LBB121_3
; %bb.2:
	global_load_dwordx2 v[0:1], v[2:3], off
	s_branch .LBB121_4
.LBB121_3:
	v_mov_b32_e32 v0, 1.0
	v_mov_b32_e32 v1, 0
.LBB121_4:
	s_waitcnt vmcnt(0)
	global_store_dwordx2 v[2:3], v[0:1], off
.LBB121_5:
	s_endpgm
	.section	.rodata,"a",@progbits
	.p2align	6, 0x0
	.amdhsa_kernel _ZN9rocsolver6v33100L8set_diagI19rocblas_complex_numIfEiS3_PS3_TnNSt9enable_ifIXoont18rocblas_is_complexIT_E18rocblas_is_complexIT1_EEiE4typeELi0EEEvPS7_llT2_lT0_lSC_b
		.amdhsa_group_segment_fixed_size 0
		.amdhsa_private_segment_fixed_size 0
		.amdhsa_kernarg_size 320
		.amdhsa_user_sgpr_count 6
		.amdhsa_user_sgpr_private_segment_buffer 1
		.amdhsa_user_sgpr_dispatch_ptr 0
		.amdhsa_user_sgpr_queue_ptr 0
		.amdhsa_user_sgpr_kernarg_segment_ptr 1
		.amdhsa_user_sgpr_dispatch_id 0
		.amdhsa_user_sgpr_flat_scratch_init 0
		.amdhsa_user_sgpr_private_segment_size 0
		.amdhsa_uses_dynamic_stack 0
		.amdhsa_system_sgpr_private_segment_wavefront_offset 0
		.amdhsa_system_sgpr_workgroup_id_x 1
		.amdhsa_system_sgpr_workgroup_id_y 1
		.amdhsa_system_sgpr_workgroup_id_z 0
		.amdhsa_system_sgpr_workgroup_info 0
		.amdhsa_system_vgpr_workitem_id 1
		.amdhsa_next_free_vgpr 7
		.amdhsa_next_free_sgpr 19
		.amdhsa_reserve_vcc 1
		.amdhsa_reserve_flat_scratch 0
		.amdhsa_float_round_mode_32 0
		.amdhsa_float_round_mode_16_64 0
		.amdhsa_float_denorm_mode_32 3
		.amdhsa_float_denorm_mode_16_64 3
		.amdhsa_dx10_clamp 1
		.amdhsa_ieee_mode 1
		.amdhsa_fp16_overflow 0
		.amdhsa_exception_fp_ieee_invalid_op 0
		.amdhsa_exception_fp_denorm_src 0
		.amdhsa_exception_fp_ieee_div_zero 0
		.amdhsa_exception_fp_ieee_overflow 0
		.amdhsa_exception_fp_ieee_underflow 0
		.amdhsa_exception_fp_ieee_inexact 0
		.amdhsa_exception_int_div_zero 0
	.end_amdhsa_kernel
	.section	.text._ZN9rocsolver6v33100L8set_diagI19rocblas_complex_numIfEiS3_PS3_TnNSt9enable_ifIXoont18rocblas_is_complexIT_E18rocblas_is_complexIT1_EEiE4typeELi0EEEvPS7_llT2_lT0_lSC_b,"axG",@progbits,_ZN9rocsolver6v33100L8set_diagI19rocblas_complex_numIfEiS3_PS3_TnNSt9enable_ifIXoont18rocblas_is_complexIT_E18rocblas_is_complexIT1_EEiE4typeELi0EEEvPS7_llT2_lT0_lSC_b,comdat
.Lfunc_end121:
	.size	_ZN9rocsolver6v33100L8set_diagI19rocblas_complex_numIfEiS3_PS3_TnNSt9enable_ifIXoont18rocblas_is_complexIT_E18rocblas_is_complexIT1_EEiE4typeELi0EEEvPS7_llT2_lT0_lSC_b, .Lfunc_end121-_ZN9rocsolver6v33100L8set_diagI19rocblas_complex_numIfEiS3_PS3_TnNSt9enable_ifIXoont18rocblas_is_complexIT_E18rocblas_is_complexIT1_EEiE4typeELi0EEEvPS7_llT2_lT0_lSC_b
                                        ; -- End function
	.set _ZN9rocsolver6v33100L8set_diagI19rocblas_complex_numIfEiS3_PS3_TnNSt9enable_ifIXoont18rocblas_is_complexIT_E18rocblas_is_complexIT1_EEiE4typeELi0EEEvPS7_llT2_lT0_lSC_b.num_vgpr, 7
	.set _ZN9rocsolver6v33100L8set_diagI19rocblas_complex_numIfEiS3_PS3_TnNSt9enable_ifIXoont18rocblas_is_complexIT_E18rocblas_is_complexIT1_EEiE4typeELi0EEEvPS7_llT2_lT0_lSC_b.num_agpr, 0
	.set _ZN9rocsolver6v33100L8set_diagI19rocblas_complex_numIfEiS3_PS3_TnNSt9enable_ifIXoont18rocblas_is_complexIT_E18rocblas_is_complexIT1_EEiE4typeELi0EEEvPS7_llT2_lT0_lSC_b.numbered_sgpr, 19
	.set _ZN9rocsolver6v33100L8set_diagI19rocblas_complex_numIfEiS3_PS3_TnNSt9enable_ifIXoont18rocblas_is_complexIT_E18rocblas_is_complexIT1_EEiE4typeELi0EEEvPS7_llT2_lT0_lSC_b.num_named_barrier, 0
	.set _ZN9rocsolver6v33100L8set_diagI19rocblas_complex_numIfEiS3_PS3_TnNSt9enable_ifIXoont18rocblas_is_complexIT_E18rocblas_is_complexIT1_EEiE4typeELi0EEEvPS7_llT2_lT0_lSC_b.private_seg_size, 0
	.set _ZN9rocsolver6v33100L8set_diagI19rocblas_complex_numIfEiS3_PS3_TnNSt9enable_ifIXoont18rocblas_is_complexIT_E18rocblas_is_complexIT1_EEiE4typeELi0EEEvPS7_llT2_lT0_lSC_b.uses_vcc, 1
	.set _ZN9rocsolver6v33100L8set_diagI19rocblas_complex_numIfEiS3_PS3_TnNSt9enable_ifIXoont18rocblas_is_complexIT_E18rocblas_is_complexIT1_EEiE4typeELi0EEEvPS7_llT2_lT0_lSC_b.uses_flat_scratch, 0
	.set _ZN9rocsolver6v33100L8set_diagI19rocblas_complex_numIfEiS3_PS3_TnNSt9enable_ifIXoont18rocblas_is_complexIT_E18rocblas_is_complexIT1_EEiE4typeELi0EEEvPS7_llT2_lT0_lSC_b.has_dyn_sized_stack, 0
	.set _ZN9rocsolver6v33100L8set_diagI19rocblas_complex_numIfEiS3_PS3_TnNSt9enable_ifIXoont18rocblas_is_complexIT_E18rocblas_is_complexIT1_EEiE4typeELi0EEEvPS7_llT2_lT0_lSC_b.has_recursion, 0
	.set _ZN9rocsolver6v33100L8set_diagI19rocblas_complex_numIfEiS3_PS3_TnNSt9enable_ifIXoont18rocblas_is_complexIT_E18rocblas_is_complexIT1_EEiE4typeELi0EEEvPS7_llT2_lT0_lSC_b.has_indirect_call, 0
	.section	.AMDGPU.csdata,"",@progbits
; Kernel info:
; codeLenInByte = 316
; TotalNumSgprs: 23
; NumVgprs: 7
; ScratchSize: 0
; MemoryBound: 0
; FloatMode: 240
; IeeeMode: 1
; LDSByteSize: 0 bytes/workgroup (compile time only)
; SGPRBlocks: 2
; VGPRBlocks: 1
; NumSGPRsForWavesPerEU: 23
; NumVGPRsForWavesPerEU: 7
; Occupancy: 10
; WaveLimiterHint : 0
; COMPUTE_PGM_RSRC2:SCRATCH_EN: 0
; COMPUTE_PGM_RSRC2:USER_SGPR: 6
; COMPUTE_PGM_RSRC2:TRAP_HANDLER: 0
; COMPUTE_PGM_RSRC2:TGID_X_EN: 1
; COMPUTE_PGM_RSRC2:TGID_Y_EN: 1
; COMPUTE_PGM_RSRC2:TGID_Z_EN: 0
; COMPUTE_PGM_RSRC2:TIDIG_COMP_CNT: 1
	.section	.text._ZN9rocsolver6v33100L12restore_diagI19rocblas_complex_numIfEiS3_PS3_EEvPT1_llT2_lT0_lS8_,"axG",@progbits,_ZN9rocsolver6v33100L12restore_diagI19rocblas_complex_numIfEiS3_PS3_EEvPT1_llT2_lT0_lS8_,comdat
	.globl	_ZN9rocsolver6v33100L12restore_diagI19rocblas_complex_numIfEiS3_PS3_EEvPT1_llT2_lT0_lS8_ ; -- Begin function _ZN9rocsolver6v33100L12restore_diagI19rocblas_complex_numIfEiS3_PS3_EEvPT1_llT2_lT0_lS8_
	.p2align	8
	.type	_ZN9rocsolver6v33100L12restore_diagI19rocblas_complex_numIfEiS3_PS3_EEvPT1_llT2_lT0_lS8_,@function
_ZN9rocsolver6v33100L12restore_diagI19rocblas_complex_numIfEiS3_PS3_EEvPT1_llT2_lT0_lS8_: ; @_ZN9rocsolver6v33100L12restore_diagI19rocblas_complex_numIfEiS3_PS3_EEvPT1_llT2_lT0_lS8_
; %bb.0:
	s_load_dword s0, s[4:5], 0x4c
	s_load_dword s1, s[4:5], 0x38
	s_waitcnt lgkmcnt(0)
	s_lshr_b32 s0, s0, 16
	s_mul_i32 s7, s7, s0
	v_add_u32_e32 v0, s7, v1
	v_cmp_gt_i32_e32 vcc, s1, v0
	s_and_saveexec_b64 s[0:1], vcc
	s_cbranch_execz .LBB122_2
; %bb.1:
	s_load_dwordx2 s[0:1], s[4:5], 0x30
	s_load_dwordx2 s[2:3], s[4:5], 0x20
	s_load_dword s7, s[4:5], 0x28
	s_load_dwordx8 s[8:15], s[4:5], 0x0
	s_ashr_i32 s4, s6, 31
	s_waitcnt lgkmcnt(0)
	s_mul_hi_u32 s5, s0, s6
	s_mul_i32 s16, s0, s4
	s_add_i32 s5, s5, s16
	s_mul_i32 s1, s1, s6
	s_add_i32 s1, s5, s1
	s_mul_i32 s0, s0, s6
	s_lshl_b64 s[0:1], s[0:1], 3
	s_add_u32 s5, s14, s0
	s_addc_u32 s14, s15, s1
	s_lshl_b64 s[0:1], s[2:3], 3
	s_add_u32 s2, s5, s0
	s_addc_u32 s3, s14, s1
	s_mul_hi_u32 s0, s12, s6
	s_mul_i32 s1, s12, s4
	s_add_i32 s0, s0, s1
	s_mul_i32 s1, s13, s6
	s_add_i32 s1, s0, s1
	s_mul_i32 s0, s12, s6
	s_lshl_b64 s[0:1], s[0:1], 3
	s_add_u32 s4, s8, s0
	s_addc_u32 s5, s9, s1
	s_lshl_b64 s[0:1], s[10:11], 3
	s_add_u32 s4, s4, s0
	s_addc_u32 s5, s5, s1
	v_mad_u64_u32 v[2:3], s[0:1], v0, s7, v[0:1]
	v_ashrrev_i32_e32 v1, 31, v0
	v_lshlrev_b64 v[0:1], 3, v[0:1]
	v_mov_b32_e32 v3, s5
	v_add_co_u32_e32 v0, vcc, s4, v0
	v_addc_co_u32_e32 v1, vcc, v3, v1, vcc
	global_load_dwordx2 v[0:1], v[0:1], off
	v_ashrrev_i32_e32 v3, 31, v2
	v_lshlrev_b64 v[2:3], 3, v[2:3]
	v_mov_b32_e32 v4, s3
	v_add_co_u32_e32 v2, vcc, s2, v2
	v_addc_co_u32_e32 v3, vcc, v4, v3, vcc
	s_waitcnt vmcnt(0)
	global_store_dwordx2 v[2:3], v[0:1], off
.LBB122_2:
	s_endpgm
	.section	.rodata,"a",@progbits
	.p2align	6, 0x0
	.amdhsa_kernel _ZN9rocsolver6v33100L12restore_diagI19rocblas_complex_numIfEiS3_PS3_EEvPT1_llT2_lT0_lS8_
		.amdhsa_group_segment_fixed_size 0
		.amdhsa_private_segment_fixed_size 0
		.amdhsa_kernarg_size 320
		.amdhsa_user_sgpr_count 6
		.amdhsa_user_sgpr_private_segment_buffer 1
		.amdhsa_user_sgpr_dispatch_ptr 0
		.amdhsa_user_sgpr_queue_ptr 0
		.amdhsa_user_sgpr_kernarg_segment_ptr 1
		.amdhsa_user_sgpr_dispatch_id 0
		.amdhsa_user_sgpr_flat_scratch_init 0
		.amdhsa_user_sgpr_private_segment_size 0
		.amdhsa_uses_dynamic_stack 0
		.amdhsa_system_sgpr_private_segment_wavefront_offset 0
		.amdhsa_system_sgpr_workgroup_id_x 1
		.amdhsa_system_sgpr_workgroup_id_y 1
		.amdhsa_system_sgpr_workgroup_id_z 0
		.amdhsa_system_sgpr_workgroup_info 0
		.amdhsa_system_vgpr_workitem_id 1
		.amdhsa_next_free_vgpr 5
		.amdhsa_next_free_sgpr 17
		.amdhsa_reserve_vcc 1
		.amdhsa_reserve_flat_scratch 0
		.amdhsa_float_round_mode_32 0
		.amdhsa_float_round_mode_16_64 0
		.amdhsa_float_denorm_mode_32 3
		.amdhsa_float_denorm_mode_16_64 3
		.amdhsa_dx10_clamp 1
		.amdhsa_ieee_mode 1
		.amdhsa_fp16_overflow 0
		.amdhsa_exception_fp_ieee_invalid_op 0
		.amdhsa_exception_fp_denorm_src 0
		.amdhsa_exception_fp_ieee_div_zero 0
		.amdhsa_exception_fp_ieee_overflow 0
		.amdhsa_exception_fp_ieee_underflow 0
		.amdhsa_exception_fp_ieee_inexact 0
		.amdhsa_exception_int_div_zero 0
	.end_amdhsa_kernel
	.section	.text._ZN9rocsolver6v33100L12restore_diagI19rocblas_complex_numIfEiS3_PS3_EEvPT1_llT2_lT0_lS8_,"axG",@progbits,_ZN9rocsolver6v33100L12restore_diagI19rocblas_complex_numIfEiS3_PS3_EEvPT1_llT2_lT0_lS8_,comdat
.Lfunc_end122:
	.size	_ZN9rocsolver6v33100L12restore_diagI19rocblas_complex_numIfEiS3_PS3_EEvPT1_llT2_lT0_lS8_, .Lfunc_end122-_ZN9rocsolver6v33100L12restore_diagI19rocblas_complex_numIfEiS3_PS3_EEvPT1_llT2_lT0_lS8_
                                        ; -- End function
	.set _ZN9rocsolver6v33100L12restore_diagI19rocblas_complex_numIfEiS3_PS3_EEvPT1_llT2_lT0_lS8_.num_vgpr, 5
	.set _ZN9rocsolver6v33100L12restore_diagI19rocblas_complex_numIfEiS3_PS3_EEvPT1_llT2_lT0_lS8_.num_agpr, 0
	.set _ZN9rocsolver6v33100L12restore_diagI19rocblas_complex_numIfEiS3_PS3_EEvPT1_llT2_lT0_lS8_.numbered_sgpr, 17
	.set _ZN9rocsolver6v33100L12restore_diagI19rocblas_complex_numIfEiS3_PS3_EEvPT1_llT2_lT0_lS8_.num_named_barrier, 0
	.set _ZN9rocsolver6v33100L12restore_diagI19rocblas_complex_numIfEiS3_PS3_EEvPT1_llT2_lT0_lS8_.private_seg_size, 0
	.set _ZN9rocsolver6v33100L12restore_diagI19rocblas_complex_numIfEiS3_PS3_EEvPT1_llT2_lT0_lS8_.uses_vcc, 1
	.set _ZN9rocsolver6v33100L12restore_diagI19rocblas_complex_numIfEiS3_PS3_EEvPT1_llT2_lT0_lS8_.uses_flat_scratch, 0
	.set _ZN9rocsolver6v33100L12restore_diagI19rocblas_complex_numIfEiS3_PS3_EEvPT1_llT2_lT0_lS8_.has_dyn_sized_stack, 0
	.set _ZN9rocsolver6v33100L12restore_diagI19rocblas_complex_numIfEiS3_PS3_EEvPT1_llT2_lT0_lS8_.has_recursion, 0
	.set _ZN9rocsolver6v33100L12restore_diagI19rocblas_complex_numIfEiS3_PS3_EEvPT1_llT2_lT0_lS8_.has_indirect_call, 0
	.section	.AMDGPU.csdata,"",@progbits
; Kernel info:
; codeLenInByte = 260
; TotalNumSgprs: 21
; NumVgprs: 5
; ScratchSize: 0
; MemoryBound: 0
; FloatMode: 240
; IeeeMode: 1
; LDSByteSize: 0 bytes/workgroup (compile time only)
; SGPRBlocks: 2
; VGPRBlocks: 1
; NumSGPRsForWavesPerEU: 21
; NumVGPRsForWavesPerEU: 5
; Occupancy: 10
; WaveLimiterHint : 0
; COMPUTE_PGM_RSRC2:SCRATCH_EN: 0
; COMPUTE_PGM_RSRC2:USER_SGPR: 6
; COMPUTE_PGM_RSRC2:TRAP_HANDLER: 0
; COMPUTE_PGM_RSRC2:TGID_X_EN: 1
; COMPUTE_PGM_RSRC2:TGID_Y_EN: 1
; COMPUTE_PGM_RSRC2:TGID_Z_EN: 0
; COMPUTE_PGM_RSRC2:TIDIG_COMP_CNT: 1
	.section	.text._ZN9rocsolver6v33100L16orgl2_init_identI19rocblas_complex_numIfEPS3_EEviiiT0_iil,"axG",@progbits,_ZN9rocsolver6v33100L16orgl2_init_identI19rocblas_complex_numIfEPS3_EEviiiT0_iil,comdat
	.globl	_ZN9rocsolver6v33100L16orgl2_init_identI19rocblas_complex_numIfEPS3_EEviiiT0_iil ; -- Begin function _ZN9rocsolver6v33100L16orgl2_init_identI19rocblas_complex_numIfEPS3_EEviiiT0_iil
	.p2align	8
	.type	_ZN9rocsolver6v33100L16orgl2_init_identI19rocblas_complex_numIfEPS3_EEviiiT0_iil,@function
_ZN9rocsolver6v33100L16orgl2_init_identI19rocblas_complex_numIfEPS3_EEviiiT0_iil: ; @_ZN9rocsolver6v33100L16orgl2_init_identI19rocblas_complex_numIfEPS3_EEviiiT0_iil
; %bb.0:
	s_load_dword s0, s[4:5], 0x34
	s_load_dwordx4 s[12:15], s[4:5], 0x0
	s_waitcnt lgkmcnt(0)
	s_lshr_b32 s1, s0, 16
	s_and_b32 s0, s0, 0xffff
	s_mul_i32 s7, s7, s1
	s_mul_i32 s6, s6, s0
	v_add_u32_e32 v1, s7, v1
	v_add_u32_e32 v0, s6, v0
	v_cmp_gt_u32_e32 vcc, s12, v0
	v_cmp_gt_u32_e64 s[0:1], s13, v1
	s_and_b64 s[0:1], vcc, s[0:1]
	s_and_saveexec_b64 s[2:3], s[0:1]
	s_cbranch_execz .LBB123_11
; %bb.1:
	s_load_dwordx4 s[0:3], s[4:5], 0x10
	s_load_dwordx2 s[6:7], s[4:5], 0x20
	v_cmp_ne_u32_e32 vcc, v0, v1
	s_waitcnt lgkmcnt(0)
	s_ashr_i32 s5, s2, 31
	s_mov_b32 s4, s2
	s_mul_i32 s2, s7, s8
	s_mul_hi_u32 s7, s6, s8
	s_add_i32 s7, s7, s2
	s_mul_i32 s6, s6, s8
	s_lshl_b64 s[6:7], s[6:7], 3
	s_add_u32 s2, s0, s6
	s_addc_u32 s6, s1, s7
	s_lshl_b64 s[0:1], s[4:5], 3
	s_add_u32 s2, s2, s0
	s_addc_u32 s8, s6, s1
	s_and_saveexec_b64 s[0:1], vcc
	s_xor_b64 s[0:1], exec, s[0:1]
	s_cbranch_execz .LBB123_9
; %bb.2:
	v_cmp_ge_u32_e32 vcc, v1, v0
	s_and_saveexec_b64 s[4:5], vcc
	s_xor_b64 s[4:5], exec, s[4:5]
	s_cbranch_execz .LBB123_6
; %bb.3:
	v_cmp_le_u32_e32 vcc, s14, v0
	s_and_saveexec_b64 s[6:7], vcc
	s_cbranch_execz .LBB123_5
; %bb.4:
	v_mad_u64_u32 v[0:1], s[10:11], v1, s3, v[0:1]
	v_mov_b32_e32 v1, 0
	v_mov_b32_e32 v4, s8
	v_lshlrev_b64 v[2:3], 3, v[0:1]
	v_mov_b32_e32 v0, v1
	v_add_co_u32_e32 v2, vcc, s2, v2
	v_addc_co_u32_e32 v3, vcc, v4, v3, vcc
	global_store_dwordx2 v[2:3], v[0:1], off
.LBB123_5:
	s_or_b64 exec, exec, s[6:7]
                                        ; implicit-def: $vgpr0
                                        ; implicit-def: $vgpr1
.LBB123_6:
	s_andn2_saveexec_b64 s[4:5], s[4:5]
	s_cbranch_execz .LBB123_8
; %bb.7:
	v_mad_u64_u32 v[0:1], s[6:7], v1, s3, v[0:1]
	v_mov_b32_e32 v1, 0
	v_mov_b32_e32 v4, s8
	v_lshlrev_b64 v[2:3], 3, v[0:1]
	v_mov_b32_e32 v0, v1
	v_add_co_u32_e32 v2, vcc, s2, v2
	v_addc_co_u32_e32 v3, vcc, v4, v3, vcc
	global_store_dwordx2 v[2:3], v[0:1], off
.LBB123_8:
	s_or_b64 exec, exec, s[4:5]
                                        ; implicit-def: $vgpr1
.LBB123_9:
	s_andn2_saveexec_b64 s[0:1], s[0:1]
	s_cbranch_execz .LBB123_11
; %bb.10:
	v_mad_u64_u32 v[0:1], s[0:1], v1, s3, v[1:2]
	v_mov_b32_e32 v1, 0
	v_mov_b32_e32 v4, s8
	v_lshlrev_b64 v[2:3], 3, v[0:1]
	v_mov_b32_e32 v0, 1.0
	v_add_co_u32_e32 v2, vcc, s2, v2
	v_addc_co_u32_e32 v3, vcc, v4, v3, vcc
	global_store_dwordx2 v[2:3], v[0:1], off
.LBB123_11:
	s_endpgm
	.section	.rodata,"a",@progbits
	.p2align	6, 0x0
	.amdhsa_kernel _ZN9rocsolver6v33100L16orgl2_init_identI19rocblas_complex_numIfEPS3_EEviiiT0_iil
		.amdhsa_group_segment_fixed_size 0
		.amdhsa_private_segment_fixed_size 0
		.amdhsa_kernarg_size 296
		.amdhsa_user_sgpr_count 6
		.amdhsa_user_sgpr_private_segment_buffer 1
		.amdhsa_user_sgpr_dispatch_ptr 0
		.amdhsa_user_sgpr_queue_ptr 0
		.amdhsa_user_sgpr_kernarg_segment_ptr 1
		.amdhsa_user_sgpr_dispatch_id 0
		.amdhsa_user_sgpr_flat_scratch_init 0
		.amdhsa_user_sgpr_private_segment_size 0
		.amdhsa_uses_dynamic_stack 0
		.amdhsa_system_sgpr_private_segment_wavefront_offset 0
		.amdhsa_system_sgpr_workgroup_id_x 1
		.amdhsa_system_sgpr_workgroup_id_y 1
		.amdhsa_system_sgpr_workgroup_id_z 1
		.amdhsa_system_sgpr_workgroup_info 0
		.amdhsa_system_vgpr_workitem_id 1
		.amdhsa_next_free_vgpr 5
		.amdhsa_next_free_sgpr 16
		.amdhsa_reserve_vcc 1
		.amdhsa_reserve_flat_scratch 0
		.amdhsa_float_round_mode_32 0
		.amdhsa_float_round_mode_16_64 0
		.amdhsa_float_denorm_mode_32 3
		.amdhsa_float_denorm_mode_16_64 3
		.amdhsa_dx10_clamp 1
		.amdhsa_ieee_mode 1
		.amdhsa_fp16_overflow 0
		.amdhsa_exception_fp_ieee_invalid_op 0
		.amdhsa_exception_fp_denorm_src 0
		.amdhsa_exception_fp_ieee_div_zero 0
		.amdhsa_exception_fp_ieee_overflow 0
		.amdhsa_exception_fp_ieee_underflow 0
		.amdhsa_exception_fp_ieee_inexact 0
		.amdhsa_exception_int_div_zero 0
	.end_amdhsa_kernel
	.section	.text._ZN9rocsolver6v33100L16orgl2_init_identI19rocblas_complex_numIfEPS3_EEviiiT0_iil,"axG",@progbits,_ZN9rocsolver6v33100L16orgl2_init_identI19rocblas_complex_numIfEPS3_EEviiiT0_iil,comdat
.Lfunc_end123:
	.size	_ZN9rocsolver6v33100L16orgl2_init_identI19rocblas_complex_numIfEPS3_EEviiiT0_iil, .Lfunc_end123-_ZN9rocsolver6v33100L16orgl2_init_identI19rocblas_complex_numIfEPS3_EEviiiT0_iil
                                        ; -- End function
	.set _ZN9rocsolver6v33100L16orgl2_init_identI19rocblas_complex_numIfEPS3_EEviiiT0_iil.num_vgpr, 5
	.set _ZN9rocsolver6v33100L16orgl2_init_identI19rocblas_complex_numIfEPS3_EEviiiT0_iil.num_agpr, 0
	.set _ZN9rocsolver6v33100L16orgl2_init_identI19rocblas_complex_numIfEPS3_EEviiiT0_iil.numbered_sgpr, 16
	.set _ZN9rocsolver6v33100L16orgl2_init_identI19rocblas_complex_numIfEPS3_EEviiiT0_iil.num_named_barrier, 0
	.set _ZN9rocsolver6v33100L16orgl2_init_identI19rocblas_complex_numIfEPS3_EEviiiT0_iil.private_seg_size, 0
	.set _ZN9rocsolver6v33100L16orgl2_init_identI19rocblas_complex_numIfEPS3_EEviiiT0_iil.uses_vcc, 1
	.set _ZN9rocsolver6v33100L16orgl2_init_identI19rocblas_complex_numIfEPS3_EEviiiT0_iil.uses_flat_scratch, 0
	.set _ZN9rocsolver6v33100L16orgl2_init_identI19rocblas_complex_numIfEPS3_EEviiiT0_iil.has_dyn_sized_stack, 0
	.set _ZN9rocsolver6v33100L16orgl2_init_identI19rocblas_complex_numIfEPS3_EEviiiT0_iil.has_recursion, 0
	.set _ZN9rocsolver6v33100L16orgl2_init_identI19rocblas_complex_numIfEPS3_EEviiiT0_iil.has_indirect_call, 0
	.section	.AMDGPU.csdata,"",@progbits
; Kernel info:
; codeLenInByte = 344
; TotalNumSgprs: 20
; NumVgprs: 5
; ScratchSize: 0
; MemoryBound: 0
; FloatMode: 240
; IeeeMode: 1
; LDSByteSize: 0 bytes/workgroup (compile time only)
; SGPRBlocks: 2
; VGPRBlocks: 1
; NumSGPRsForWavesPerEU: 20
; NumVGPRsForWavesPerEU: 5
; Occupancy: 10
; WaveLimiterHint : 0
; COMPUTE_PGM_RSRC2:SCRATCH_EN: 0
; COMPUTE_PGM_RSRC2:USER_SGPR: 6
; COMPUTE_PGM_RSRC2:TRAP_HANDLER: 0
; COMPUTE_PGM_RSRC2:TGID_X_EN: 1
; COMPUTE_PGM_RSRC2:TGID_Y_EN: 1
; COMPUTE_PGM_RSRC2:TGID_Z_EN: 1
; COMPUTE_PGM_RSRC2:TIDIG_COMP_CNT: 1
	.section	.text._ZN9rocsolver6v33100L6iota_nI19rocblas_complex_numIdEEEvPT_jS4_,"axG",@progbits,_ZN9rocsolver6v33100L6iota_nI19rocblas_complex_numIdEEEvPT_jS4_,comdat
	.globl	_ZN9rocsolver6v33100L6iota_nI19rocblas_complex_numIdEEEvPT_jS4_ ; -- Begin function _ZN9rocsolver6v33100L6iota_nI19rocblas_complex_numIdEEEvPT_jS4_
	.p2align	8
	.type	_ZN9rocsolver6v33100L6iota_nI19rocblas_complex_numIdEEEvPT_jS4_,@function
_ZN9rocsolver6v33100L6iota_nI19rocblas_complex_numIdEEEvPT_jS4_: ; @_ZN9rocsolver6v33100L6iota_nI19rocblas_complex_numIdEEEvPT_jS4_
; %bb.0:
	s_load_dword s0, s[4:5], 0x8
	s_waitcnt lgkmcnt(0)
	v_cmp_gt_u32_e32 vcc, s0, v0
	s_and_saveexec_b64 s[0:1], vcc
	s_cbranch_execz .LBB124_2
; %bb.1:
	s_load_dwordx4 s[0:3], s[4:5], 0x10
	v_cvt_f64_u32_e32 v[1:2], v0
	v_lshlrev_b32_e32 v0, 4, v0
	s_waitcnt lgkmcnt(0)
	v_add_f64 v[1:2], s[0:1], v[1:2]
	v_add_f64 v[3:4], s[2:3], 0
	s_load_dwordx2 s[0:1], s[4:5], 0x0
	s_waitcnt lgkmcnt(0)
	global_store_dwordx4 v0, v[1:4], s[0:1]
.LBB124_2:
	s_endpgm
	.section	.rodata,"a",@progbits
	.p2align	6, 0x0
	.amdhsa_kernel _ZN9rocsolver6v33100L6iota_nI19rocblas_complex_numIdEEEvPT_jS4_
		.amdhsa_group_segment_fixed_size 0
		.amdhsa_private_segment_fixed_size 0
		.amdhsa_kernarg_size 32
		.amdhsa_user_sgpr_count 6
		.amdhsa_user_sgpr_private_segment_buffer 1
		.amdhsa_user_sgpr_dispatch_ptr 0
		.amdhsa_user_sgpr_queue_ptr 0
		.amdhsa_user_sgpr_kernarg_segment_ptr 1
		.amdhsa_user_sgpr_dispatch_id 0
		.amdhsa_user_sgpr_flat_scratch_init 0
		.amdhsa_user_sgpr_private_segment_size 0
		.amdhsa_uses_dynamic_stack 0
		.amdhsa_system_sgpr_private_segment_wavefront_offset 0
		.amdhsa_system_sgpr_workgroup_id_x 1
		.amdhsa_system_sgpr_workgroup_id_y 0
		.amdhsa_system_sgpr_workgroup_id_z 0
		.amdhsa_system_sgpr_workgroup_info 0
		.amdhsa_system_vgpr_workitem_id 0
		.amdhsa_next_free_vgpr 5
		.amdhsa_next_free_sgpr 6
		.amdhsa_reserve_vcc 1
		.amdhsa_reserve_flat_scratch 0
		.amdhsa_float_round_mode_32 0
		.amdhsa_float_round_mode_16_64 0
		.amdhsa_float_denorm_mode_32 3
		.amdhsa_float_denorm_mode_16_64 3
		.amdhsa_dx10_clamp 1
		.amdhsa_ieee_mode 1
		.amdhsa_fp16_overflow 0
		.amdhsa_exception_fp_ieee_invalid_op 0
		.amdhsa_exception_fp_denorm_src 0
		.amdhsa_exception_fp_ieee_div_zero 0
		.amdhsa_exception_fp_ieee_overflow 0
		.amdhsa_exception_fp_ieee_underflow 0
		.amdhsa_exception_fp_ieee_inexact 0
		.amdhsa_exception_int_div_zero 0
	.end_amdhsa_kernel
	.section	.text._ZN9rocsolver6v33100L6iota_nI19rocblas_complex_numIdEEEvPT_jS4_,"axG",@progbits,_ZN9rocsolver6v33100L6iota_nI19rocblas_complex_numIdEEEvPT_jS4_,comdat
.Lfunc_end124:
	.size	_ZN9rocsolver6v33100L6iota_nI19rocblas_complex_numIdEEEvPT_jS4_, .Lfunc_end124-_ZN9rocsolver6v33100L6iota_nI19rocblas_complex_numIdEEEvPT_jS4_
                                        ; -- End function
	.set _ZN9rocsolver6v33100L6iota_nI19rocblas_complex_numIdEEEvPT_jS4_.num_vgpr, 5
	.set _ZN9rocsolver6v33100L6iota_nI19rocblas_complex_numIdEEEvPT_jS4_.num_agpr, 0
	.set _ZN9rocsolver6v33100L6iota_nI19rocblas_complex_numIdEEEvPT_jS4_.numbered_sgpr, 6
	.set _ZN9rocsolver6v33100L6iota_nI19rocblas_complex_numIdEEEvPT_jS4_.num_named_barrier, 0
	.set _ZN9rocsolver6v33100L6iota_nI19rocblas_complex_numIdEEEvPT_jS4_.private_seg_size, 0
	.set _ZN9rocsolver6v33100L6iota_nI19rocblas_complex_numIdEEEvPT_jS4_.uses_vcc, 1
	.set _ZN9rocsolver6v33100L6iota_nI19rocblas_complex_numIdEEEvPT_jS4_.uses_flat_scratch, 0
	.set _ZN9rocsolver6v33100L6iota_nI19rocblas_complex_numIdEEEvPT_jS4_.has_dyn_sized_stack, 0
	.set _ZN9rocsolver6v33100L6iota_nI19rocblas_complex_numIdEEEvPT_jS4_.has_recursion, 0
	.set _ZN9rocsolver6v33100L6iota_nI19rocblas_complex_numIdEEEvPT_jS4_.has_indirect_call, 0
	.section	.AMDGPU.csdata,"",@progbits
; Kernel info:
; codeLenInByte = 84
; TotalNumSgprs: 10
; NumVgprs: 5
; ScratchSize: 0
; MemoryBound: 0
; FloatMode: 240
; IeeeMode: 1
; LDSByteSize: 0 bytes/workgroup (compile time only)
; SGPRBlocks: 1
; VGPRBlocks: 1
; NumSGPRsForWavesPerEU: 10
; NumVGPRsForWavesPerEU: 5
; Occupancy: 10
; WaveLimiterHint : 0
; COMPUTE_PGM_RSRC2:SCRATCH_EN: 0
; COMPUTE_PGM_RSRC2:USER_SGPR: 6
; COMPUTE_PGM_RSRC2:TRAP_HANDLER: 0
; COMPUTE_PGM_RSRC2:TGID_X_EN: 1
; COMPUTE_PGM_RSRC2:TGID_Y_EN: 0
; COMPUTE_PGM_RSRC2:TGID_Z_EN: 0
; COMPUTE_PGM_RSRC2:TIDIG_COMP_CNT: 0
	.section	.text._ZN9rocsolver6v33100L16syev_scalar_caseI19rocblas_complex_numIdEdPS3_TnNSt9enable_ifIX18rocblas_is_complexIT_EEiE4typeELi0EEEv14rocblas_evect_T1_lPT0_li,"axG",@progbits,_ZN9rocsolver6v33100L16syev_scalar_caseI19rocblas_complex_numIdEdPS3_TnNSt9enable_ifIX18rocblas_is_complexIT_EEiE4typeELi0EEEv14rocblas_evect_T1_lPT0_li,comdat
	.globl	_ZN9rocsolver6v33100L16syev_scalar_caseI19rocblas_complex_numIdEdPS3_TnNSt9enable_ifIX18rocblas_is_complexIT_EEiE4typeELi0EEEv14rocblas_evect_T1_lPT0_li ; -- Begin function _ZN9rocsolver6v33100L16syev_scalar_caseI19rocblas_complex_numIdEdPS3_TnNSt9enable_ifIX18rocblas_is_complexIT_EEiE4typeELi0EEEv14rocblas_evect_T1_lPT0_li
	.p2align	8
	.type	_ZN9rocsolver6v33100L16syev_scalar_caseI19rocblas_complex_numIdEdPS3_TnNSt9enable_ifIX18rocblas_is_complexIT_EEiE4typeELi0EEEv14rocblas_evect_T1_lPT0_li,@function
_ZN9rocsolver6v33100L16syev_scalar_caseI19rocblas_complex_numIdEdPS3_TnNSt9enable_ifIX18rocblas_is_complexIT_EEiE4typeELi0EEEv14rocblas_evect_T1_lPT0_li: ; @_ZN9rocsolver6v33100L16syev_scalar_caseI19rocblas_complex_numIdEdPS3_TnNSt9enable_ifIX18rocblas_is_complexIT_EEiE4typeELi0EEEv14rocblas_evect_T1_lPT0_li
; %bb.0:
	s_load_dword s0, s[4:5], 0x3c
	s_load_dword s1, s[4:5], 0x28
	s_waitcnt lgkmcnt(0)
	s_and_b32 s0, s0, 0xffff
	s_mul_i32 s6, s6, s0
	v_add_u32_e32 v2, s6, v0
	v_cmp_gt_i32_e32 vcc, s1, v2
	s_and_saveexec_b64 s[0:1], vcc
	s_cbranch_execz .LBB125_3
; %bb.1:
	s_load_dwordx8 s[8:15], s[4:5], 0x8
	v_ashrrev_i32_e32 v5, 31, v2
	s_waitcnt lgkmcnt(0)
	v_mul_lo_u32 v3, s11, v2
	v_mul_lo_u32 v4, s10, v5
	v_mad_u64_u32 v[0:1], s[0:1], s10, v2, 0
	v_mov_b32_e32 v6, s9
	v_mul_lo_u32 v7, s15, v2
	v_add3_u32 v1, v1, v4, v3
	v_lshlrev_b64 v[0:1], 4, v[0:1]
	v_mul_lo_u32 v8, s14, v5
	v_add_co_u32_e32 v0, vcc, s8, v0
	v_addc_co_u32_e32 v1, vcc, v6, v1, vcc
	global_load_dwordx2 v[3:4], v[0:1], off
	v_mad_u64_u32 v[5:6], s[0:1], s14, v2, 0
	s_load_dword s0, s[4:5], 0x0
	v_mov_b32_e32 v2, s13
	v_add3_u32 v6, v6, v8, v7
	v_lshlrev_b64 v[5:6], 3, v[5:6]
	v_add_co_u32_e32 v5, vcc, s12, v5
	v_addc_co_u32_e32 v6, vcc, v2, v6, vcc
	s_waitcnt lgkmcnt(0)
	s_cmpk_lg_i32 s0, 0xd3
	s_waitcnt vmcnt(0)
	global_store_dwordx2 v[5:6], v[3:4], off
	s_cbranch_scc1 .LBB125_3
; %bb.2:
	v_mov_b32_e32 v2, 0
	v_mov_b32_e32 v3, 0x3ff00000
	;; [unrolled: 1-line block ×4, first 2 shown]
	global_store_dwordx4 v[0:1], v[2:5], off
.LBB125_3:
	s_endpgm
	.section	.rodata,"a",@progbits
	.p2align	6, 0x0
	.amdhsa_kernel _ZN9rocsolver6v33100L16syev_scalar_caseI19rocblas_complex_numIdEdPS3_TnNSt9enable_ifIX18rocblas_is_complexIT_EEiE4typeELi0EEEv14rocblas_evect_T1_lPT0_li
		.amdhsa_group_segment_fixed_size 0
		.amdhsa_private_segment_fixed_size 0
		.amdhsa_kernarg_size 304
		.amdhsa_user_sgpr_count 6
		.amdhsa_user_sgpr_private_segment_buffer 1
		.amdhsa_user_sgpr_dispatch_ptr 0
		.amdhsa_user_sgpr_queue_ptr 0
		.amdhsa_user_sgpr_kernarg_segment_ptr 1
		.amdhsa_user_sgpr_dispatch_id 0
		.amdhsa_user_sgpr_flat_scratch_init 0
		.amdhsa_user_sgpr_private_segment_size 0
		.amdhsa_uses_dynamic_stack 0
		.amdhsa_system_sgpr_private_segment_wavefront_offset 0
		.amdhsa_system_sgpr_workgroup_id_x 1
		.amdhsa_system_sgpr_workgroup_id_y 0
		.amdhsa_system_sgpr_workgroup_id_z 0
		.amdhsa_system_sgpr_workgroup_info 0
		.amdhsa_system_vgpr_workitem_id 0
		.amdhsa_next_free_vgpr 9
		.amdhsa_next_free_sgpr 16
		.amdhsa_reserve_vcc 1
		.amdhsa_reserve_flat_scratch 0
		.amdhsa_float_round_mode_32 0
		.amdhsa_float_round_mode_16_64 0
		.amdhsa_float_denorm_mode_32 3
		.amdhsa_float_denorm_mode_16_64 3
		.amdhsa_dx10_clamp 1
		.amdhsa_ieee_mode 1
		.amdhsa_fp16_overflow 0
		.amdhsa_exception_fp_ieee_invalid_op 0
		.amdhsa_exception_fp_denorm_src 0
		.amdhsa_exception_fp_ieee_div_zero 0
		.amdhsa_exception_fp_ieee_overflow 0
		.amdhsa_exception_fp_ieee_underflow 0
		.amdhsa_exception_fp_ieee_inexact 0
		.amdhsa_exception_int_div_zero 0
	.end_amdhsa_kernel
	.section	.text._ZN9rocsolver6v33100L16syev_scalar_caseI19rocblas_complex_numIdEdPS3_TnNSt9enable_ifIX18rocblas_is_complexIT_EEiE4typeELi0EEEv14rocblas_evect_T1_lPT0_li,"axG",@progbits,_ZN9rocsolver6v33100L16syev_scalar_caseI19rocblas_complex_numIdEdPS3_TnNSt9enable_ifIX18rocblas_is_complexIT_EEiE4typeELi0EEEv14rocblas_evect_T1_lPT0_li,comdat
.Lfunc_end125:
	.size	_ZN9rocsolver6v33100L16syev_scalar_caseI19rocblas_complex_numIdEdPS3_TnNSt9enable_ifIX18rocblas_is_complexIT_EEiE4typeELi0EEEv14rocblas_evect_T1_lPT0_li, .Lfunc_end125-_ZN9rocsolver6v33100L16syev_scalar_caseI19rocblas_complex_numIdEdPS3_TnNSt9enable_ifIX18rocblas_is_complexIT_EEiE4typeELi0EEEv14rocblas_evect_T1_lPT0_li
                                        ; -- End function
	.set _ZN9rocsolver6v33100L16syev_scalar_caseI19rocblas_complex_numIdEdPS3_TnNSt9enable_ifIX18rocblas_is_complexIT_EEiE4typeELi0EEEv14rocblas_evect_T1_lPT0_li.num_vgpr, 9
	.set _ZN9rocsolver6v33100L16syev_scalar_caseI19rocblas_complex_numIdEdPS3_TnNSt9enable_ifIX18rocblas_is_complexIT_EEiE4typeELi0EEEv14rocblas_evect_T1_lPT0_li.num_agpr, 0
	.set _ZN9rocsolver6v33100L16syev_scalar_caseI19rocblas_complex_numIdEdPS3_TnNSt9enable_ifIX18rocblas_is_complexIT_EEiE4typeELi0EEEv14rocblas_evect_T1_lPT0_li.numbered_sgpr, 16
	.set _ZN9rocsolver6v33100L16syev_scalar_caseI19rocblas_complex_numIdEdPS3_TnNSt9enable_ifIX18rocblas_is_complexIT_EEiE4typeELi0EEEv14rocblas_evect_T1_lPT0_li.num_named_barrier, 0
	.set _ZN9rocsolver6v33100L16syev_scalar_caseI19rocblas_complex_numIdEdPS3_TnNSt9enable_ifIX18rocblas_is_complexIT_EEiE4typeELi0EEEv14rocblas_evect_T1_lPT0_li.private_seg_size, 0
	.set _ZN9rocsolver6v33100L16syev_scalar_caseI19rocblas_complex_numIdEdPS3_TnNSt9enable_ifIX18rocblas_is_complexIT_EEiE4typeELi0EEEv14rocblas_evect_T1_lPT0_li.uses_vcc, 1
	.set _ZN9rocsolver6v33100L16syev_scalar_caseI19rocblas_complex_numIdEdPS3_TnNSt9enable_ifIX18rocblas_is_complexIT_EEiE4typeELi0EEEv14rocblas_evect_T1_lPT0_li.uses_flat_scratch, 0
	.set _ZN9rocsolver6v33100L16syev_scalar_caseI19rocblas_complex_numIdEdPS3_TnNSt9enable_ifIX18rocblas_is_complexIT_EEiE4typeELi0EEEv14rocblas_evect_T1_lPT0_li.has_dyn_sized_stack, 0
	.set _ZN9rocsolver6v33100L16syev_scalar_caseI19rocblas_complex_numIdEdPS3_TnNSt9enable_ifIX18rocblas_is_complexIT_EEiE4typeELi0EEEv14rocblas_evect_T1_lPT0_li.has_recursion, 0
	.set _ZN9rocsolver6v33100L16syev_scalar_caseI19rocblas_complex_numIdEdPS3_TnNSt9enable_ifIX18rocblas_is_complexIT_EEiE4typeELi0EEEv14rocblas_evect_T1_lPT0_li.has_indirect_call, 0
	.section	.AMDGPU.csdata,"",@progbits
; Kernel info:
; codeLenInByte = 240
; TotalNumSgprs: 20
; NumVgprs: 9
; ScratchSize: 0
; MemoryBound: 0
; FloatMode: 240
; IeeeMode: 1
; LDSByteSize: 0 bytes/workgroup (compile time only)
; SGPRBlocks: 2
; VGPRBlocks: 2
; NumSGPRsForWavesPerEU: 20
; NumVGPRsForWavesPerEU: 9
; Occupancy: 10
; WaveLimiterHint : 0
; COMPUTE_PGM_RSRC2:SCRATCH_EN: 0
; COMPUTE_PGM_RSRC2:USER_SGPR: 6
; COMPUTE_PGM_RSRC2:TRAP_HANDLER: 0
; COMPUTE_PGM_RSRC2:TGID_X_EN: 1
; COMPUTE_PGM_RSRC2:TGID_Y_EN: 0
; COMPUTE_PGM_RSRC2:TGID_Z_EN: 0
; COMPUTE_PGM_RSRC2:TIDIG_COMP_CNT: 0
	.section	.text._ZN9rocsolver6v33100L18syevj_small_kernelI19rocblas_complex_numIdEdPS3_EEv14rocblas_esort_14rocblas_evect_13rocblas_fill_iT1_iilT0_S9_PS9_iPiSA_lSB_PT_,"axG",@progbits,_ZN9rocsolver6v33100L18syevj_small_kernelI19rocblas_complex_numIdEdPS3_EEv14rocblas_esort_14rocblas_evect_13rocblas_fill_iT1_iilT0_S9_PS9_iPiSA_lSB_PT_,comdat
	.globl	_ZN9rocsolver6v33100L18syevj_small_kernelI19rocblas_complex_numIdEdPS3_EEv14rocblas_esort_14rocblas_evect_13rocblas_fill_iT1_iilT0_S9_PS9_iPiSA_lSB_PT_ ; -- Begin function _ZN9rocsolver6v33100L18syevj_small_kernelI19rocblas_complex_numIdEdPS3_EEv14rocblas_esort_14rocblas_evect_13rocblas_fill_iT1_iilT0_S9_PS9_iPiSA_lSB_PT_
	.p2align	8
	.type	_ZN9rocsolver6v33100L18syevj_small_kernelI19rocblas_complex_numIdEdPS3_EEv14rocblas_esort_14rocblas_evect_13rocblas_fill_iT1_iilT0_S9_PS9_iPiSA_lSB_PT_,@function
_ZN9rocsolver6v33100L18syevj_small_kernelI19rocblas_complex_numIdEdPS3_EEv14rocblas_esort_14rocblas_evect_13rocblas_fill_iT1_iilT0_S9_PS9_iPiSA_lSB_PT_: ; @_ZN9rocsolver6v33100L18syevj_small_kernelI19rocblas_complex_numIdEdPS3_EEv14rocblas_esort_14rocblas_evect_13rocblas_fill_iT1_iilT0_S9_PS9_iPiSA_lSB_PT_
; %bb.0:
	s_load_dwordx8 s[20:27], s[4:5], 0x0
	s_load_dwordx8 s[12:19], s[4:5], 0x20
	s_load_dwordx2 s[66:67], s[4:5], 0x68
	s_add_u32 s0, s0, s8
	s_addc_u32 s1, s1, 0
	s_waitcnt lgkmcnt(0)
	s_lshr_b32 s6, s23, 31
	s_add_i32 s6, s23, s6
	s_mov_b32 s50, s7
	s_and_b32 s6, s6, -2
	s_sub_i32 s64, s23, s6
	s_ashr_i32 s51, s50, 31
	s_add_i32 s64, s64, s23
	s_mul_hi_u32 s8, s12, s50
	s_mul_i32 s9, s12, s51
	s_lshr_b32 s6, s64, 31
	s_add_i32 s8, s8, s9
	s_mul_i32 s9, s13, s50
	s_add_i32 s6, s64, s6
	s_add_i32 s9, s8, s9
	s_mul_i32 s8, s12, s50
	s_ashr_i32 s44, s6, 1
	s_ashr_i32 s7, s26, 31
	s_lshl_b64 s[8:9], s[8:9], 4
	s_mov_b32 s6, s26
	s_add_u32 s10, s24, s8
	s_addc_u32 s11, s25, s9
	s_lshl_b64 s[28:29], s[6:7], 4
	s_mul_i32 s6, s23, s50
	s_add_u32 s34, s10, s28
	s_mul_i32 s6, s6, s23
	s_addc_u32 s35, s11, s29
	s_ashr_i32 s7, s6, 31
	s_lshl_b64 s[68:69], s[6:7], 4
	s_add_u32 s48, s66, s68
	s_addc_u32 s49, s67, s69
	s_min_i32 s33, s44, 0x100
	s_abs_i32 s6, s33
	v_cvt_f32_u32_e32 v1, s6
	s_sub_i32 s7, 0, s6
	s_ashr_i32 s65, s33, 31
	s_load_dwordx8 s[36:43], s[4:5], 0x48
	v_rcp_iflag_f32_e32 v1, v1
	v_mul_f32_e32 v1, 0x4f7ffffe, v1
	v_cvt_u32_f32_e32 v1, v1
	v_readfirstlane_b32 s10, v1
	s_mul_i32 s7, s7, s10
	s_mul_hi_u32 s7, s10, s7
	s_add_i32 s10, s10, s7
	v_mul_hi_u32 v1, v0, s10
	s_lshr_b32 s7, s10, 22
	s_mul_i32 s11, s7, s6
	s_sub_i32 s11, 0x400, s11
	v_mul_lo_u32 v2, v1, s6
	v_add_u32_e32 v3, 1, v1
	s_add_i32 s12, s7, 1
	s_sub_i32 s13, s11, s6
	v_sub_u32_e32 v2, v0, v2
	v_cmp_le_u32_e32 vcc, s6, v2
	v_cndmask_b32_e32 v1, v1, v3, vcc
	v_subrev_u32_e32 v3, s6, v2
	v_cndmask_b32_e32 v2, v2, v3, vcc
	s_cmp_ge_u32 s11, s6
	v_add_u32_e32 v3, 1, v1
	v_cmp_le_u32_e32 vcc, s6, v2
	s_cselect_b32 s7, s12, s7
	v_cndmask_b32_e32 v1, v1, v3, vcc
	s_cselect_b32 s10, s13, s11
	s_add_i32 s11, s7, 1
	v_xor_b32_e32 v30, s65, v1
	s_cmp_ge_u32 s10, s6
	v_subrev_u32_e32 v13, s65, v30
	s_cselect_b32 s7, s11, s7
	v_mul_lo_u32 v29, v13, s33
	s_xor_b32 s7, s7, s65
	s_sub_i32 s46, s7, s65
	s_min_i32 s26, s44, s46
	s_lshl_b32 s71, s26, 3
	v_sub_u32_e32 v33, v0, v29
	s_add_i32 s70, s71, 0
	v_cmp_eq_u32_e64 s[12:13], 0, v33
	s_and_saveexec_b64 s[52:53], s[12:13]
	s_cbranch_execz .LBB126_32
; %bb.1:
	s_cmpk_eq_i32 s22, 0x79
	v_cmp_gt_i32_e64 s[6:7], s23, v13
	s_cbranch_scc1 .LBB126_13
; %bb.2:
	v_mov_b32_e32 v14, 0
	v_mov_b32_e32 v16, 0
	;; [unrolled: 1-line block ×4, first 2 shown]
	s_and_saveexec_b64 s[10:11], s[6:7]
	s_cbranch_execz .LBB126_15
; %bb.3:
	s_cmpk_lg_i32 s21, 0xd5
	s_cselect_b64 s[30:31], -1, 0
	s_add_u32 s8, s8, s28
	s_addc_u32 s9, s9, s29
	v_ashrrev_i32_e32 v14, 31, v13
	v_lshlrev_b64 v[1:2], 4, v[13:14]
	s_add_u32 s8, s24, s8
	s_addc_u32 s9, s25, s9
	v_mov_b32_e32 v3, s9
	v_add_co_u32_e32 v5, vcc, s8, v1
	v_addc_co_u32_e32 v6, vcc, v3, v2, vcc
	s_ashr_i32 s47, s46, 31
	v_mov_b32_e32 v3, s46
	s_ashr_i32 s45, s44, 31
	v_mov_b32_e32 v4, s47
	v_cmp_lt_i64_e32 vcc, s[44:45], v[3:4]
	v_add_co_u32_e64 v18, s[8:9], 8, v5
	v_addc_co_u32_e64 v19, s[8:9], 0, v6, s[8:9]
	s_and_b64 s[8:9], vcc, exec
	s_cselect_b32 s9, s45, s47
	s_cselect_b32 s8, s44, s46
	s_lshl_b64 s[24:25], s[8:9], 4
	s_ashr_i32 s9, s27, 31
	s_mov_b32 s8, s27
	s_lshl_b64 s[54:55], s[8:9], 4
	s_add_u32 s8, s66, s68
	s_addc_u32 s9, s67, s69
	v_mul_lo_u32 v31, s27, v13
	v_mul_lo_u32 v20, s23, v13
	v_mov_b32_e32 v3, s9
	v_add_co_u32_e32 v1, vcc, s8, v1
	s_add_u32 s45, s8, 8
	v_addc_co_u32_e32 v2, vcc, v3, v2, vcc
	s_addc_u32 s47, s9, 0
	v_add_co_u32_e32 v22, vcc, 8, v1
	s_ashr_i32 s9, s23, 31
	s_mov_b32 s8, s23
	v_mov_b32_e32 v14, 0
	v_cndmask_b32_e64 v1, 0, 1, s[30:31]
	v_mov_b32_e32 v16, 0
	s_mul_i32 s22, s27, s26
	s_mul_i32 s72, s23, s26
	v_addc_co_u32_e32 v23, vcc, 0, v2, vcc
	s_lshl_b64 s[56:57], s[8:9], 4
	v_mov_b32_e32 v15, 0
	s_mov_b64 s[58:59], 0
	v_mov_b32_e32 v32, s35
	v_mov_b32_e32 v34, s49
	v_cmp_ne_u32_e64 s[8:9], 1, v1
	s_mov_b32 s28, 0
	v_mov_b32_e32 v1, 0
	v_mov_b32_e32 v2, 0x3ff00000
	;; [unrolled: 1-line block ×4, first 2 shown]
	s_branch .LBB126_6
.LBB126_4:                              ;   in Loop: Header=BB126_6 Depth=1
	s_or_b64 exec, exec, s[62:63]
.LBB126_5:                              ;   in Loop: Header=BB126_6 Depth=1
	s_or_b64 exec, exec, s[60:61]
	v_mul_f64 v[3:4], v[7:8], v[7:8]
	v_add_co_u32_e32 v18, vcc, s24, v18
	v_add_u32_e32 v24, s26, v24
	v_add_u32_e32 v31, s22, v31
	;; [unrolled: 1-line block ×3, first 2 shown]
	v_fma_f64 v[3:4], v[5:6], v[5:6], v[3:4]
	v_mov_b32_e32 v5, s25
	v_addc_co_u32_e32 v19, vcc, v19, v5, vcc
	v_cmp_le_i32_e32 vcc, s23, v24
	s_or_b64 s[58:59], vcc, s[58:59]
	v_add_co_u32_e32 v22, vcc, s24, v22
	v_add_f64 v[16:17], v[16:17], v[3:4]
	v_addc_co_u32_e32 v23, vcc, v23, v5, vcc
	s_andn2_b64 exec, exec, s[58:59]
	s_cbranch_execz .LBB126_14
.LBB126_6:                              ; =>This Loop Header: Depth=1
                                        ;     Child Loop BB126_11 Depth 2
	v_mad_u64_u32 v[3:4], s[30:31], v24, s27, v[24:25]
	v_ashrrev_i32_e32 v4, 31, v3
	v_lshlrev_b64 v[3:4], 4, v[3:4]
	v_add_co_u32_e32 v9, vcc, s34, v3
	v_addc_co_u32_e32 v10, vcc, v32, v4, vcc
	global_load_dwordx4 v[5:8], v[9:10], off
	v_mad_u64_u32 v[3:4], s[30:31], v24, s23, v[24:25]
	v_ashrrev_i32_e32 v4, 31, v3
	v_lshlrev_b64 v[3:4], 4, v[3:4]
	v_add_co_u32_e32 v3, vcc, s48, v3
	v_addc_co_u32_e32 v4, vcc, v34, v4, vcc
	s_and_b64 vcc, exec, s[8:9]
	s_waitcnt vmcnt(0)
	global_store_dwordx4 v[3:4], v[5:8], off
	s_cbranch_vccnz .LBB126_8
; %bb.7:                                ;   in Loop: Header=BB126_6 Depth=1
	v_mov_b32_e32 v3, v1
	v_mov_b32_e32 v4, v1
	global_store_dwordx4 v[9:10], v[1:4], off
.LBB126_8:                              ;   in Loop: Header=BB126_6 Depth=1
	v_cmp_lt_i32_e32 vcc, 0, v24
	s_and_saveexec_b64 s[60:61], vcc
	s_cbranch_execz .LBB126_5
; %bb.9:                                ;   in Loop: Header=BB126_6 Depth=1
	v_ashrrev_i32_e32 v21, 31, v20
	v_lshlrev_b64 v[3:4], 4, v[20:21]
	v_mov_b32_e32 v9, s47
	v_add_co_u32_e32 v3, vcc, s45, v3
	v_mov_b32_e32 v26, v23
	v_mov_b32_e32 v28, v19
	v_addc_co_u32_e32 v4, vcc, v9, v4, vcc
	s_mov_b32 s73, 0
	s_mov_b64 s[62:63], 0
	v_mov_b32_e32 v25, v22
	v_mov_b32_e32 v27, v18
	s_branch .LBB126_11
.LBB126_10:                             ;   in Loop: Header=BB126_11 Depth=2
	v_mul_f64 v[11:12], v[11:12], v[11:12]
	v_add_co_u32_e32 v27, vcc, s54, v27
	s_add_i32 s73, s73, 1
	v_fma_f64 v[9:10], v[9:10], v[9:10], v[11:12]
	v_mov_b32_e32 v11, s55
	v_addc_co_u32_e32 v28, vcc, v28, v11, vcc
	v_add_co_u32_e32 v3, vcc, 16, v3
	v_addc_co_u32_e32 v4, vcc, 0, v4, vcc
	v_fma_f64 v[14:15], v[9:10], 2.0, v[14:15]
	v_cmp_eq_u32_e32 vcc, s73, v24
	v_mov_b32_e32 v9, s57
	s_or_b64 s[62:63], vcc, s[62:63]
	v_add_co_u32_e32 v25, vcc, s56, v25
	v_addc_co_u32_e32 v26, vcc, v26, v9, vcc
	s_andn2_b64 exec, exec, s[62:63]
	s_cbranch_execz .LBB126_4
.LBB126_11:                             ;   Parent Loop BB126_6 Depth=1
                                        ; =>  This Inner Loop Header: Depth=2
	global_load_dwordx4 v[9:12], v[27:28], off offset:-8
	s_and_b64 vcc, exec, s[8:9]
	s_waitcnt vmcnt(0)
	v_xor_b32_e32 v21, 0x80000000, v12
	v_mov_b32_e32 v38, v12
	v_mov_b32_e32 v37, v11
	v_mov_b32_e32 v36, v10
	v_mov_b32_e32 v35, v9
	v_mov_b32_e32 v38, v21
	global_store_dwordx4 v[25:26], v[9:12], off offset:-8
	global_store_dwordx4 v[3:4], v[35:38], off offset:-8
	s_cbranch_vccnz .LBB126_10
; %bb.12:                               ;   in Loop: Header=BB126_11 Depth=2
	v_add_u32_e32 v35, s73, v31
	v_ashrrev_i32_e32 v36, 31, v35
	v_lshlrev_b64 v[35:36], 4, v[35:36]
	v_mov_b32_e32 v21, s35
	v_add_co_u32_e32 v39, vcc, s34, v35
	s_mov_b32 s31, s28
	v_addc_co_u32_e32 v40, vcc, v21, v36, vcc
	s_mov_b32 s29, s28
	s_mov_b32 s30, s28
	v_mov_b32_e32 v38, s31
	v_mov_b32_e32 v37, s30
	;; [unrolled: 1-line block ×4, first 2 shown]
	global_store_dwordx4 v[27:28], v[35:38], off offset:-8
	global_store_dwordx4 v[39:40], v[35:38], off
	s_branch .LBB126_10
.LBB126_13:
                                        ; implicit-def: $vgpr14_vgpr15
                                        ; implicit-def: $vgpr16_vgpr17
	s_branch .LBB126_16
.LBB126_14:
	s_or_b64 exec, exec, s[58:59]
.LBB126_15:
	s_or_b64 exec, exec, s[10:11]
	s_cbranch_execnz .LBB126_29
.LBB126_16:
	v_mov_b32_e32 v14, 0
	v_mov_b32_e32 v16, 0
	v_mov_b32_e32 v15, 0
	v_mov_b32_e32 v17, 0
	s_and_saveexec_b64 s[24:25], s[6:7]
	s_cbranch_execz .LBB126_28
; %bb.17:
	s_cmpk_lg_i32 s21, 0xd5
	s_cselect_b64 s[6:7], -1, 0
	s_add_i32 s22, s23, -1
	s_mul_i32 s8, s27, s22
	v_add_u32_e32 v1, s8, v30
	v_subrev_u32_e32 v27, s65, v1
	v_mul_lo_u32 v1, s23, v13
	s_add_u32 s8, s66, s68
	s_addc_u32 s9, s67, s69
	v_mul_lo_u32 v26, s27, v13
	s_add_u32 s47, s8, 8
	s_mul_i32 s8, s23, s22
	v_add_u32_e32 v18, s22, v1
	v_add_u32_e32 v1, s8, v30
	v_subrev_u32_e32 v28, s65, v1
	v_mov_b32_e32 v14, 0
	v_cndmask_b32_e64 v1, 0, 1, s[6:7]
	v_mov_b32_e32 v16, 0
	s_mul_i32 s45, s27, s26
	s_addc_u32 s56, s9, 0
	s_mul_i32 s57, s23, s26
	v_mov_b32_e32 v15, 0
	s_mov_b64 s[28:29], 0
	v_mov_b32_e32 v31, s35
	v_mov_b32_e32 v32, s49
	v_cmp_ne_u32_e64 s[6:7], 1, v1
	s_mov_b32 s8, 0
	v_mov_b32_e32 v1, 0
	v_mov_b32_e32 v2, 0x3ff00000
	;; [unrolled: 1-line block ×4, first 2 shown]
	s_branch .LBB126_20
.LBB126_18:                             ;   in Loop: Header=BB126_20 Depth=1
	s_or_b64 exec, exec, s[54:55]
.LBB126_19:                             ;   in Loop: Header=BB126_20 Depth=1
	s_or_b64 exec, exec, s[30:31]
	v_mul_f64 v[3:4], v[7:8], v[7:8]
	v_add_u32_e32 v20, s26, v20
	v_cmp_le_i32_e32 vcc, s23, v20
	v_add_u32_e32 v26, s45, v26
	v_add_u32_e32 v27, s26, v27
	;; [unrolled: 1-line block ×3, first 2 shown]
	s_or_b64 s[28:29], vcc, s[28:29]
	v_add_u32_e32 v28, s26, v28
	v_fma_f64 v[3:4], v[5:6], v[5:6], v[3:4]
	v_add_f64 v[16:17], v[16:17], v[3:4]
	s_andn2_b64 exec, exec, s[28:29]
	s_cbranch_execz .LBB126_27
.LBB126_20:                             ; =>This Loop Header: Depth=1
                                        ;     Child Loop BB126_25 Depth 2
	v_mad_u64_u32 v[3:4], s[10:11], v20, s27, v[20:21]
	v_ashrrev_i32_e32 v4, 31, v3
	v_lshlrev_b64 v[3:4], 4, v[3:4]
	v_add_co_u32_e32 v9, vcc, s34, v3
	v_addc_co_u32_e32 v10, vcc, v31, v4, vcc
	global_load_dwordx4 v[5:8], v[9:10], off
	v_mad_u64_u32 v[3:4], s[10:11], v20, s23, v[20:21]
	v_ashrrev_i32_e32 v4, 31, v3
	v_lshlrev_b64 v[3:4], 4, v[3:4]
	v_add_co_u32_e32 v3, vcc, s48, v3
	v_addc_co_u32_e32 v4, vcc, v32, v4, vcc
	s_and_b64 vcc, exec, s[6:7]
	s_waitcnt vmcnt(0)
	global_store_dwordx4 v[3:4], v[5:8], off
	s_cbranch_vccnz .LBB126_22
; %bb.21:                               ;   in Loop: Header=BB126_20 Depth=1
	v_mov_b32_e32 v3, v1
	v_mov_b32_e32 v4, v1
	global_store_dwordx4 v[9:10], v[1:4], off
.LBB126_22:                             ;   in Loop: Header=BB126_20 Depth=1
	v_cmp_gt_i32_e32 vcc, s22, v20
	s_and_saveexec_b64 s[30:31], vcc
	s_cbranch_execz .LBB126_19
; %bb.23:                               ;   in Loop: Header=BB126_20 Depth=1
	v_ashrrev_i32_e32 v19, 31, v18
	v_lshlrev_b64 v[3:4], 4, v[18:19]
	v_mov_b32_e32 v9, s56
	v_add_co_u32_e32 v3, vcc, s47, v3
	v_addc_co_u32_e32 v4, vcc, v9, v4, vcc
	s_mov_b64 s[54:55], 0
	v_mov_b32_e32 v21, v28
	v_mov_b32_e32 v23, v27
	s_mov_b32 s58, s22
	s_branch .LBB126_25
.LBB126_24:                             ;   in Loop: Header=BB126_25 Depth=2
	v_mul_f64 v[11:12], v[11:12], v[11:12]
	v_add_co_u32_e32 v3, vcc, -16, v3
	s_add_i32 s58, s58, -1
	v_addc_co_u32_e32 v4, vcc, -1, v4, vcc
	v_cmp_le_i32_e32 vcc, s58, v20
	v_subrev_u32_e32 v23, s27, v23
	v_fma_f64 v[9:10], v[9:10], v[9:10], v[11:12]
	s_or_b64 s[54:55], vcc, s[54:55]
	v_subrev_u32_e32 v21, s23, v21
	v_fma_f64 v[14:15], v[9:10], 2.0, v[14:15]
	s_andn2_b64 exec, exec, s[54:55]
	s_cbranch_execz .LBB126_18
.LBB126_25:                             ;   Parent Loop BB126_20 Depth=1
                                        ; =>  This Inner Loop Header: Depth=2
	v_ashrrev_i32_e32 v24, 31, v23
	v_lshlrev_b64 v[9:10], 4, v[23:24]
	v_mov_b32_e32 v11, s35
	v_add_co_u32_e32 v24, vcc, s34, v9
	v_addc_co_u32_e32 v25, vcc, v11, v10, vcc
	global_load_dwordx4 v[9:12], v[24:25], off
	v_ashrrev_i32_e32 v22, 31, v21
	v_lshlrev_b64 v[34:35], 4, v[21:22]
	v_mov_b32_e32 v19, s49
	v_add_co_u32_e32 v34, vcc, s48, v34
	v_addc_co_u32_e32 v35, vcc, v19, v35, vcc
	s_and_b64 vcc, exec, s[6:7]
	s_waitcnt vmcnt(0)
	global_store_dwordx4 v[34:35], v[9:12], off
	v_xor_b32_e32 v19, 0x80000000, v12
	v_mov_b32_e32 v37, v12
	v_mov_b32_e32 v36, v11
	;; [unrolled: 1-line block ×5, first 2 shown]
	global_store_dwordx4 v[3:4], v[34:37], off offset:-8
	s_cbranch_vccnz .LBB126_24
; %bb.26:                               ;   in Loop: Header=BB126_25 Depth=2
	v_add_u32_e32 v34, s58, v26
	v_ashrrev_i32_e32 v35, 31, v34
	v_lshlrev_b64 v[34:35], 4, v[34:35]
	v_mov_b32_e32 v19, s35
	v_add_co_u32_e32 v38, vcc, s34, v34
	s_mov_b32 s11, s8
	v_addc_co_u32_e32 v39, vcc, v19, v35, vcc
	s_mov_b32 s9, s8
	s_mov_b32 s10, s8
	v_mov_b32_e32 v37, s11
	v_mov_b32_e32 v36, s10
	;; [unrolled: 1-line block ×4, first 2 shown]
	global_store_dwordx4 v[24:25], v[34:37], off
	global_store_dwordx4 v[38:39], v[34:37], off
	s_branch .LBB126_24
.LBB126_27:
	s_or_b64 exec, exec, s[28:29]
.LBB126_28:
	s_or_b64 exec, exec, s[24:25]
.LBB126_29:
	v_lshl_add_u32 v1, v13, 3, 0
	ds_write_b64 v1, v[14:15]
	v_mov_b32_e32 v1, 0
	v_lshl_add_u32 v3, v13, 4, s70
	v_mov_b32_e32 v2, v1
	v_cmp_gt_i32_e32 vcc, s44, v13
	ds_write2_b64 v3, v[16:17], v[1:2] offset1:1
	s_and_b64 exec, exec, vcc
	s_cbranch_execz .LBB126_32
; %bb.30:
	s_mul_i32 s6, s26, 24
	v_lshl_add_u32 v1, v30, 2, s6
	s_lshl_b32 s6, s65, 2
	v_subrev_u32_e32 v1, s6, v1
	v_lshlrev_b32_e32 v2, 1, v30
	s_lshl_b32 s6, s65, 1
	s_lshl_b32 s8, s44, 2
	v_add_u32_e32 v1, 0, v1
	s_lshl_b32 s9, s26, 2
	v_subrev_u32_e32 v2, s6, v2
	s_lshl_b32 s10, s26, 1
	s_mov_b64 s[6:7], 0
	v_mov_b32_e32 v3, v13
.LBB126_31:                             ; =>This Inner Loop Header: Depth=1
	v_add_u32_e32 v3, s26, v3
	v_cmp_le_i32_e32 vcc, s44, v3
	ds_write_b32 v1, v2
	v_add_u32_e32 v4, 1, v2
	v_add_u32_e32 v5, s8, v1
	v_add_u32_e32 v1, s9, v1
	v_add_u32_e32 v2, s10, v2
	s_or_b64 s[6:7], vcc, s[6:7]
	ds_write_b32 v5, v4
	s_andn2_b64 exec, exec, s[6:7]
	s_cbranch_execnz .LBB126_31
.LBB126_32:
	s_or_b64 exec, exec, s[52:53]
	s_cmp_gt_i32 s26, 0
	s_cselect_b64 s[24:25], -1, 0
	s_cmp_lt_i32 s26, 1
	s_mov_b32 s6, 0
	s_waitcnt vmcnt(0) lgkmcnt(0)
	s_barrier
	s_cbranch_scc1 .LBB126_37
; %bb.33:
	s_cmp_lt_u32 s26, 8
	s_cbranch_scc1 .LBB126_38
; %bb.34:
	v_mov_b32_e32 v1, 0
	v_mov_b32_e32 v4, 0
	s_and_b32 s6, s26, 0x7ffffff8
	s_mov_b32 s7, 0
	s_mov_b32 s8, 0
	v_mov_b32_e32 v2, 0
	v_mov_b32_e32 v5, 0
	s_mov_b32 s9, s70
.LBB126_35:                             ; =>This Inner Loop Header: Depth=1
	v_mov_b32_e32 v10, s8
	v_mov_b32_e32 v22, s9
	ds_read2_b64 v[6:9], v10 offset1:1
	ds_read2_b64 v[14:17], v22 offset1:2
	ds_read2_b64 v[18:21], v10 offset0:2 offset1:3
	s_add_i32 s7, s7, 8
	s_addk_i32 s9, 0x80
	s_waitcnt lgkmcnt(2)
	v_add_f64 v[3:4], v[4:5], v[6:7]
	s_waitcnt lgkmcnt(1)
	v_add_f64 v[1:2], v[1:2], v[14:15]
	s_add_i32 s8, s8, 64
	s_cmp_lg_u32 s6, s7
	v_add_f64 v[5:6], v[3:4], v[8:9]
	v_add_f64 v[7:8], v[1:2], v[16:17]
	ds_read2_b64 v[1:4], v22 offset0:4 offset1:6
	s_waitcnt lgkmcnt(1)
	v_add_f64 v[5:6], v[5:6], v[18:19]
	s_waitcnt lgkmcnt(0)
	v_add_f64 v[1:2], v[7:8], v[1:2]
	v_add_f64 v[14:15], v[5:6], v[20:21]
	v_add_f64 v[16:17], v[1:2], v[3:4]
	ds_read2_b64 v[1:4], v10 offset0:4 offset1:5
	ds_read2_b64 v[5:8], v22 offset0:8 offset1:10
	;; [unrolled: 1-line block ×3, first 2 shown]
	s_waitcnt lgkmcnt(2)
	v_add_f64 v[1:2], v[14:15], v[1:2]
	s_waitcnt lgkmcnt(1)
	v_add_f64 v[5:6], v[16:17], v[5:6]
	v_add_f64 v[1:2], v[1:2], v[3:4]
	;; [unrolled: 1-line block ×3, first 2 shown]
	ds_read2_b64 v[4:7], v22 offset0:12 offset1:14
	s_waitcnt lgkmcnt(1)
	v_add_f64 v[1:2], v[1:2], v[9:10]
	s_waitcnt lgkmcnt(0)
	v_add_f64 v[8:9], v[14:15], v[4:5]
	v_add_f64 v[4:5], v[1:2], v[11:12]
	;; [unrolled: 1-line block ×3, first 2 shown]
	s_cbranch_scc1 .LBB126_35
; %bb.36:
	s_and_b32 s7, s26, 7
	s_cmp_eq_u32 s7, 0
	s_cbranch_scc0 .LBB126_39
	s_branch .LBB126_41
.LBB126_37:
	v_mov_b32_e32 v1, 0
	v_mov_b32_e32 v4, 0
	;; [unrolled: 1-line block ×4, first 2 shown]
	s_branch .LBB126_41
.LBB126_38:
	v_mov_b32_e32 v1, 0
	v_mov_b32_e32 v4, 0
	;; [unrolled: 1-line block ×4, first 2 shown]
	s_and_b32 s7, s26, 7
	s_cmp_eq_u32 s7, 0
	s_cbranch_scc1 .LBB126_41
.LBB126_39:
	s_lshl_b32 s8, s6, 4
	s_add_i32 s8, s8, s71
	s_lshl_b32 s6, s6, 3
	s_add_i32 s8, s8, 0
	s_add_i32 s6, s6, 0
.LBB126_40:                             ; =>This Inner Loop Header: Depth=1
	v_mov_b32_e32 v3, s6
	v_mov_b32_e32 v8, s8
	ds_read_b64 v[6:7], v3
	ds_read_b64 v[8:9], v8
	s_add_i32 s8, s8, 16
	s_add_i32 s6, s6, 8
	s_add_i32 s7, s7, -1
	s_waitcnt lgkmcnt(1)
	v_add_f64 v[4:5], v[4:5], v[6:7]
	s_waitcnt lgkmcnt(0)
	v_add_f64 v[1:2], v[1:2], v[8:9]
	s_cmp_lg_u32 s7, 0
	s_cbranch_scc1 .LBB126_40
.LBB126_41:
	v_add_f64 v[1:2], v[1:2], v[4:5]
	s_load_dword s22, s[4:5], 0x40
	s_mov_b32 s45, 0
	s_waitcnt lgkmcnt(0)
	s_cmp_gt_i32 s22, 0
	s_cselect_b64 s[4:5], -1, 0
	v_mul_f64 v[1:2], s[14:15], v[1:2]
	v_mul_f64 v[8:9], s[14:15], v[1:2]
	v_cmp_gt_f64_e32 vcc, v[4:5], v[8:9]
	s_and_b64 s[4:5], s[4:5], vcc
	s_andn2_b64 vcc, exec, s[4:5]
	s_cbranch_vccnz .LBB126_131
; %bb.42:
	v_mov_b32_e32 v1, 0
	v_mov_b32_e32 v2, 0x100000
	v_div_scale_f64 v[3:4], s[4:5], s[16:17], s[16:17], v[1:2]
	s_abs_i32 s15, s26
	v_cvt_f32_u32_e32 v19, s15
	s_mov_b32 s4, 0
	v_mov_b32_e32 v5, s16
	s_mov_b32 s5, 0x100000
	v_mov_b32_e32 v6, s17
	v_sub_u32_e32 v7, s65, v30
	v_lshlrev_b32_e32 v12, 1, v0
	v_div_scale_f64 v[5:6], vcc, s[4:5], v[5:6], s[4:5]
	v_mad_u64_u32 v[10:11], s[4:5], s33, v7, v[0:1]
	v_rcp_iflag_f32_e32 v0, v19
	v_lshlrev_b32_e32 v17, 1, v29
	v_rcp_f64_e32 v[15:16], v[3:4]
	v_ashrrev_i32_e32 v14, 31, v13
	v_sub_u32_e32 v11, v12, v17
	v_lshlrev_b64 v[17:18], 4, v[13:14]
	v_mul_f32_e32 v0, 0x4f7ffffe, v0
	v_cvt_u32_f32_e32 v0, v0
	s_lshl_b32 s10, s26, 4
	s_add_i32 s14, s44, -1
	s_sub_i32 s30, 0, s15
	v_readfirstlane_b32 s5, v0
	s_add_i32 s80, s70, s10
	s_xor_b32 s10, s14, s26
	s_mul_i32 s30, s30, s5
	s_ashr_i32 s4, s10, 31
	s_mul_hi_u32 s10, s5, s30
	s_abs_i32 s14, s14
	v_fma_f64 v[19:20], -v[3:4], v[15:16], 1.0
	s_add_i32 s5, s5, s10
	s_mul_hi_u32 s5, s14, s5
	s_mul_i32 s10, s5, s15
	s_lshl_b32 s11, s44, 2
	s_sub_i32 s10, s14, s10
	s_add_i32 s81, s80, s11
	s_add_i32 s11, s5, 1
	v_fma_f64 v[14:15], v[15:16], v[19:20], v[15:16]
	s_sub_i32 s14, s10, s15
	s_cmp_ge_u32 s10, s15
	s_cselect_b32 s5, s11, s5
	s_cselect_b32 s10, s14, s10
	s_add_i32 s11, s5, 1
	s_cmp_ge_u32 s10, s15
	s_cselect_b32 s5, s11, s5
	v_fma_f64 v[19:20], -v[3:4], v[14:15], 1.0
	s_xor_b32 s5, s5, s4
	s_add_i32 s82, s64, -1
	s_sub_i32 s83, s5, s4
	s_cmp_gt_i32 s64, 1
	s_cselect_b64 s[52:53], -1, 0
	s_cmp_gt_i32 s83, -1
	s_cselect_b64 s[54:55], -1, 0
	v_fma_f64 v[14:15], v[14:15], v[19:20], v[14:15]
	s_add_i32 s84, s23, 1
	s_cmpk_lg_i32 s21, 0xd5
	s_cselect_b64 s[56:57], -1, 0
	s_and_b32 s85, s26, 7
	s_cmp_gt_u32 s26, 7
	s_cselect_b64 s[58:59], -1, 0
	s_and_b32 s86, s26, 0x7ffffff8
	v_mul_f64 v[19:20], v[5:6], v[14:15]
	s_cmp_lg_u32 s85, 0
	s_cselect_b64 s[60:61], -1, 0
	s_lshl_b32 s62, s33, 1
	s_mul_i32 s29, s23, s33
	s_ashr_i32 s63, s62, 31
	s_lshl_b32 s87, s29, 1
	s_lshl_b64 s[64:65], s[62:63], 4
	v_fma_f64 v[3:4], -v[3:4], v[19:20], v[5:6]
	s_add_u32 s4, s66, s68
	s_addc_u32 s5, s67, s69
	s_ashr_i32 s47, s46, 31
	v_mov_b32_e32 v0, s5
	v_mov_b32_e32 v5, s46
	s_ashr_i32 s45, s44, 31
	v_mov_b32_e32 v6, s47
	v_div_fmas_f64 v[3:4], v[3:4], v[14:15], v[19:20]
	v_add_co_u32_e32 v7, vcc, s4, v17
	v_addc_co_u32_e32 v0, vcc, v0, v18, vcc
	v_cmp_lt_i64_e32 vcc, s[44:45], v[5:6]
	v_cmp_gt_i32_e64 s[6:7], s44, v33
	v_or_b32_e32 v33, 1, v11
	v_add_co_u32_e64 v14, s[4:5], 8, v7
	v_mul_lo_u32 v34, s23, v11
	v_mul_lo_u32 v35, s23, v33
	v_addc_co_u32_e64 v15, s[4:5], 0, v0, s[4:5]
	s_and_b64 s[4:5], vcc, exec
	s_cselect_b32 s5, s45, s47
	v_div_fixup_f64 v[16:17], v[3:4], s[16:17], v[1:2]
	s_cselect_b32 s4, s44, s46
	v_lshl_add_u32 v32, v13, 4, s70
	s_lshl_b64 s[66:67], s[4:5], 4
	s_ashr_i32 s5, s23, 31
	s_mov_b32 s4, s23
	s_mov_b32 s70, 0
	;; [unrolled: 1-line block ×3, first 2 shown]
	v_lshl_add_u32 v31, v13, 3, 0
	v_cmp_gt_i32_e64 s[8:9], s23, v13
	s_lshl_b64 s[68:69], s[4:5], 4
	s_brev_b32 s71, 8
	v_mov_b32_e32 v36, 0x260
	s_movk_i32 s47, 0x204
	v_mov_b32_e32 v37, 0x100
	v_mov_b32_e32 v38, 0xffffff80
	;; [unrolled: 1-line block ×6, first 2 shown]
	s_mov_b32 s45, 0
                                        ; implicit-def: $vgpr20_vgpr21
                                        ; implicit-def: $vgpr2_vgpr3
                                        ; implicit-def: $vgpr23_vgpr24
                                        ; implicit-def: $vgpr18_vgpr19
	s_branch .LBB126_45
.LBB126_43:                             ;   in Loop: Header=BB126_45 Depth=1
	v_mov_b32_e32 v4, 0
	v_mov_b32_e32 v5, 0
.LBB126_44:                             ;   in Loop: Header=BB126_45 Depth=1
	v_cmp_gt_f64_e32 vcc, v[4:5], v[8:9]
	s_add_i32 s45, s45, 1
	s_cmp_lt_i32 s45, s22
	s_cselect_b64 s[4:5], -1, 0
	s_and_b64 s[4:5], s[4:5], vcc
	s_and_b64 vcc, exec, s[4:5]
	s_cbranch_vccz .LBB126_131
.LBB126_45:                             ; =>This Loop Header: Depth=1
                                        ;     Child Loop BB126_48 Depth 2
                                        ;       Child Loop BB126_50 Depth 3
                                        ;         Child Loop BB126_85 Depth 4
                                        ;         Child Loop BB126_95 Depth 4
                                        ;     Child Loop BB126_117 Depth 2
                                        ;       Child Loop BB126_119 Depth 3
                                        ;     Child Loop BB126_126 Depth 2
                                        ;     Child Loop BB126_130 Depth 2
	s_andn2_b64 vcc, exec, s[52:53]
	s_cbranch_vccnz .LBB126_113
; %bb.46:                               ;   in Loop: Header=BB126_45 Depth=1
	s_mov_b32 s63, 0
	s_branch .LBB126_48
.LBB126_47:                             ;   in Loop: Header=BB126_48 Depth=2
	s_add_i32 s63, s63, 1
	s_cmp_eq_u32 s63, s82
	s_cbranch_scc1 .LBB126_113
.LBB126_48:                             ;   Parent Loop BB126_45 Depth=1
                                        ; =>  This Loop Header: Depth=2
                                        ;       Child Loop BB126_50 Depth 3
                                        ;         Child Loop BB126_85 Depth 4
                                        ;         Child Loop BB126_95 Depth 4
	s_andn2_b64 vcc, exec, s[54:55]
	s_cbranch_vccnz .LBB126_47
; %bb.49:                               ;   in Loop: Header=BB126_48 Depth=2
	s_mov_b32 s88, 0
.LBB126_50:                             ;   Parent Loop BB126_45 Depth=1
                                        ;     Parent Loop BB126_48 Depth=2
                                        ; =>    This Loop Header: Depth=3
                                        ;         Child Loop BB126_85 Depth 4
                                        ;         Child Loop BB126_95 Depth 4
	s_mul_i32 s4, s88, s26
	v_add_u32_e32 v44, s4, v13
	v_cmp_gt_i32_e64 s[10:11], s44, v44
	v_mov_b32_e32 v22, s23
	s_and_saveexec_b64 s[4:5], s[10:11]
; %bb.51:                               ;   in Loop: Header=BB126_50 Depth=3
	v_lshl_add_u32 v4, v44, 2, s80
	ds_read_b32 v22, v4
; %bb.52:                               ;   in Loop: Header=BB126_50 Depth=3
	s_or_b64 exec, exec, s[4:5]
	v_mov_b32_e32 v12, s23
	v_lshl_add_u32 v43, v44, 2, s81
	s_and_saveexec_b64 s[4:5], s[10:11]
; %bb.53:                               ;   in Loop: Header=BB126_50 Depth=3
	ds_read_b32 v12, v43
; %bb.54:                               ;   in Loop: Header=BB126_50 Depth=3
	s_or_b64 exec, exec, s[4:5]
	s_waitcnt lgkmcnt(0)
	v_cmp_gt_i32_e64 s[4:5], s23, v22
	s_and_b64 s[16:17], s[12:13], s[4:5]
	v_cmp_gt_i32_e64 s[14:15], s23, v12
	s_and_b64 s[30:31], s[16:17], s[14:15]
	s_and_saveexec_b64 s[72:73], s[30:31]
	s_cbranch_execz .LBB126_80
; %bb.55:                               ;   in Loop: Header=BB126_50 Depth=3
	v_mul_lo_u32 v27, v12, s23
	v_mov_b32_e32 v4, s49
                                        ; implicit-def: $vgpr25_vgpr26
	v_add_u32_e32 v2, v27, v22
	v_ashrrev_i32_e32 v3, 31, v2
	v_lshlrev_b64 v[2:3], 4, v[2:3]
	v_add_co_u32_e32 v2, vcc, s48, v2
	v_addc_co_u32_e32 v3, vcc, v4, v3, vcc
	global_load_dwordx4 v[4:7], v[2:3], off
	s_waitcnt vmcnt(0)
	v_cmp_gt_f64_e32 vcc, 0, v[4:5]
	v_xor_b32_e32 v3, 0x80000000, v5
	v_xor_b32_e32 v20, 0x80000000, v7
	v_mov_b32_e32 v2, v4
	v_cndmask_b32_e32 v3, v5, v3, vcc
	v_cmp_gt_f64_e32 vcc, 0, v[6:7]
	v_cndmask_b32_e32 v21, v7, v20, vcc
	v_mov_b32_e32 v20, v6
	v_cmp_ngt_f64_e32 vcc, v[2:3], v[20:21]
	s_and_saveexec_b64 s[16:17], vcc
	s_xor_b64 s[16:17], exec, s[16:17]
	s_cbranch_execz .LBB126_59
; %bb.56:                               ;   in Loop: Header=BB126_50 Depth=3
	v_cmp_neq_f64_e32 vcc, 0, v[6:7]
	v_mov_b32_e32 v25, 0
	v_mov_b32_e32 v26, 0
	s_and_saveexec_b64 s[74:75], vcc
	s_cbranch_execz .LBB126_58
; %bb.57:                               ;   in Loop: Header=BB126_50 Depth=3
	v_div_scale_f64 v[23:24], s[76:77], v[20:21], v[20:21], v[2:3]
	v_rcp_f64_e32 v[25:26], v[23:24]
	v_fma_f64 v[28:29], -v[23:24], v[25:26], 1.0
	v_fma_f64 v[25:26], v[25:26], v[28:29], v[25:26]
	v_div_scale_f64 v[28:29], vcc, v[2:3], v[20:21], v[2:3]
	v_fma_f64 v[45:46], -v[23:24], v[25:26], 1.0
	v_fma_f64 v[25:26], v[25:26], v[45:46], v[25:26]
	v_mul_f64 v[45:46], v[28:29], v[25:26]
	v_fma_f64 v[23:24], -v[23:24], v[45:46], v[28:29]
	v_div_fmas_f64 v[23:24], v[23:24], v[25:26], v[45:46]
	v_div_fixup_f64 v[2:3], v[23:24], v[20:21], v[2:3]
	v_fma_f64 v[2:3], v[2:3], v[2:3], 1.0
	v_cmp_gt_f64_e32 vcc, s[70:71], v[2:3]
	v_cndmask_b32_e32 v23, 0, v37, vcc
	v_ldexp_f64 v[2:3], v[2:3], v23
	v_rsq_f64_e32 v[23:24], v[2:3]
	v_mul_f64 v[25:26], v[2:3], v[23:24]
	v_mul_f64 v[23:24], v[23:24], 0.5
	v_fma_f64 v[28:29], -v[23:24], v[25:26], 0.5
	v_fma_f64 v[25:26], v[25:26], v[28:29], v[25:26]
	v_fma_f64 v[23:24], v[23:24], v[28:29], v[23:24]
	v_fma_f64 v[28:29], -v[25:26], v[25:26], v[2:3]
	v_fma_f64 v[25:26], v[28:29], v[23:24], v[25:26]
	v_fma_f64 v[28:29], -v[25:26], v[25:26], v[2:3]
	v_fma_f64 v[23:24], v[28:29], v[23:24], v[25:26]
	v_cndmask_b32_e32 v25, 0, v38, vcc
	v_cmp_class_f64_e32 vcc, v[2:3], v36
	v_ldexp_f64 v[23:24], v[23:24], v25
	v_cndmask_b32_e32 v3, v24, v3, vcc
	v_cndmask_b32_e32 v2, v23, v2, vcc
	v_mul_f64 v[25:26], v[20:21], v[2:3]
.LBB126_58:                             ;   in Loop: Header=BB126_50 Depth=3
	s_or_b64 exec, exec, s[74:75]
                                        ; implicit-def: $vgpr2_vgpr3
                                        ; implicit-def: $vgpr20_vgpr21
.LBB126_59:                             ;   in Loop: Header=BB126_50 Depth=3
	s_andn2_saveexec_b64 s[16:17], s[16:17]
	s_cbranch_execz .LBB126_61
; %bb.60:                               ;   in Loop: Header=BB126_50 Depth=3
	v_div_scale_f64 v[23:24], s[74:75], v[2:3], v[2:3], v[20:21]
	v_rcp_f64_e32 v[25:26], v[23:24]
	v_fma_f64 v[28:29], -v[23:24], v[25:26], 1.0
	v_fma_f64 v[25:26], v[25:26], v[28:29], v[25:26]
	v_div_scale_f64 v[28:29], vcc, v[20:21], v[2:3], v[20:21]
	v_fma_f64 v[45:46], -v[23:24], v[25:26], 1.0
	v_fma_f64 v[25:26], v[25:26], v[45:46], v[25:26]
	v_mul_f64 v[45:46], v[28:29], v[25:26]
	v_fma_f64 v[23:24], -v[23:24], v[45:46], v[28:29]
	v_div_fmas_f64 v[23:24], v[23:24], v[25:26], v[45:46]
	v_div_fixup_f64 v[20:21], v[23:24], v[2:3], v[20:21]
	v_fma_f64 v[20:21], v[20:21], v[20:21], 1.0
	v_cmp_gt_f64_e32 vcc, s[70:71], v[20:21]
	v_cndmask_b32_e32 v23, 0, v37, vcc
	v_ldexp_f64 v[20:21], v[20:21], v23
	v_rsq_f64_e32 v[23:24], v[20:21]
	v_mul_f64 v[25:26], v[20:21], v[23:24]
	v_mul_f64 v[23:24], v[23:24], 0.5
	v_fma_f64 v[28:29], -v[23:24], v[25:26], 0.5
	v_fma_f64 v[25:26], v[25:26], v[28:29], v[25:26]
	v_fma_f64 v[23:24], v[23:24], v[28:29], v[23:24]
	v_fma_f64 v[28:29], -v[25:26], v[25:26], v[20:21]
	v_fma_f64 v[25:26], v[28:29], v[23:24], v[25:26]
	v_fma_f64 v[28:29], -v[25:26], v[25:26], v[20:21]
	v_fma_f64 v[23:24], v[28:29], v[23:24], v[25:26]
	v_cndmask_b32_e32 v25, 0, v38, vcc
	v_cmp_class_f64_e32 vcc, v[20:21], v36
	v_ldexp_f64 v[23:24], v[23:24], v25
	v_cndmask_b32_e32 v21, v24, v21, vcc
	v_cndmask_b32_e32 v20, v23, v20, vcc
	v_mul_f64 v[25:26], v[2:3], v[20:21]
.LBB126_61:                             ;   in Loop: Header=BB126_50 Depth=3
	s_or_b64 exec, exec, s[16:17]
	v_mul_f64 v[2:3], v[25:26], v[25:26]
	v_mov_b32_e32 v20, 0
	v_mov_b32_e32 v23, 0
	;; [unrolled: 1-line block ×4, first 2 shown]
	v_cmp_nlt_f64_e32 vcc, v[2:3], v[16:17]
	v_mov_b32_e32 v2, 0
	v_mov_b32_e32 v3, 0
	s_and_saveexec_b64 s[74:75], vcc
	s_cbranch_execz .LBB126_79
; %bb.62:                               ;   in Loop: Header=BB126_50 Depth=3
	v_add_u32_e32 v2, v27, v12
	v_ashrrev_i32_e32 v3, 31, v2
	v_mul_lo_u32 v20, v22, s84
	v_lshlrev_b64 v[2:3], 4, v[2:3]
	v_mov_b32_e32 v21, s49
	v_add_co_u32_e32 v2, vcc, s48, v2
	v_addc_co_u32_e32 v3, vcc, v21, v3, vcc
	v_ashrrev_i32_e32 v21, 31, v20
	v_lshlrev_b64 v[20:21], 4, v[20:21]
	v_mov_b32_e32 v23, s49
	v_add_co_u32_e32 v20, vcc, s48, v20
	v_addc_co_u32_e32 v21, vcc, v23, v21, vcc
	global_load_dwordx2 v[23:24], v[2:3], off
	s_nop 0
	global_load_dwordx2 v[20:21], v[20:21], off
	v_add_f64 v[2:3], v[25:26], v[25:26]
	v_cmp_class_f64_e64 s[76:77], v[2:3], s47
	s_waitcnt vmcnt(0)
	v_add_f64 v[23:24], v[23:24], -v[20:21]
	v_max_f64 v[20:21], |v[23:24]|, |v[2:3]|
	v_cmp_ngt_f64_e64 s[16:17], 0, v[23:24]
	v_cmp_class_f64_e64 s[78:79], v[23:24], s47
	v_frexp_exp_i32_f64_e32 v27, v[20:21]
	v_sub_u32_e32 v28, 0, v27
	v_ldexp_f64 v[20:21], |v[2:3]|, v28
	v_ldexp_f64 v[28:29], |v[23:24]|, v28
	v_mul_f64 v[20:21], v[20:21], v[20:21]
	v_fma_f64 v[20:21], v[28:29], v[28:29], v[20:21]
	v_rsq_f64_e32 v[28:29], v[20:21]
	v_cmp_eq_f64_e32 vcc, 0, v[20:21]
	v_mul_f64 v[45:46], v[20:21], v[28:29]
	v_mul_f64 v[28:29], v[28:29], 0.5
	v_fma_f64 v[47:48], -v[28:29], v[45:46], 0.5
	v_fma_f64 v[45:46], v[45:46], v[47:48], v[45:46]
	v_fma_f64 v[28:29], v[28:29], v[47:48], v[28:29]
	v_fma_f64 v[47:48], -v[45:46], v[45:46], v[20:21]
	v_fma_f64 v[28:29], v[47:48], v[28:29], v[45:46]
	v_cndmask_b32_e32 v21, v29, v21, vcc
	v_cndmask_b32_e32 v20, v28, v20, vcc
                                        ; implicit-def: $vgpr29_vgpr30
	s_and_saveexec_b64 s[90:91], s[16:17]
	s_xor_b64 s[16:17], exec, s[90:91]
	s_cbranch_execz .LBB126_64
; %bb.63:                               ;   in Loop: Header=BB126_50 Depth=3
	v_ldexp_f64 v[20:21], v[20:21], v27
	v_cmp_o_f64_e32 vcc, v[23:24], v[2:3]
                                        ; implicit-def: $vgpr27
	v_cndmask_b32_e32 v20, 0, v20, vcc
	v_cndmask_b32_e32 v21, v39, v21, vcc
	s_or_b64 vcc, s[76:77], s[78:79]
	v_cndmask_b32_e32 v30, v21, v40, vcc
	v_cndmask_b32_e64 v29, v20, 0, vcc
                                        ; implicit-def: $vgpr20_vgpr21
.LBB126_64:                             ;   in Loop: Header=BB126_50 Depth=3
	s_andn2_saveexec_b64 s[16:17], s[16:17]
	s_cbranch_execz .LBB126_66
; %bb.65:                               ;   in Loop: Header=BB126_50 Depth=3
	v_ldexp_f64 v[20:21], -v[20:21], v27
	v_cmp_o_f64_e32 vcc, v[2:3], v[2:3]
	v_cndmask_b32_e32 v20, 0, v20, vcc
	v_cndmask_b32_e32 v21, v41, v21, vcc
	s_or_b64 vcc, s[76:77], s[78:79]
	v_cndmask_b32_e32 v30, v21, v42, vcc
	v_cndmask_b32_e64 v29, v20, 0, vcc
.LBB126_66:                             ;   in Loop: Header=BB126_50 Depth=3
	s_or_b64 exec, exec, s[16:17]
	v_cmp_neq_f64_e32 vcc, 0, v[2:3]
	v_mov_b32_e32 v27, 0
	v_mov_b32_e32 v20, 0
	;; [unrolled: 1-line block ×4, first 2 shown]
	s_and_saveexec_b64 s[16:17], vcc
	s_cbranch_execz .LBB126_74
; %bb.67:                               ;   in Loop: Header=BB126_50 Depth=3
	v_add_f64 v[23:24], v[23:24], v[29:30]
	v_mov_b32_e32 v20, 0
	v_mov_b32_e32 v27, 0
	;; [unrolled: 1-line block ×4, first 2 shown]
	v_cmp_neq_f64_e32 vcc, 0, v[23:24]
	s_and_saveexec_b64 s[76:77], vcc
	s_cbranch_execz .LBB126_73
; %bb.68:                               ;   in Loop: Header=BB126_50 Depth=3
	v_cmp_ngt_f64_e64 s[78:79], |v[2:3]|, |v[23:24]|
                                        ; implicit-def: $vgpr20_vgpr21
                                        ; implicit-def: $vgpr27_vgpr28
	s_and_saveexec_b64 s[90:91], s[78:79]
	s_xor_b64 s[78:79], exec, s[90:91]
	s_cbranch_execz .LBB126_70
; %bb.69:                               ;   in Loop: Header=BB126_50 Depth=3
	v_div_scale_f64 v[20:21], s[90:91], v[23:24], v[23:24], -v[2:3]
	v_rcp_f64_e32 v[27:28], v[20:21]
	v_fma_f64 v[29:30], -v[20:21], v[27:28], 1.0
	v_fma_f64 v[27:28], v[27:28], v[29:30], v[27:28]
	v_div_scale_f64 v[29:30], vcc, -v[2:3], v[23:24], -v[2:3]
	v_fma_f64 v[45:46], -v[20:21], v[27:28], 1.0
	v_fma_f64 v[27:28], v[27:28], v[45:46], v[27:28]
	v_mul_f64 v[45:46], v[29:30], v[27:28]
	v_fma_f64 v[20:21], -v[20:21], v[45:46], v[29:30]
	v_div_fmas_f64 v[20:21], v[20:21], v[27:28], v[45:46]
	v_div_fixup_f64 v[2:3], v[20:21], v[23:24], -v[2:3]
	v_fma_f64 v[20:21], v[2:3], v[2:3], 1.0
	v_cmp_gt_f64_e32 vcc, s[70:71], v[20:21]
	v_cndmask_b32_e32 v23, 0, v37, vcc
	v_ldexp_f64 v[20:21], v[20:21], v23
	v_rsq_f64_e32 v[23:24], v[20:21]
	v_mul_f64 v[27:28], v[20:21], v[23:24]
	v_mul_f64 v[23:24], v[23:24], 0.5
	v_fma_f64 v[29:30], -v[23:24], v[27:28], 0.5
	v_fma_f64 v[27:28], v[27:28], v[29:30], v[27:28]
	v_fma_f64 v[23:24], v[23:24], v[29:30], v[23:24]
	v_fma_f64 v[29:30], -v[27:28], v[27:28], v[20:21]
	v_fma_f64 v[27:28], v[29:30], v[23:24], v[27:28]
	v_fma_f64 v[29:30], -v[27:28], v[27:28], v[20:21]
	v_fma_f64 v[23:24], v[29:30], v[23:24], v[27:28]
	v_cndmask_b32_e32 v27, 0, v38, vcc
	v_cmp_class_f64_e32 vcc, v[20:21], v36
	v_ldexp_f64 v[23:24], v[23:24], v27
	v_cndmask_b32_e32 v21, v24, v21, vcc
	v_cndmask_b32_e32 v20, v23, v20, vcc
	v_div_scale_f64 v[23:24], s[90:91], v[20:21], v[20:21], 1.0
	v_div_scale_f64 v[45:46], vcc, 1.0, v[20:21], 1.0
	v_rcp_f64_e32 v[27:28], v[23:24]
	v_fma_f64 v[29:30], -v[23:24], v[27:28], 1.0
	v_fma_f64 v[27:28], v[27:28], v[29:30], v[27:28]
	v_fma_f64 v[29:30], -v[23:24], v[27:28], 1.0
	v_fma_f64 v[27:28], v[27:28], v[29:30], v[27:28]
	v_mul_f64 v[29:30], v[45:46], v[27:28]
	v_fma_f64 v[23:24], -v[23:24], v[29:30], v[45:46]
	v_div_fmas_f64 v[23:24], v[23:24], v[27:28], v[29:30]
	v_div_fixup_f64 v[20:21], v[23:24], v[20:21], 1.0
                                        ; implicit-def: $vgpr23_vgpr24
	v_mul_f64 v[27:28], v[2:3], v[20:21]
                                        ; implicit-def: $vgpr2_vgpr3
.LBB126_70:                             ;   in Loop: Header=BB126_50 Depth=3
	s_andn2_saveexec_b64 s[78:79], s[78:79]
	s_cbranch_execz .LBB126_72
; %bb.71:                               ;   in Loop: Header=BB126_50 Depth=3
	v_div_scale_f64 v[20:21], s[90:91], v[2:3], v[2:3], -v[23:24]
	v_rcp_f64_e32 v[27:28], v[20:21]
	v_fma_f64 v[29:30], -v[20:21], v[27:28], 1.0
	v_fma_f64 v[27:28], v[27:28], v[29:30], v[27:28]
	v_div_scale_f64 v[29:30], vcc, -v[23:24], v[2:3], -v[23:24]
	v_fma_f64 v[45:46], -v[20:21], v[27:28], 1.0
	v_fma_f64 v[27:28], v[27:28], v[45:46], v[27:28]
	v_mul_f64 v[45:46], v[29:30], v[27:28]
	v_fma_f64 v[20:21], -v[20:21], v[45:46], v[29:30]
	v_div_fmas_f64 v[20:21], v[20:21], v[27:28], v[45:46]
	v_div_fixup_f64 v[2:3], v[20:21], v[2:3], -v[23:24]
	v_fma_f64 v[20:21], v[2:3], v[2:3], 1.0
	v_cmp_gt_f64_e32 vcc, s[70:71], v[20:21]
	v_cndmask_b32_e32 v23, 0, v37, vcc
	v_ldexp_f64 v[20:21], v[20:21], v23
	v_rsq_f64_e32 v[23:24], v[20:21]
	v_mul_f64 v[27:28], v[20:21], v[23:24]
	v_mul_f64 v[23:24], v[23:24], 0.5
	v_fma_f64 v[29:30], -v[23:24], v[27:28], 0.5
	v_fma_f64 v[27:28], v[27:28], v[29:30], v[27:28]
	v_fma_f64 v[23:24], v[23:24], v[29:30], v[23:24]
	v_fma_f64 v[29:30], -v[27:28], v[27:28], v[20:21]
	v_fma_f64 v[27:28], v[29:30], v[23:24], v[27:28]
	v_fma_f64 v[29:30], -v[27:28], v[27:28], v[20:21]
	v_fma_f64 v[23:24], v[29:30], v[23:24], v[27:28]
	v_cndmask_b32_e32 v27, 0, v38, vcc
	v_cmp_class_f64_e32 vcc, v[20:21], v36
	v_ldexp_f64 v[23:24], v[23:24], v27
	v_cndmask_b32_e32 v21, v24, v21, vcc
	v_cndmask_b32_e32 v20, v23, v20, vcc
	v_div_scale_f64 v[23:24], s[90:91], v[20:21], v[20:21], 1.0
	v_div_scale_f64 v[45:46], vcc, 1.0, v[20:21], 1.0
	v_rcp_f64_e32 v[27:28], v[23:24]
	v_fma_f64 v[29:30], -v[23:24], v[27:28], 1.0
	v_fma_f64 v[27:28], v[27:28], v[29:30], v[27:28]
	v_fma_f64 v[29:30], -v[23:24], v[27:28], 1.0
	v_fma_f64 v[27:28], v[27:28], v[29:30], v[27:28]
	v_mul_f64 v[29:30], v[45:46], v[27:28]
	v_fma_f64 v[23:24], -v[23:24], v[29:30], v[45:46]
	v_div_fmas_f64 v[23:24], v[23:24], v[27:28], v[29:30]
	v_div_fixup_f64 v[27:28], v[23:24], v[20:21], 1.0
	v_mul_f64 v[20:21], v[2:3], v[27:28]
.LBB126_72:                             ;   in Loop: Header=BB126_50 Depth=3
	s_or_b64 exec, exec, s[78:79]
.LBB126_73:                             ;   in Loop: Header=BB126_50 Depth=3
	s_or_b64 exec, exec, s[76:77]
.LBB126_74:                             ;   in Loop: Header=BB126_50 Depth=3
	s_or_b64 exec, exec, s[16:17]
	v_mul_f64 v[4:5], v[4:5], v[27:28]
	v_mul_f64 v[6:7], v[6:7], v[27:28]
	v_cmp_lg_f64_e32 vcc, 0, v[25:26]
                                        ; implicit-def: $vgpr23_vgpr24
	s_and_saveexec_b64 s[16:17], vcc
	s_xor_b64 s[16:17], exec, s[16:17]
	s_cbranch_execz .LBB126_76
; %bb.75:                               ;   in Loop: Header=BB126_50 Depth=3
	v_div_scale_f64 v[2:3], s[76:77], v[25:26], v[25:26], 0
	v_rcp_f64_e32 v[23:24], v[2:3]
	v_fma_f64 v[27:28], -v[2:3], v[23:24], 1.0
	v_fma_f64 v[23:24], v[23:24], v[27:28], v[23:24]
	v_div_scale_f64 v[27:28], vcc, 0, v[25:26], 0
	v_fma_f64 v[29:30], -v[2:3], v[23:24], 1.0
	v_fma_f64 v[23:24], v[23:24], v[29:30], v[23:24]
	v_mul_f64 v[29:30], v[27:28], v[23:24]
	v_fma_f64 v[2:3], -v[2:3], v[29:30], v[27:28]
	v_div_fmas_f64 v[2:3], v[2:3], v[23:24], v[29:30]
	v_div_fixup_f64 v[2:3], v[2:3], v[25:26], 0
	v_fma_f64 v[23:24], v[2:3], 0, v[25:26]
	v_div_scale_f64 v[25:26], s[76:77], v[23:24], v[23:24], 1.0
	v_rcp_f64_e32 v[27:28], v[25:26]
	v_fma_f64 v[29:30], -v[25:26], v[27:28], 1.0
	v_fma_f64 v[27:28], v[27:28], v[29:30], v[27:28]
	v_div_scale_f64 v[29:30], vcc, 1.0, v[23:24], 1.0
	v_fma_f64 v[45:46], -v[25:26], v[27:28], 1.0
	v_fma_f64 v[27:28], v[27:28], v[45:46], v[27:28]
	v_mul_f64 v[45:46], v[29:30], v[27:28]
	v_fma_f64 v[25:26], -v[25:26], v[45:46], v[29:30]
	v_div_fmas_f64 v[25:26], v[25:26], v[27:28], v[45:46]
	v_fma_f64 v[27:28], v[2:3], v[6:7], v[4:5]
	v_fma_f64 v[2:3], -v[2:3], v[4:5], v[6:7]
                                        ; implicit-def: $vgpr4_vgpr5
                                        ; implicit-def: $vgpr6_vgpr7
	v_div_fixup_f64 v[25:26], v[25:26], v[23:24], 1.0
	v_mul_f64 v[23:24], v[25:26], v[27:28]
	v_mul_f64 v[2:3], v[25:26], v[2:3]
                                        ; implicit-def: $vgpr25_vgpr26
.LBB126_76:                             ;   in Loop: Header=BB126_50 Depth=3
	s_andn2_saveexec_b64 s[16:17], s[16:17]
	s_cbranch_execz .LBB126_78
; %bb.77:                               ;   in Loop: Header=BB126_50 Depth=3
	v_div_scale_f64 v[2:3], s[76:77], 0, 0, v[25:26]
	v_rcp_f64_e32 v[23:24], v[2:3]
	v_fma_f64 v[27:28], -v[2:3], v[23:24], 1.0
	v_fma_f64 v[23:24], v[23:24], v[27:28], v[23:24]
	v_div_scale_f64 v[27:28], vcc, v[25:26], 0, v[25:26]
	v_fma_f64 v[29:30], -v[2:3], v[23:24], 1.0
	v_fma_f64 v[23:24], v[23:24], v[29:30], v[23:24]
	v_mul_f64 v[29:30], v[27:28], v[23:24]
	v_fma_f64 v[2:3], -v[2:3], v[29:30], v[27:28]
	v_div_fmas_f64 v[2:3], v[2:3], v[23:24], v[29:30]
	v_div_fixup_f64 v[2:3], v[2:3], 0, v[25:26]
	v_fma_f64 v[23:24], v[25:26], v[2:3], 0
	v_div_scale_f64 v[25:26], s[76:77], v[23:24], v[23:24], 1.0
	v_rcp_f64_e32 v[27:28], v[25:26]
	v_fma_f64 v[29:30], -v[25:26], v[27:28], 1.0
	v_fma_f64 v[27:28], v[27:28], v[29:30], v[27:28]
	v_div_scale_f64 v[29:30], vcc, 1.0, v[23:24], 1.0
	v_fma_f64 v[45:46], -v[25:26], v[27:28], 1.0
	v_fma_f64 v[27:28], v[27:28], v[45:46], v[27:28]
	v_mul_f64 v[45:46], v[29:30], v[27:28]
	v_fma_f64 v[25:26], -v[25:26], v[45:46], v[29:30]
	v_div_fmas_f64 v[25:26], v[25:26], v[27:28], v[45:46]
	v_fma_f64 v[27:28], v[2:3], v[4:5], v[6:7]
	v_fma_f64 v[2:3], v[2:3], v[6:7], -v[4:5]
	v_div_fixup_f64 v[25:26], v[25:26], v[23:24], 1.0
	v_mul_f64 v[23:24], v[25:26], v[27:28]
	v_mul_f64 v[2:3], v[25:26], v[2:3]
.LBB126_78:                             ;   in Loop: Header=BB126_50 Depth=3
	s_or_b64 exec, exec, s[16:17]
.LBB126_79:                             ;   in Loop: Header=BB126_50 Depth=3
	s_or_b64 exec, exec, s[74:75]
	v_mov_b32_e32 v4, v2
	v_mov_b32_e32 v5, v3
	ds_write_b64 v31, v[20:21]
	ds_write2_b64 v32, v[23:24], v[4:5] offset1:1
.LBB126_80:                             ;   in Loop: Header=BB126_50 Depth=3
	s_or_b64 exec, exec, s[72:73]
	s_and_b64 s[4:5], s[4:5], s[14:15]
	s_mov_b64 s[16:17], 0
	s_waitcnt lgkmcnt(0)
	s_barrier
	s_and_saveexec_b64 s[14:15], s[4:5]
	s_cbranch_execz .LBB126_92
; %bb.81:                               ;   in Loop: Header=BB126_50 Depth=3
	ds_read_b64 v[20:21], v31
	ds_read2_b64 v[0:3], v32 offset1:1
	s_mov_b64 s[4:5], 0
	s_and_saveexec_b64 s[16:17], s[6:7]
	s_cbranch_execz .LBB126_91
; %bb.82:                               ;   in Loop: Header=BB126_50 Depth=3
	v_mad_u64_u32 v[4:5], s[4:5], v22, s23, v[11:12]
	v_mad_u64_u32 v[6:7], s[4:5], v12, s23, v[11:12]
	v_mul_lo_u32 v25, v22, s27
	v_mul_lo_u32 v26, v12, s27
	v_ashrrev_i32_e32 v5, 31, v4
	v_ashrrev_i32_e32 v7, 31, v6
	v_lshlrev_b64 v[4:5], 4, v[4:5]
	v_lshlrev_b64 v[6:7], 4, v[6:7]
	s_mov_b64 s[72:73], 0
	s_mov_b64 s[74:75], s[48:49]
	v_mov_b32_e32 v27, v33
	v_mov_b32_e32 v28, v10
	s_branch .LBB126_85
.LBB126_83:                             ;   in Loop: Header=BB126_85 Depth=4
	s_or_b64 exec, exec, s[76:77]
.LBB126_84:                             ;   in Loop: Header=BB126_85 Depth=4
	v_add_u32_e32 v28, s33, v28
	s_add_u32 s74, s74, s64
	s_addc_u32 s75, s75, s65
	v_cmp_le_i32_e32 vcc, s44, v28
	s_or_b64 s[72:73], vcc, s[72:73]
	v_add_u32_e32 v27, s62, v27
	s_andn2_b64 exec, exec, s[72:73]
	s_cbranch_execz .LBB126_90
.LBB126_85:                             ;   Parent Loop BB126_45 Depth=1
                                        ;     Parent Loop BB126_48 Depth=2
                                        ;       Parent Loop BB126_50 Depth=3
                                        ; =>      This Inner Loop Header: Depth=4
	v_mov_b32_e32 v24, s75
	v_add_co_u32_e32 v18, vcc, s74, v6
	v_addc_co_u32_e32 v19, vcc, v24, v7, vcc
	v_add_co_u32_e32 v23, vcc, s74, v4
	global_load_dwordx4 v[45:48], v[18:19], off
	v_addc_co_u32_e32 v24, vcc, v24, v5, vcc
	global_load_dwordx4 v[49:52], v[23:24], off
	v_cmp_gt_i32_e64 s[4:5], s23, v27
	s_waitcnt vmcnt(1) lgkmcnt(0)
	v_mul_f64 v[29:30], v[2:3], v[47:48]
	v_mul_f64 v[53:54], v[2:3], v[45:46]
	s_waitcnt vmcnt(0)
	v_mul_f64 v[55:56], v[0:1], v[49:50]
	v_mul_f64 v[57:58], v[0:1], v[51:52]
	v_fma_f64 v[29:30], v[0:1], v[45:46], v[29:30]
	v_fma_f64 v[53:54], v[0:1], v[47:48], -v[53:54]
	v_fma_f64 v[55:56], v[2:3], v[51:52], -v[55:56]
	v_fma_f64 v[57:58], v[49:50], -v[2:3], -v[57:58]
	v_fma_f64 v[49:50], v[20:21], v[49:50], v[29:30]
	v_fma_f64 v[51:52], v[20:21], v[51:52], v[53:54]
	;; [unrolled: 1-line block ×4, first 2 shown]
	global_store_dwordx4 v[23:24], v[49:52], off
	global_store_dwordx4 v[18:19], v[45:48], off
	s_and_saveexec_b64 s[76:77], s[4:5]
	s_cbranch_execz .LBB126_87
; %bb.86:                               ;   in Loop: Header=BB126_85 Depth=4
	global_load_dwordx4 v[45:48], v[18:19], off offset:16
	global_load_dwordx4 v[49:52], v[23:24], off offset:16
	s_waitcnt vmcnt(1)
	v_mul_f64 v[29:30], v[2:3], v[47:48]
	v_mul_f64 v[53:54], v[2:3], v[45:46]
	s_waitcnt vmcnt(0)
	v_mul_f64 v[55:56], v[0:1], v[49:50]
	v_mul_f64 v[57:58], v[0:1], v[51:52]
	v_fma_f64 v[29:30], v[0:1], v[45:46], v[29:30]
	v_fma_f64 v[53:54], v[0:1], v[47:48], -v[53:54]
	v_fma_f64 v[55:56], v[2:3], v[51:52], -v[55:56]
	v_fma_f64 v[57:58], v[49:50], -v[2:3], -v[57:58]
	v_fma_f64 v[49:50], v[20:21], v[49:50], v[29:30]
	v_fma_f64 v[51:52], v[20:21], v[51:52], v[53:54]
	;; [unrolled: 1-line block ×4, first 2 shown]
	global_store_dwordx4 v[23:24], v[49:52], off offset:16
	global_store_dwordx4 v[18:19], v[45:48], off offset:16
.LBB126_87:                             ;   in Loop: Header=BB126_85 Depth=4
	s_or_b64 exec, exec, s[76:77]
	s_andn2_b64 vcc, exec, s[56:57]
	s_cbranch_vccnz .LBB126_84
; %bb.88:                               ;   in Loop: Header=BB126_85 Depth=4
	v_add3_u32 v18, v25, v27, -1
	v_ashrrev_i32_e32 v19, 31, v18
	v_lshlrev_b64 v[23:24], 4, v[18:19]
	v_add3_u32 v18, v26, v27, -1
	v_ashrrev_i32_e32 v19, 31, v18
	v_lshlrev_b64 v[18:19], 4, v[18:19]
	v_mov_b32_e32 v30, s35
	v_add_co_u32_e32 v18, vcc, s34, v18
	v_addc_co_u32_e32 v19, vcc, v30, v19, vcc
	v_mov_b32_e32 v29, s35
	v_add_co_u32_e32 v23, vcc, s34, v23
	global_load_dwordx4 v[45:48], v[18:19], off
	v_addc_co_u32_e32 v24, vcc, v29, v24, vcc
	global_load_dwordx4 v[49:52], v[23:24], off
	s_waitcnt vmcnt(1)
	v_mul_f64 v[29:30], v[2:3], v[47:48]
	v_mul_f64 v[53:54], v[2:3], v[45:46]
	s_waitcnt vmcnt(0)
	v_mul_f64 v[55:56], v[0:1], v[49:50]
	v_mul_f64 v[57:58], v[0:1], v[51:52]
	v_fma_f64 v[29:30], v[0:1], v[45:46], v[29:30]
	v_fma_f64 v[53:54], v[0:1], v[47:48], -v[53:54]
	v_fma_f64 v[55:56], v[2:3], v[51:52], -v[55:56]
	v_fma_f64 v[57:58], v[49:50], -v[2:3], -v[57:58]
	v_fma_f64 v[49:50], v[20:21], v[49:50], v[29:30]
	v_fma_f64 v[51:52], v[20:21], v[51:52], v[53:54]
	;; [unrolled: 1-line block ×4, first 2 shown]
	global_store_dwordx4 v[23:24], v[49:52], off
	global_store_dwordx4 v[18:19], v[45:48], off
	s_and_saveexec_b64 s[76:77], s[4:5]
	s_cbranch_execz .LBB126_83
; %bb.89:                               ;   in Loop: Header=BB126_85 Depth=4
	global_load_dwordx4 v[45:48], v[18:19], off offset:16
	global_load_dwordx4 v[49:52], v[23:24], off offset:16
	s_waitcnt vmcnt(1)
	v_mul_f64 v[29:30], v[2:3], v[47:48]
	v_mul_f64 v[53:54], v[2:3], v[45:46]
	s_waitcnt vmcnt(0)
	v_mul_f64 v[55:56], v[0:1], v[49:50]
	v_mul_f64 v[57:58], v[0:1], v[51:52]
	v_fma_f64 v[29:30], v[0:1], v[45:46], v[29:30]
	v_fma_f64 v[53:54], v[0:1], v[47:48], -v[53:54]
	v_fma_f64 v[55:56], v[2:3], v[51:52], -v[55:56]
	v_fma_f64 v[57:58], v[49:50], -v[2:3], -v[57:58]
	v_fma_f64 v[49:50], v[20:21], v[49:50], v[29:30]
	v_fma_f64 v[51:52], v[20:21], v[51:52], v[53:54]
	;; [unrolled: 1-line block ×4, first 2 shown]
	global_store_dwordx4 v[23:24], v[49:52], off offset:16
	global_store_dwordx4 v[18:19], v[45:48], off offset:16
	s_branch .LBB126_83
.LBB126_90:                             ;   in Loop: Header=BB126_50 Depth=3
	s_or_b64 exec, exec, s[72:73]
	s_mov_b64 s[4:5], exec
.LBB126_91:                             ;   in Loop: Header=BB126_50 Depth=3
	s_or_b64 exec, exec, s[16:17]
	s_waitcnt lgkmcnt(0)
	v_mov_b32_e32 v24, v1
	v_xor_b32_e32 v19, 0x80000000, v3
	v_mov_b32_e32 v18, v2
	s_and_b64 s[16:17], s[4:5], exec
	v_mov_b32_e32 v23, v0
.LBB126_92:                             ;   in Loop: Header=BB126_50 Depth=3
	s_or_b64 exec, exec, s[14:15]
	s_waitcnt vmcnt(0)
	s_barrier
	s_and_saveexec_b64 s[4:5], s[16:17]
	s_cbranch_execz .LBB126_97
; %bb.93:                               ;   in Loop: Header=BB126_50 Depth=3
	v_add_u32_e32 v4, v35, v22
	v_add_u32_e32 v5, v35, v12
	;; [unrolled: 1-line block ×4, first 2 shown]
	s_mov_b32 s29, 0
	s_mov_b64 s[14:15], 0
	v_mov_b32_e32 v25, v33
	v_mov_b32_e32 v26, v10
	s_branch .LBB126_95
.LBB126_94:                             ;   in Loop: Header=BB126_95 Depth=4
	s_or_b64 exec, exec, s[16:17]
	v_add_u32_e32 v26, s33, v26
	s_add_i32 s29, s29, s87
	v_cmp_le_i32_e32 vcc, s44, v26
	s_or_b64 s[14:15], vcc, s[14:15]
	v_add_u32_e32 v25, s62, v25
	s_andn2_b64 exec, exec, s[14:15]
	s_cbranch_execz .LBB126_97
.LBB126_95:                             ;   Parent Loop BB126_45 Depth=1
                                        ;     Parent Loop BB126_48 Depth=2
                                        ;       Parent Loop BB126_50 Depth=3
                                        ; =>      This Inner Loop Header: Depth=4
	v_add_u32_e32 v27, s29, v7
	v_ashrrev_i32_e32 v28, 31, v27
	v_lshlrev_b64 v[45:46], 4, v[27:28]
	v_add_u32_e32 v27, s29, v6
	v_ashrrev_i32_e32 v28, 31, v27
	v_lshlrev_b64 v[27:28], 4, v[27:28]
	v_mov_b32_e32 v29, s49
	v_add_co_u32_e32 v49, vcc, s48, v27
	v_addc_co_u32_e32 v50, vcc, v29, v28, vcc
	v_mov_b32_e32 v47, s49
	v_add_co_u32_e32 v51, vcc, s48, v45
	global_load_dwordx4 v[27:30], v[49:50], off
	v_addc_co_u32_e32 v52, vcc, v47, v46, vcc
	global_load_dwordx4 v[45:48], v[51:52], off
	v_cmp_gt_i32_e32 vcc, s23, v25
	s_waitcnt vmcnt(1)
	v_mul_f64 v[53:54], v[2:3], v[29:30]
	v_mul_f64 v[55:56], v[23:24], v[29:30]
	s_waitcnt vmcnt(0)
	v_mul_f64 v[57:58], v[0:1], v[45:46]
	v_mul_f64 v[59:60], v[0:1], v[47:48]
	v_fma_f64 v[53:54], v[23:24], v[27:28], -v[53:54]
	v_fma_f64 v[55:56], v[2:3], v[27:28], v[55:56]
	v_fma_f64 v[57:58], v[18:19], v[47:48], -v[57:58]
	v_fma_f64 v[59:60], v[45:46], -v[18:19], -v[59:60]
	v_fma_f64 v[45:46], v[20:21], v[45:46], v[53:54]
	v_fma_f64 v[47:48], v[20:21], v[47:48], v[55:56]
	;; [unrolled: 1-line block ×4, first 2 shown]
	global_store_dwordx4 v[51:52], v[45:48], off
	global_store_dwordx4 v[49:50], v[27:30], off
	s_and_saveexec_b64 s[16:17], vcc
	s_cbranch_execz .LBB126_94
; %bb.96:                               ;   in Loop: Header=BB126_95 Depth=4
	v_add_u32_e32 v27, s29, v4
	v_ashrrev_i32_e32 v28, 31, v27
	v_lshlrev_b64 v[45:46], 4, v[27:28]
	v_add_u32_e32 v27, s29, v5
	v_ashrrev_i32_e32 v28, 31, v27
	v_lshlrev_b64 v[27:28], 4, v[27:28]
	v_mov_b32_e32 v29, s49
	v_add_co_u32_e32 v49, vcc, s48, v27
	v_addc_co_u32_e32 v50, vcc, v29, v28, vcc
	v_mov_b32_e32 v47, s49
	v_add_co_u32_e32 v51, vcc, s48, v45
	global_load_dwordx4 v[27:30], v[49:50], off
	v_addc_co_u32_e32 v52, vcc, v47, v46, vcc
	global_load_dwordx4 v[45:48], v[51:52], off
	s_waitcnt vmcnt(1)
	v_mul_f64 v[53:54], v[2:3], v[29:30]
	v_mul_f64 v[55:56], v[23:24], v[29:30]
	s_waitcnt vmcnt(0)
	v_mul_f64 v[57:58], v[0:1], v[45:46]
	v_mul_f64 v[59:60], v[0:1], v[47:48]
	v_fma_f64 v[53:54], v[23:24], v[27:28], -v[53:54]
	v_fma_f64 v[55:56], v[2:3], v[27:28], v[55:56]
	v_fma_f64 v[57:58], v[18:19], v[47:48], -v[57:58]
	v_fma_f64 v[59:60], v[45:46], -v[18:19], -v[59:60]
	v_fma_f64 v[45:46], v[20:21], v[45:46], v[53:54]
	v_fma_f64 v[47:48], v[20:21], v[47:48], v[55:56]
	;; [unrolled: 1-line block ×4, first 2 shown]
	global_store_dwordx4 v[51:52], v[45:48], off
	global_store_dwordx4 v[49:50], v[27:30], off
	s_branch .LBB126_94
.LBB126_97:                             ;   in Loop: Header=BB126_50 Depth=3
	s_or_b64 exec, exec, s[4:5]
	s_waitcnt vmcnt(0)
	s_barrier
	s_and_saveexec_b64 s[4:5], s[30:31]
	s_cbranch_execz .LBB126_99
; %bb.98:                               ;   in Loop: Header=BB126_50 Depth=3
	v_mad_u64_u32 v[4:5], s[14:15], v12, s23, v[22:23]
	v_mad_u64_u32 v[27:28], s[14:15], v22, s23, v[12:13]
	v_ashrrev_i32_e32 v5, 31, v4
	v_lshlrev_b64 v[4:5], 4, v[4:5]
	v_mov_b32_e32 v6, s49
	v_add_co_u32_e32 v25, vcc, s48, v4
	v_addc_co_u32_e32 v26, vcc, v6, v5, vcc
	s_mov_b32 s29, s28
	s_mov_b32 s30, s28
	;; [unrolled: 1-line block ×3, first 2 shown]
	v_mov_b32_e32 v4, s28
	v_mov_b32_e32 v5, s29
	v_mov_b32_e32 v6, s30
	v_mov_b32_e32 v7, s31
	v_ashrrev_i32_e32 v28, 31, v27
	global_store_dwordx4 v[25:26], v[4:7], off
	v_lshlrev_b64 v[25:26], 4, v[27:28]
	v_mov_b32_e32 v27, s49
	v_add_co_u32_e32 v25, vcc, s48, v25
	v_addc_co_u32_e32 v26, vcc, v27, v26, vcc
	global_store_dwordx4 v[25:26], v[4:7], off
.LBB126_99:                             ;   in Loop: Header=BB126_50 Depth=3
	s_or_b64 exec, exec, s[4:5]
	s_and_b64 s[4:5], s[12:13], s[10:11]
	s_waitcnt vmcnt(0)
	s_barrier
	s_and_saveexec_b64 s[10:11], s[4:5]
	s_cbranch_execz .LBB126_111
; %bb.100:                              ;   in Loop: Header=BB126_50 Depth=3
	v_cmp_lt_i32_e32 vcc, 0, v22
	s_and_saveexec_b64 s[14:15], vcc
	s_cbranch_execz .LBB126_106
; %bb.101:                              ;   in Loop: Header=BB126_50 Depth=3
	v_cmp_ne_u32_e32 vcc, 2, v22
	v_cmp_ne_u32_e64 s[4:5], s82, v22
	s_and_b64 s[4:5], vcc, s[4:5]
                                        ; implicit-def: $vgpr4
	s_and_saveexec_b64 s[16:17], s[4:5]
	s_xor_b64 s[4:5], exec, s[16:17]
; %bb.102:                              ;   in Loop: Header=BB126_50 Depth=3
	v_and_b32_e32 v4, 1, v22
	v_cmp_eq_u32_e32 vcc, 0, v4
	v_cndmask_b32_e64 v4, 2, -2, vcc
	v_add_u32_e32 v4, v4, v22
                                        ; implicit-def: $vgpr22
; %bb.103:                              ;   in Loop: Header=BB126_50 Depth=3
	s_andn2_saveexec_b64 s[4:5], s[4:5]
; %bb.104:                              ;   in Loop: Header=BB126_50 Depth=3
	v_add_u32_e32 v4, -1, v22
; %bb.105:                              ;   in Loop: Header=BB126_50 Depth=3
	s_or_b64 exec, exec, s[4:5]
	v_lshl_add_u32 v5, v44, 2, s80
	ds_write_b32 v5, v4
.LBB126_106:                            ;   in Loop: Header=BB126_50 Depth=3
	s_or_b64 exec, exec, s[14:15]
	v_cmp_ne_u32_e32 vcc, 2, v12
	v_cmp_ne_u32_e64 s[4:5], s82, v12
	s_and_b64 s[4:5], vcc, s[4:5]
                                        ; implicit-def: $vgpr4
	s_and_saveexec_b64 s[14:15], s[4:5]
	s_xor_b64 s[4:5], exec, s[14:15]
; %bb.107:                              ;   in Loop: Header=BB126_50 Depth=3
	v_and_b32_e32 v4, 1, v12
	v_cmp_eq_u32_e32 vcc, 0, v4
	v_cndmask_b32_e64 v4, 2, -2, vcc
	v_add_u32_e32 v4, v4, v12
                                        ; implicit-def: $vgpr12
; %bb.108:                              ;   in Loop: Header=BB126_50 Depth=3
	s_andn2_saveexec_b64 s[4:5], s[4:5]
; %bb.109:                              ;   in Loop: Header=BB126_50 Depth=3
	v_add_u32_e32 v4, -1, v12
; %bb.110:                              ;   in Loop: Header=BB126_50 Depth=3
	s_or_b64 exec, exec, s[4:5]
	ds_write_b32 v43, v4
.LBB126_111:                            ;   in Loop: Header=BB126_50 Depth=3
	s_or_b64 exec, exec, s[10:11]
	s_add_i32 s4, s88, 1
	s_cmp_eq_u32 s88, s83
	s_waitcnt lgkmcnt(0)
	s_barrier
	s_cbranch_scc1 .LBB126_47
; %bb.112:                              ;   in Loop: Header=BB126_50 Depth=3
	s_mov_b32 s88, s4
	s_branch .LBB126_50
.LBB126_113:                            ;   in Loop: Header=BB126_45 Depth=1
	s_and_saveexec_b64 s[10:11], s[12:13]
	s_cbranch_execz .LBB126_123
; %bb.114:                              ;   in Loop: Header=BB126_45 Depth=1
	v_mov_b32_e32 v4, 0
	v_mov_b32_e32 v5, 0
	s_and_saveexec_b64 s[14:15], s[8:9]
	s_cbranch_execz .LBB126_122
; %bb.115:                              ;   in Loop: Header=BB126_45 Depth=1
	v_mov_b32_e32 v4, 0
	v_mov_b32_e32 v6, v14
	v_mov_b32_e32 v5, 0
	s_mov_b64 s[16:17], 0
	v_mov_b32_e32 v7, v15
	v_mov_b32_e32 v12, v13
	s_branch .LBB126_117
.LBB126_116:                            ;   in Loop: Header=BB126_117 Depth=2
	s_or_b64 exec, exec, s[30:31]
	v_add_u32_e32 v12, s26, v12
	v_cmp_le_i32_e32 vcc, s23, v12
	v_mov_b32_e32 v22, s67
	s_or_b64 s[16:17], vcc, s[16:17]
	v_add_co_u32_e32 v6, vcc, s66, v6
	v_addc_co_u32_e32 v7, vcc, v7, v22, vcc
	s_andn2_b64 exec, exec, s[16:17]
	s_cbranch_execz .LBB126_121
.LBB126_117:                            ;   Parent Loop BB126_45 Depth=1
                                        ; =>  This Loop Header: Depth=2
                                        ;       Child Loop BB126_119 Depth 3
	v_cmp_lt_i32_e32 vcc, 0, v12
	s_and_saveexec_b64 s[30:31], vcc
	s_cbranch_execz .LBB126_116
; %bb.118:                              ;   in Loop: Header=BB126_117 Depth=2
	v_mov_b32_e32 v26, v7
	s_mov_b32 s29, 0
	s_mov_b64 s[72:73], 0
	v_mov_b32_e32 v25, v6
.LBB126_119:                            ;   Parent Loop BB126_45 Depth=1
                                        ;     Parent Loop BB126_117 Depth=2
                                        ; =>    This Inner Loop Header: Depth=3
	global_load_dwordx4 v[27:30], v[25:26], off offset:-8
	s_add_i32 s29, s29, 1
	v_mov_b32_e32 v22, s69
	v_add_co_u32_e32 v25, vcc, s68, v25
	v_cmp_eq_u32_e64 s[4:5], s29, v12
	s_or_b64 s[72:73], s[4:5], s[72:73]
	v_addc_co_u32_e32 v26, vcc, v26, v22, vcc
	s_waitcnt vmcnt(0)
	v_mul_f64 v[29:30], v[29:30], v[29:30]
	v_fma_f64 v[27:28], v[27:28], v[27:28], v[29:30]
	v_fma_f64 v[4:5], v[27:28], 2.0, v[4:5]
	s_andn2_b64 exec, exec, s[72:73]
	s_cbranch_execnz .LBB126_119
; %bb.120:                              ;   in Loop: Header=BB126_117 Depth=2
	s_or_b64 exec, exec, s[72:73]
	s_branch .LBB126_116
.LBB126_121:                            ;   in Loop: Header=BB126_45 Depth=1
	s_or_b64 exec, exec, s[16:17]
.LBB126_122:                            ;   in Loop: Header=BB126_45 Depth=1
	s_or_b64 exec, exec, s[14:15]
	ds_write_b64 v31, v[4:5]
.LBB126_123:                            ;   in Loop: Header=BB126_45 Depth=1
	s_or_b64 exec, exec, s[10:11]
	s_andn2_b64 vcc, exec, s[24:25]
	s_waitcnt lgkmcnt(0)
	s_barrier
	s_cbranch_vccnz .LBB126_43
; %bb.124:                              ;   in Loop: Header=BB126_45 Depth=1
	s_andn2_b64 vcc, exec, s[58:59]
	s_cbranch_vccnz .LBB126_128
; %bb.125:                              ;   in Loop: Header=BB126_45 Depth=1
	v_mov_b32_e32 v4, 0
	s_mov_b32 s4, 0
	v_mov_b32_e32 v5, 0
	s_mov_b32 s5, 0
.LBB126_126:                            ;   Parent Loop BB126_45 Depth=1
                                        ; =>  This Inner Loop Header: Depth=2
	v_mov_b32_e32 v12, s5
	ds_read2_b64 v[25:28], v12 offset1:1
	ds_read2_b64 v[43:46], v12 offset0:2 offset1:3
	s_add_i32 s4, s4, 8
	s_add_i32 s5, s5, 64
	s_cmp_lg_u32 s86, s4
	s_waitcnt lgkmcnt(1)
	v_add_f64 v[4:5], v[4:5], v[25:26]
	v_add_f64 v[4:5], v[4:5], v[27:28]
	s_waitcnt lgkmcnt(0)
	v_add_f64 v[4:5], v[4:5], v[43:44]
	v_add_f64 v[29:30], v[4:5], v[45:46]
	ds_read2_b64 v[4:7], v12 offset0:4 offset1:5
	ds_read2_b64 v[25:28], v12 offset0:6 offset1:7
	s_waitcnt lgkmcnt(1)
	v_add_f64 v[4:5], v[29:30], v[4:5]
	v_add_f64 v[4:5], v[4:5], v[6:7]
	s_waitcnt lgkmcnt(0)
	v_add_f64 v[4:5], v[4:5], v[25:26]
	v_add_f64 v[4:5], v[4:5], v[27:28]
	s_cbranch_scc1 .LBB126_126
; %bb.127:                              ;   in Loop: Header=BB126_45 Depth=1
	s_mov_b32 s4, s86
	s_andn2_b64 vcc, exec, s[60:61]
	s_cbranch_vccz .LBB126_129
	s_branch .LBB126_44
.LBB126_128:                            ;   in Loop: Header=BB126_45 Depth=1
	v_mov_b32_e32 v4, 0
	v_mov_b32_e32 v5, 0
	s_mov_b32 s4, 0
	s_andn2_b64 vcc, exec, s[60:61]
	s_cbranch_vccnz .LBB126_44
.LBB126_129:                            ;   in Loop: Header=BB126_45 Depth=1
	s_lshl_b32 s4, s4, 3
	s_add_i32 s4, s4, 0
	s_mov_b32 s5, s85
.LBB126_130:                            ;   Parent Loop BB126_45 Depth=1
                                        ; =>  This Inner Loop Header: Depth=2
	v_mov_b32_e32 v6, s4
	ds_read_b64 v[6:7], v6
	s_add_i32 s4, s4, 8
	s_add_i32 s5, s5, -1
	s_cmp_lg_u32 s5, 0
	s_waitcnt lgkmcnt(0)
	v_add_f64 v[4:5], v[4:5], v[6:7]
	s_cbranch_scc1 .LBB126_130
	s_branch .LBB126_44
.LBB126_131:
	s_mul_i32 s4, s40, s51
	s_mul_hi_u32 s5, s40, s50
	s_add_i32 s4, s5, s4
	s_mul_i32 s5, s41, s50
	s_add_i32 s7, s4, s5
	s_mul_i32 s6, s40, s50
	s_and_saveexec_b64 s[8:9], s[12:13]
	s_cbranch_execz .LBB126_137
; %bb.132:
	v_cmp_eq_u32_e32 vcc, 0, v13
	s_and_saveexec_b64 s[4:5], vcc
	s_cbranch_execz .LBB126_134
; %bb.133:
	s_mov_b32 s16, 0
	s_lshl_b64 s[10:11], s[50:51], 3
	s_brev_b32 s17, 8
	s_add_u32 s10, s18, s10
	v_cmp_gt_f64_e32 vcc, s[16:17], v[4:5]
	s_addc_u32 s11, s19, s11
	s_lshl_b64 s[14:15], s[50:51], 2
	s_add_u32 s16, s36, s14
	s_addc_u32 s17, s37, s15
	s_add_u32 s14, s42, s14
	s_addc_u32 s15, s43, s15
	s_cmp_gt_i32 s45, s22
	s_cselect_b64 s[18:19], -1, 0
	s_min_i32 s22, s45, s22
	s_and_b64 s[24:25], vcc, exec
	s_cselect_b32 s24, 0x100, 0
	v_ldexp_f64 v[0:1], v[4:5], s24
	s_cselect_b32 s24, 0xffffff80, 0
	v_rsq_f64_e32 v[2:3], v[0:1]
	v_mul_f64 v[4:5], v[0:1], v[2:3]
	v_mul_f64 v[2:3], v[2:3], 0.5
	v_fma_f64 v[6:7], -v[2:3], v[4:5], 0.5
	v_fma_f64 v[4:5], v[4:5], v[6:7], v[4:5]
	v_fma_f64 v[2:3], v[2:3], v[6:7], v[2:3]
	v_fma_f64 v[6:7], -v[4:5], v[4:5], v[0:1]
	v_fma_f64 v[4:5], v[6:7], v[2:3], v[4:5]
	v_fma_f64 v[6:7], -v[4:5], v[4:5], v[0:1]
	v_fma_f64 v[2:3], v[6:7], v[2:3], v[4:5]
	v_mov_b32_e32 v4, 0x260
	v_cmp_class_f64_e32 vcc, v[0:1], v4
	v_mov_b32_e32 v4, 0
	v_mov_b32_e32 v6, s22
	v_cndmask_b32_e64 v5, 0, 1, s[18:19]
	global_store_dword v4, v6, s[16:17]
	v_ldexp_f64 v[2:3], v[2:3], s24
	v_cndmask_b32_e32 v1, v3, v1, vcc
	v_cndmask_b32_e32 v0, v2, v0, vcc
	global_store_dwordx2 v4, v[0:1], s[10:11]
	global_store_dword v4, v5, s[14:15]
.LBB126_134:
	s_or_b64 exec, exec, s[4:5]
	v_cmp_gt_i32_e32 vcc, s23, v13
	s_and_b64 exec, exec, vcc
	s_cbranch_execz .LBB126_137
; %bb.135:
	s_add_i32 s14, s23, 1
	s_lshl_b64 s[4:5], s[6:7], 3
	s_add_u32 s4, s38, s4
	v_ashrrev_i32_e32 v14, 31, v13
	s_addc_u32 s5, s39, s5
	s_ashr_i32 s47, s46, 31
	v_mov_b32_e32 v2, s46
	v_lshlrev_b64 v[0:1], 3, v[13:14]
	s_ashr_i32 s45, s44, 31
	v_mov_b32_e32 v3, s47
	v_cmp_lt_i64_e32 vcc, s[44:45], v[2:3]
	v_mov_b32_e32 v4, s5
	v_add_co_u32_e64 v0, s[4:5], s4, v0
	v_addc_co_u32_e64 v1, s[4:5], v4, v1, s[4:5]
	s_and_b64 s[4:5], vcc, exec
	v_mad_u64_u32 v[2:3], s[10:11], v13, s23, v[13:14]
	s_cselect_b32 s5, s45, s47
	s_cselect_b32 s4, s44, s46
	s_lshl_b64 s[4:5], s[4:5], 3
	s_mul_i32 s14, s26, s14
	s_mov_b64 s[10:11], 0
	v_mov_b32_e32 v4, s49
	v_mov_b32_e32 v5, s5
	;; [unrolled: 1-line block ×3, first 2 shown]
.LBB126_136:                            ; =>This Inner Loop Header: Depth=1
	v_ashrrev_i32_e32 v3, 31, v2
	v_lshlrev_b64 v[7:8], 4, v[2:3]
	v_add_u32_e32 v6, s26, v6
	v_add_co_u32_e32 v7, vcc, s48, v7
	v_addc_co_u32_e32 v8, vcc, v4, v8, vcc
	global_load_dwordx2 v[7:8], v[7:8], off
	v_cmp_le_i32_e32 vcc, s23, v6
	s_or_b64 s[10:11], vcc, s[10:11]
	v_add_u32_e32 v2, s14, v2
	s_waitcnt vmcnt(0)
	global_store_dwordx2 v[0:1], v[7:8], off
	v_add_co_u32_e32 v0, vcc, s4, v0
	v_addc_co_u32_e32 v1, vcc, v1, v5, vcc
	s_andn2_b64 exec, exec, s[10:11]
	s_cbranch_execnz .LBB126_136
.LBB126_137:
	s_or_b64 exec, exec, s[8:9]
	s_cmpk_eq_i32 s20, 0xfb
	s_cselect_b64 s[4:5], -1, 0
	s_cmp_lt_i32 s23, 2
	s_cselect_b64 s[8:9], -1, 0
	s_or_b64 s[4:5], s[4:5], s[8:9]
	s_and_b64 vcc, exec, s[4:5]
	s_waitcnt vmcnt(0)
	s_barrier
	s_cbranch_vccnz .LBB126_148
; %bb.138:
	s_lshl_b64 s[4:5], s[6:7], 3
	s_add_u32 s22, s38, s4
	s_addc_u32 s28, s39, s5
	s_cmpk_lg_i32 s21, 0xd5
	s_cselect_b64 s[4:5], -1, 0
	v_cmp_gt_i32_e32 vcc, s23, v13
	s_and_b64 s[10:11], s[4:5], vcc
	s_add_i32 s29, s23, -2
	s_add_u32 s14, s22, 8
	s_addc_u32 s15, s28, 0
	s_ashr_i32 s47, s46, 31
	v_mov_b32_e32 v0, s46
	s_ashr_i32 s45, s44, 31
	v_mov_b32_e32 v1, s47
	v_cmp_lt_i64_e64 s[4:5], s[44:45], v[0:1]
	s_mov_b32 s9, 0
	s_and_b64 s[4:5], s[4:5], exec
	s_cselect_b32 s5, s45, s47
	s_cselect_b32 s4, s44, s46
	v_cmp_eq_u32_e32 vcc, 0, v13
	s_lshl_b64 s[16:17], s[4:5], 4
	v_mov_b32_e32 v5, 0
	v_mov_b32_e32 v0, v13
	s_mov_b32 s8, s9
	s_branch .LBB126_140
.LBB126_139:                            ;   in Loop: Header=BB126_140 Depth=1
	s_or_b64 exec, exec, s[18:19]
	s_add_u32 s14, s14, 8
	s_addc_u32 s15, s15, 0
	v_add_u32_e32 v0, s27, v0
	s_cmp_lg_u32 s8, s29
	s_mov_b32 s8, s30
	s_waitcnt vmcnt(0)
	s_barrier
	s_cbranch_scc0 .LBB126_148
.LBB126_140:                            ; =>This Loop Header: Depth=1
                                        ;     Child Loop BB126_141 Depth 2
                                        ;     Child Loop BB126_147 Depth 2
	s_lshl_b64 s[4:5], s[8:9], 3
	s_add_u32 s20, s22, s4
	s_addc_u32 s21, s28, s5
	global_load_dwordx2 v[1:2], v5, s[20:21]
	s_add_i32 s30, s8, 1
	s_mov_b64 s[18:19], s[14:15]
	s_mov_b32 s6, s8
	s_mov_b32 s7, s30
.LBB126_141:                            ;   Parent Loop BB126_140 Depth=1
                                        ; =>  This Inner Loop Header: Depth=2
	global_load_dwordx2 v[3:4], v5, s[18:19]
	s_waitcnt vmcnt(0)
	v_cmp_lt_f64_e64 s[4:5], v[3:4], v[1:2]
	s_and_b64 s[24:25], s[4:5], exec
	s_cselect_b32 s6, s7, s6
	s_add_i32 s7, s7, 1
	s_add_u32 s18, s18, 8
	s_addc_u32 s19, s19, 0
	v_cndmask_b32_e64 v2, v2, v4, s[4:5]
	s_cmp_lg_u32 s23, s7
	v_cndmask_b32_e64 v1, v1, v3, s[4:5]
	s_cbranch_scc1 .LBB126_141
; %bb.142:                              ;   in Loop: Header=BB126_140 Depth=1
	s_cmp_lg_u32 s6, s8
	s_cselect_b64 s[4:5], -1, 0
	s_and_b64 s[4:5], s[12:13], s[4:5]
	s_barrier
	s_and_saveexec_b64 s[18:19], s[4:5]
	s_cbranch_execz .LBB126_139
; %bb.143:                              ;   in Loop: Header=BB126_140 Depth=1
	s_and_saveexec_b64 s[4:5], vcc
	s_cbranch_execz .LBB126_145
; %bb.144:                              ;   in Loop: Header=BB126_140 Depth=1
	global_load_dwordx2 v[3:4], v5, s[20:21]
	s_ashr_i32 s7, s6, 31
	s_lshl_b64 s[24:25], s[6:7], 3
	s_add_u32 s24, s22, s24
	s_addc_u32 s25, s28, s25
	s_waitcnt vmcnt(0)
	global_store_dwordx2 v5, v[3:4], s[24:25]
	global_store_dwordx2 v5, v[1:2], s[20:21]
.LBB126_145:                            ;   in Loop: Header=BB126_140 Depth=1
	s_or_b64 exec, exec, s[4:5]
	s_and_b64 exec, exec, s[10:11]
	s_cbranch_execz .LBB126_139
; %bb.146:                              ;   in Loop: Header=BB126_140 Depth=1
	s_mul_i32 s4, s6, s27
	v_add_u32_e32 v3, s4, v13
	v_ashrrev_i32_e32 v1, 31, v0
	v_ashrrev_i32_e32 v4, 31, v3
	v_lshlrev_b64 v[1:2], 4, v[0:1]
	v_lshlrev_b64 v[3:4], 4, v[3:4]
	s_mov_b64 s[20:21], 0
	s_mov_b64 s[24:25], s[34:35]
	v_mov_b32_e32 v6, v13
.LBB126_147:                            ;   Parent Loop BB126_140 Depth=1
                                        ; =>  This Inner Loop Header: Depth=2
	v_mov_b32_e32 v7, s25
	v_add_co_u32_e64 v11, s[4:5], s24, v1
	v_add_co_u32_e64 v18, s[6:7], s24, v3
	v_addc_co_u32_e64 v12, s[4:5], v7, v2, s[4:5]
	v_addc_co_u32_e64 v19, s[6:7], v7, v4, s[6:7]
	global_load_dwordx4 v[7:10], v[11:12], off
	global_load_dwordx4 v[14:17], v[18:19], off
	v_add_u32_e32 v6, s26, v6
	s_add_u32 s24, s24, s16
	s_addc_u32 s25, s25, s17
	v_cmp_le_i32_e64 s[4:5], s23, v6
	s_or_b64 s[20:21], s[4:5], s[20:21]
	s_waitcnt vmcnt(1)
	global_store_dwordx4 v[18:19], v[7:10], off
	s_waitcnt vmcnt(1)
	global_store_dwordx4 v[11:12], v[14:17], off
	s_andn2_b64 exec, exec, s[20:21]
	s_cbranch_execnz .LBB126_147
	s_branch .LBB126_139
.LBB126_148:
	s_endpgm
	.section	.rodata,"a",@progbits
	.p2align	6, 0x0
	.amdhsa_kernel _ZN9rocsolver6v33100L18syevj_small_kernelI19rocblas_complex_numIdEdPS3_EEv14rocblas_esort_14rocblas_evect_13rocblas_fill_iT1_iilT0_S9_PS9_iPiSA_lSB_PT_
		.amdhsa_group_segment_fixed_size 0
		.amdhsa_private_segment_fixed_size 24
		.amdhsa_kernarg_size 112
		.amdhsa_user_sgpr_count 6
		.amdhsa_user_sgpr_private_segment_buffer 1
		.amdhsa_user_sgpr_dispatch_ptr 0
		.amdhsa_user_sgpr_queue_ptr 0
		.amdhsa_user_sgpr_kernarg_segment_ptr 1
		.amdhsa_user_sgpr_dispatch_id 0
		.amdhsa_user_sgpr_flat_scratch_init 0
		.amdhsa_user_sgpr_private_segment_size 0
		.amdhsa_uses_dynamic_stack 0
		.amdhsa_system_sgpr_private_segment_wavefront_offset 1
		.amdhsa_system_sgpr_workgroup_id_x 1
		.amdhsa_system_sgpr_workgroup_id_y 0
		.amdhsa_system_sgpr_workgroup_id_z 1
		.amdhsa_system_sgpr_workgroup_info 0
		.amdhsa_system_vgpr_workitem_id 0
		.amdhsa_next_free_vgpr 61
		.amdhsa_next_free_sgpr 92
		.amdhsa_reserve_vcc 1
		.amdhsa_reserve_flat_scratch 0
		.amdhsa_float_round_mode_32 0
		.amdhsa_float_round_mode_16_64 0
		.amdhsa_float_denorm_mode_32 3
		.amdhsa_float_denorm_mode_16_64 3
		.amdhsa_dx10_clamp 1
		.amdhsa_ieee_mode 1
		.amdhsa_fp16_overflow 0
		.amdhsa_exception_fp_ieee_invalid_op 0
		.amdhsa_exception_fp_denorm_src 0
		.amdhsa_exception_fp_ieee_div_zero 0
		.amdhsa_exception_fp_ieee_overflow 0
		.amdhsa_exception_fp_ieee_underflow 0
		.amdhsa_exception_fp_ieee_inexact 0
		.amdhsa_exception_int_div_zero 0
	.end_amdhsa_kernel
	.section	.text._ZN9rocsolver6v33100L18syevj_small_kernelI19rocblas_complex_numIdEdPS3_EEv14rocblas_esort_14rocblas_evect_13rocblas_fill_iT1_iilT0_S9_PS9_iPiSA_lSB_PT_,"axG",@progbits,_ZN9rocsolver6v33100L18syevj_small_kernelI19rocblas_complex_numIdEdPS3_EEv14rocblas_esort_14rocblas_evect_13rocblas_fill_iT1_iilT0_S9_PS9_iPiSA_lSB_PT_,comdat
.Lfunc_end126:
	.size	_ZN9rocsolver6v33100L18syevj_small_kernelI19rocblas_complex_numIdEdPS3_EEv14rocblas_esort_14rocblas_evect_13rocblas_fill_iT1_iilT0_S9_PS9_iPiSA_lSB_PT_, .Lfunc_end126-_ZN9rocsolver6v33100L18syevj_small_kernelI19rocblas_complex_numIdEdPS3_EEv14rocblas_esort_14rocblas_evect_13rocblas_fill_iT1_iilT0_S9_PS9_iPiSA_lSB_PT_
                                        ; -- End function
	.set _ZN9rocsolver6v33100L18syevj_small_kernelI19rocblas_complex_numIdEdPS3_EEv14rocblas_esort_14rocblas_evect_13rocblas_fill_iT1_iilT0_S9_PS9_iPiSA_lSB_PT_.num_vgpr, 61
	.set _ZN9rocsolver6v33100L18syevj_small_kernelI19rocblas_complex_numIdEdPS3_EEv14rocblas_esort_14rocblas_evect_13rocblas_fill_iT1_iilT0_S9_PS9_iPiSA_lSB_PT_.num_agpr, 0
	.set _ZN9rocsolver6v33100L18syevj_small_kernelI19rocblas_complex_numIdEdPS3_EEv14rocblas_esort_14rocblas_evect_13rocblas_fill_iT1_iilT0_S9_PS9_iPiSA_lSB_PT_.numbered_sgpr, 92
	.set _ZN9rocsolver6v33100L18syevj_small_kernelI19rocblas_complex_numIdEdPS3_EEv14rocblas_esort_14rocblas_evect_13rocblas_fill_iT1_iilT0_S9_PS9_iPiSA_lSB_PT_.num_named_barrier, 0
	.set _ZN9rocsolver6v33100L18syevj_small_kernelI19rocblas_complex_numIdEdPS3_EEv14rocblas_esort_14rocblas_evect_13rocblas_fill_iT1_iilT0_S9_PS9_iPiSA_lSB_PT_.private_seg_size, 24
	.set _ZN9rocsolver6v33100L18syevj_small_kernelI19rocblas_complex_numIdEdPS3_EEv14rocblas_esort_14rocblas_evect_13rocblas_fill_iT1_iilT0_S9_PS9_iPiSA_lSB_PT_.uses_vcc, 1
	.set _ZN9rocsolver6v33100L18syevj_small_kernelI19rocblas_complex_numIdEdPS3_EEv14rocblas_esort_14rocblas_evect_13rocblas_fill_iT1_iilT0_S9_PS9_iPiSA_lSB_PT_.uses_flat_scratch, 0
	.set _ZN9rocsolver6v33100L18syevj_small_kernelI19rocblas_complex_numIdEdPS3_EEv14rocblas_esort_14rocblas_evect_13rocblas_fill_iT1_iilT0_S9_PS9_iPiSA_lSB_PT_.has_dyn_sized_stack, 0
	.set _ZN9rocsolver6v33100L18syevj_small_kernelI19rocblas_complex_numIdEdPS3_EEv14rocblas_esort_14rocblas_evect_13rocblas_fill_iT1_iilT0_S9_PS9_iPiSA_lSB_PT_.has_recursion, 0
	.set _ZN9rocsolver6v33100L18syevj_small_kernelI19rocblas_complex_numIdEdPS3_EEv14rocblas_esort_14rocblas_evect_13rocblas_fill_iT1_iilT0_S9_PS9_iPiSA_lSB_PT_.has_indirect_call, 0
	.section	.AMDGPU.csdata,"",@progbits
; Kernel info:
; codeLenInByte = 8600
; TotalNumSgprs: 96
; NumVgprs: 61
; ScratchSize: 24
; MemoryBound: 0
; FloatMode: 240
; IeeeMode: 1
; LDSByteSize: 0 bytes/workgroup (compile time only)
; SGPRBlocks: 11
; VGPRBlocks: 15
; NumSGPRsForWavesPerEU: 96
; NumVGPRsForWavesPerEU: 61
; Occupancy: 4
; WaveLimiterHint : 0
; COMPUTE_PGM_RSRC2:SCRATCH_EN: 1
; COMPUTE_PGM_RSRC2:USER_SGPR: 6
; COMPUTE_PGM_RSRC2:TRAP_HANDLER: 0
; COMPUTE_PGM_RSRC2:TGID_X_EN: 1
; COMPUTE_PGM_RSRC2:TGID_Y_EN: 0
; COMPUTE_PGM_RSRC2:TGID_Z_EN: 1
; COMPUTE_PGM_RSRC2:TIDIG_COMP_CNT: 0
	.section	.text._ZN9rocsolver6v33100L10syevj_initI19rocblas_complex_numIdEdPS3_EEv14rocblas_evect_13rocblas_fill_iiT1_iilT0_PS8_PT_S9_PiSC_SC_,"axG",@progbits,_ZN9rocsolver6v33100L10syevj_initI19rocblas_complex_numIdEdPS3_EEv14rocblas_evect_13rocblas_fill_iiT1_iilT0_PS8_PT_S9_PiSC_SC_,comdat
	.globl	_ZN9rocsolver6v33100L10syevj_initI19rocblas_complex_numIdEdPS3_EEv14rocblas_evect_13rocblas_fill_iiT1_iilT0_PS8_PT_S9_PiSC_SC_ ; -- Begin function _ZN9rocsolver6v33100L10syevj_initI19rocblas_complex_numIdEdPS3_EEv14rocblas_evect_13rocblas_fill_iiT1_iilT0_PS8_PT_S9_PiSC_SC_
	.p2align	8
	.type	_ZN9rocsolver6v33100L10syevj_initI19rocblas_complex_numIdEdPS3_EEv14rocblas_evect_13rocblas_fill_iiT1_iilT0_PS8_PT_S9_PiSC_SC_,@function
_ZN9rocsolver6v33100L10syevj_initI19rocblas_complex_numIdEdPS3_EEv14rocblas_evect_13rocblas_fill_iiT1_iilT0_PS8_PT_S9_PiSC_SC_: ; @_ZN9rocsolver6v33100L10syevj_initI19rocblas_complex_numIdEdPS3_EEv14rocblas_evect_13rocblas_fill_iiT1_iilT0_PS8_PT_S9_PiSC_SC_
; %bb.0:
	s_load_dword s0, s[4:5], 0x6c
	s_load_dwordx8 s[24:31], s[4:5], 0x0
	s_load_dwordx16 s[8:23], s[4:5], 0x20
	s_ashr_i32 s35, s7, 31
	s_mov_b32 s34, s7
	s_waitcnt lgkmcnt(0)
	s_and_b32 s33, s0, 0xffff
	s_ashr_i32 s1, s30, 31
	s_mul_hi_u32 s2, s8, s7
	s_mul_i32 s3, s8, s35
	s_add_i32 s2, s2, s3
	s_mul_i32 s3, s9, s7
	s_add_i32 s3, s2, s3
	s_mul_i32 s2, s8, s7
	s_lshl_b64 s[2:3], s[2:3], 4
	s_mov_b32 s0, s30
	s_add_u32 s6, s28, s2
	s_addc_u32 s7, s29, s3
	s_lshl_b64 s[4:5], s[0:1], 4
	s_mul_i32 s0, s27, s34
	s_add_u32 s30, s6, s4
	s_mul_i32 s0, s0, s27
	s_addc_u32 s46, s7, s5
	s_ashr_i32 s1, s0, 31
	s_lshl_b64 s[8:9], s[0:1], 4
	s_add_u32 s47, s14, s8
	s_addc_u32 s48, s15, s9
	s_cmpk_eq_i32 s25, 0x79
	v_cmp_gt_i32_e64 s[0:1], s27, v0
	s_cbranch_scc1 .LBB127_12
; %bb.1:
	v_mov_b32_e32 v13, 0
	v_mov_b32_e32 v15, 0
	;; [unrolled: 1-line block ×4, first 2 shown]
	s_and_saveexec_b64 s[36:37], s[0:1]
	s_cbranch_execz .LBB127_14
; %bb.2:
	s_add_i32 s25, s27, 1
	s_cmpk_lg_i32 s24, 0xd5
	s_cselect_b64 s[6:7], -1, 0
	s_add_u32 s2, s2, s4
	s_addc_u32 s3, s3, s5
	s_add_u32 s2, s28, s2
	v_lshlrev_b32_e32 v1, 4, v0
	s_addc_u32 s3, s29, s3
	v_mov_b32_e32 v2, s3
	v_add_co_u32_e32 v3, vcc, s2, v1
	s_ashr_i32 s3, s31, 31
	s_mov_b32 s2, s31
	v_addc_co_u32_e32 v2, vcc, 0, v2, vcc
	s_lshl_b32 s50, s33, 4
	s_lshl_b64 s[28:29], s[2:3], 4
	v_add_co_u32_e32 v17, vcc, 8, v3
	s_add_u32 s2, s14, s8
	v_addc_co_u32_e32 v18, vcc, 0, v2, vcc
	s_addc_u32 s3, s15, s9
	v_mul_lo_u32 v28, v0, s31
	v_mul_lo_u32 v19, v0, s27
	v_mov_b32_e32 v2, s3
	v_add_co_u32_e32 v1, vcc, s2, v1
	s_add_u32 s51, s2, 8
	v_addc_co_u32_e32 v2, vcc, 0, v2, vcc
	s_addc_u32 s52, s3, 0
	v_add_co_u32_e32 v21, vcc, 8, v1
	s_ashr_i32 s3, s27, 31
	s_mov_b32 s2, s27
	v_mov_b32_e32 v13, 0
	v_cndmask_b32_e64 v1, 0, 1, s[6:7]
	v_mov_b32_e32 v15, 0
	s_mul_i32 s49, s31, s33
	s_mov_b32 s4, 0
	s_mul_i32 s53, s27, s33
	v_addc_co_u32_e32 v22, vcc, 0, v2, vcc
	s_lshl_b64 s[38:39], s[2:3], 4
	v_mov_b32_e32 v14, 0
	s_mov_b64 s[40:41], 0
	v_mov_b32_e32 v29, s46
	v_mov_b32_e32 v30, s48
	v_cmp_ne_u32_e64 s[2:3], 1, v1
	v_mov_b32_e32 v1, 0
	v_mov_b32_e32 v2, 0x3ff00000
	;; [unrolled: 1-line block ×4, first 2 shown]
	s_branch .LBB127_5
.LBB127_3:                              ;   in Loop: Header=BB127_5 Depth=1
	s_or_b64 exec, exec, s[44:45]
.LBB127_4:                              ;   in Loop: Header=BB127_5 Depth=1
	s_or_b64 exec, exec, s[42:43]
	v_mul_f64 v[3:4], v[7:8], v[7:8]
	v_add_co_u32_e32 v17, vcc, s50, v17
	v_add_u32_e32 v23, s33, v23
	v_addc_co_u32_e32 v18, vcc, 0, v18, vcc
	v_cmp_le_i32_e32 vcc, s27, v23
	s_or_b64 s[40:41], vcc, s[40:41]
	v_fma_f64 v[3:4], v[5:6], v[5:6], v[3:4]
	v_add_co_u32_e32 v21, vcc, s50, v21
	v_add_u32_e32 v28, s49, v28
	v_add_u32_e32 v19, s53, v19
	v_addc_co_u32_e32 v22, vcc, 0, v22, vcc
	v_add_f64 v[15:16], v[15:16], v[3:4]
	s_andn2_b64 exec, exec, s[40:41]
	s_cbranch_execz .LBB127_13
.LBB127_5:                              ; =>This Loop Header: Depth=1
                                        ;     Child Loop BB127_10 Depth 2
	v_mad_u64_u32 v[3:4], s[6:7], v23, s31, v[23:24]
	v_ashrrev_i32_e32 v4, 31, v3
	v_lshlrev_b64 v[3:4], 4, v[3:4]
	v_add_co_u32_e32 v9, vcc, s30, v3
	v_addc_co_u32_e32 v10, vcc, v29, v4, vcc
	global_load_dwordx4 v[5:8], v[9:10], off
	v_mul_lo_u32 v3, v23, s25
	v_ashrrev_i32_e32 v4, 31, v3
	v_lshlrev_b64 v[3:4], 4, v[3:4]
	v_add_co_u32_e32 v3, vcc, s47, v3
	v_addc_co_u32_e32 v4, vcc, v30, v4, vcc
	s_and_b64 vcc, exec, s[2:3]
	s_waitcnt vmcnt(0)
	global_store_dwordx4 v[3:4], v[5:8], off
	s_cbranch_vccnz .LBB127_7
; %bb.6:                                ;   in Loop: Header=BB127_5 Depth=1
	v_mov_b32_e32 v3, v1
	v_mov_b32_e32 v4, v1
	global_store_dwordx4 v[9:10], v[1:4], off
.LBB127_7:                              ;   in Loop: Header=BB127_5 Depth=1
	v_cmp_ne_u32_e32 vcc, 0, v23
	s_and_saveexec_b64 s[42:43], vcc
	s_cbranch_execz .LBB127_4
; %bb.8:                                ;   in Loop: Header=BB127_5 Depth=1
	v_ashrrev_i32_e32 v20, 31, v19
	v_lshlrev_b64 v[3:4], 4, v[19:20]
	v_mov_b32_e32 v9, s52
	v_add_co_u32_e32 v3, vcc, s51, v3
	v_mov_b32_e32 v25, v22
	v_mov_b32_e32 v27, v18
	v_addc_co_u32_e32 v4, vcc, v9, v4, vcc
	s_mov_b32 s54, 0
	s_mov_b64 s[44:45], 0
	v_mov_b32_e32 v24, v21
	v_mov_b32_e32 v26, v17
	s_branch .LBB127_10
.LBB127_9:                              ;   in Loop: Header=BB127_10 Depth=2
	v_mul_f64 v[11:12], v[11:12], v[11:12]
	v_add_co_u32_e32 v26, vcc, s28, v26
	s_add_i32 s54, s54, 1
	v_fma_f64 v[9:10], v[9:10], v[9:10], v[11:12]
	v_mov_b32_e32 v11, s29
	v_addc_co_u32_e32 v27, vcc, v27, v11, vcc
	v_add_co_u32_e32 v3, vcc, 16, v3
	v_addc_co_u32_e32 v4, vcc, 0, v4, vcc
	v_fma_f64 v[13:14], v[9:10], 2.0, v[13:14]
	v_cmp_eq_u32_e32 vcc, s54, v23
	v_mov_b32_e32 v9, s39
	s_or_b64 s[44:45], vcc, s[44:45]
	v_add_co_u32_e32 v24, vcc, s38, v24
	v_addc_co_u32_e32 v25, vcc, v25, v9, vcc
	s_andn2_b64 exec, exec, s[44:45]
	s_cbranch_execz .LBB127_3
.LBB127_10:                             ;   Parent Loop BB127_5 Depth=1
                                        ; =>  This Inner Loop Header: Depth=2
	global_load_dwordx4 v[9:12], v[26:27], off offset:-8
	s_and_b64 vcc, exec, s[2:3]
	s_waitcnt vmcnt(0)
	v_xor_b32_e32 v20, 0x80000000, v12
	v_mov_b32_e32 v34, v12
	v_mov_b32_e32 v33, v11
	;; [unrolled: 1-line block ×5, first 2 shown]
	global_store_dwordx4 v[24:25], v[9:12], off offset:-8
	global_store_dwordx4 v[3:4], v[31:34], off offset:-8
	s_cbranch_vccnz .LBB127_9
; %bb.11:                               ;   in Loop: Header=BB127_10 Depth=2
	v_add_u32_e32 v31, s54, v28
	v_ashrrev_i32_e32 v32, 31, v31
	v_lshlrev_b64 v[31:32], 4, v[31:32]
	v_mov_b32_e32 v20, s46
	v_add_co_u32_e32 v35, vcc, s30, v31
	s_mov_b32 s7, s4
	v_addc_co_u32_e32 v36, vcc, v20, v32, vcc
	s_mov_b32 s5, s4
	s_mov_b32 s6, s4
	v_mov_b32_e32 v34, s7
	v_mov_b32_e32 v33, s6
	;; [unrolled: 1-line block ×4, first 2 shown]
	global_store_dwordx4 v[26:27], v[31:34], off offset:-8
	global_store_dwordx4 v[35:36], v[31:34], off
	s_branch .LBB127_9
.LBB127_12:
                                        ; implicit-def: $vgpr13_vgpr14
                                        ; implicit-def: $vgpr15_vgpr16
	s_branch .LBB127_15
.LBB127_13:
	s_or_b64 exec, exec, s[40:41]
.LBB127_14:
	s_or_b64 exec, exec, s[36:37]
	s_cbranch_execnz .LBB127_28
.LBB127_15:
	v_mov_b32_e32 v13, 0
	v_mov_b32_e32 v15, 0
	;; [unrolled: 1-line block ×4, first 2 shown]
	s_and_saveexec_b64 s[2:3], s[0:1]
	s_cbranch_execz .LBB127_27
; %bb.16:
	s_add_i32 s28, s27, 1
	s_cmpk_lg_i32 s24, 0xd5
	s_cselect_b64 s[0:1], -1, 0
	s_add_i32 s29, s27, -1
	s_mul_i32 s4, s31, s29
	v_mul_lo_u32 v1, s27, v0
	v_add_u32_e32 v25, s4, v0
	s_mul_i32 s4, s27, s29
	v_add_u32_e32 v26, s4, v0
	v_mul_lo_u32 v27, v0, s31
	s_add_u32 s4, s14, s8
	s_addc_u32 s5, s15, s9
	s_add_u32 s37, s4, 8
	v_add_u32_e32 v17, s29, v1
	v_mov_b32_e32 v13, 0
	v_cndmask_b32_e64 v1, 0, 1, s[0:1]
	v_mov_b32_e32 v15, 0
	s_mul_i32 s36, s31, s33
	s_addc_u32 s38, s5, 0
	s_mul_i32 s39, s27, s33
	v_mov_b32_e32 v14, 0
	s_mov_b64 s[8:9], 0
	v_mov_b32_e32 v28, s46
	v_mov_b32_e32 v29, s48
	v_cmp_ne_u32_e64 s[0:1], 1, v1
	s_mov_b32 s4, 0
	v_mov_b32_e32 v1, 0
	v_mov_b32_e32 v2, 0x3ff00000
	v_mov_b32_e32 v16, 0
	v_mov_b32_e32 v19, v0
	s_branch .LBB127_19
.LBB127_17:                             ;   in Loop: Header=BB127_19 Depth=1
	s_or_b64 exec, exec, s[24:25]
.LBB127_18:                             ;   in Loop: Header=BB127_19 Depth=1
	s_or_b64 exec, exec, s[14:15]
	v_mul_f64 v[3:4], v[7:8], v[7:8]
	v_add_u32_e32 v19, s33, v19
	v_cmp_le_i32_e32 vcc, s27, v19
	v_add_u32_e32 v25, s33, v25
	v_add_u32_e32 v26, s33, v26
	;; [unrolled: 1-line block ×3, first 2 shown]
	s_or_b64 s[8:9], vcc, s[8:9]
	v_add_u32_e32 v17, s39, v17
	v_fma_f64 v[3:4], v[5:6], v[5:6], v[3:4]
	v_add_f64 v[15:16], v[15:16], v[3:4]
	s_andn2_b64 exec, exec, s[8:9]
	s_cbranch_execz .LBB127_26
.LBB127_19:                             ; =>This Loop Header: Depth=1
                                        ;     Child Loop BB127_24 Depth 2
	v_mad_u64_u32 v[3:4], s[6:7], v19, s31, v[19:20]
	v_ashrrev_i32_e32 v4, 31, v3
	v_lshlrev_b64 v[3:4], 4, v[3:4]
	v_add_co_u32_e32 v9, vcc, s30, v3
	v_addc_co_u32_e32 v10, vcc, v28, v4, vcc
	global_load_dwordx4 v[5:8], v[9:10], off
	v_mul_lo_u32 v3, v19, s28
	v_ashrrev_i32_e32 v4, 31, v3
	v_lshlrev_b64 v[3:4], 4, v[3:4]
	v_add_co_u32_e32 v3, vcc, s47, v3
	v_addc_co_u32_e32 v4, vcc, v29, v4, vcc
	s_and_b64 vcc, exec, s[0:1]
	s_waitcnt vmcnt(0)
	global_store_dwordx4 v[3:4], v[5:8], off
	s_cbranch_vccnz .LBB127_21
; %bb.20:                               ;   in Loop: Header=BB127_19 Depth=1
	v_mov_b32_e32 v3, v1
	v_mov_b32_e32 v4, v1
	global_store_dwordx4 v[9:10], v[1:4], off
.LBB127_21:                             ;   in Loop: Header=BB127_19 Depth=1
	v_cmp_gt_i32_e32 vcc, s29, v19
	s_and_saveexec_b64 s[14:15], vcc
	s_cbranch_execz .LBB127_18
; %bb.22:                               ;   in Loop: Header=BB127_19 Depth=1
	v_ashrrev_i32_e32 v18, 31, v17
	v_lshlrev_b64 v[3:4], 4, v[17:18]
	v_mov_b32_e32 v9, s38
	v_add_co_u32_e32 v3, vcc, s37, v3
	v_addc_co_u32_e32 v4, vcc, v9, v4, vcc
	s_mov_b64 s[24:25], 0
	v_mov_b32_e32 v20, v26
	v_mov_b32_e32 v22, v25
	s_mov_b32 s40, s29
	s_branch .LBB127_24
.LBB127_23:                             ;   in Loop: Header=BB127_24 Depth=2
	v_mul_f64 v[11:12], v[11:12], v[11:12]
	s_add_i32 s40, s40, -1
	v_cmp_le_i32_e32 vcc, s40, v19
	s_or_b64 s[24:25], vcc, s[24:25]
	v_add_co_u32_e32 v3, vcc, -16, v3
	v_subrev_u32_e32 v22, s31, v22
	v_subrev_u32_e32 v20, s27, v20
	v_fma_f64 v[9:10], v[9:10], v[9:10], v[11:12]
	v_addc_co_u32_e32 v4, vcc, -1, v4, vcc
	v_fma_f64 v[13:14], v[9:10], 2.0, v[13:14]
	s_andn2_b64 exec, exec, s[24:25]
	s_cbranch_execz .LBB127_17
.LBB127_24:                             ;   Parent Loop BB127_19 Depth=1
                                        ; =>  This Inner Loop Header: Depth=2
	v_ashrrev_i32_e32 v23, 31, v22
	v_lshlrev_b64 v[9:10], 4, v[22:23]
	v_mov_b32_e32 v11, s46
	v_add_co_u32_e32 v23, vcc, s30, v9
	v_addc_co_u32_e32 v24, vcc, v11, v10, vcc
	global_load_dwordx4 v[9:12], v[23:24], off
	v_ashrrev_i32_e32 v21, 31, v20
	v_lshlrev_b64 v[30:31], 4, v[20:21]
	v_mov_b32_e32 v18, s48
	v_add_co_u32_e32 v30, vcc, s47, v30
	v_addc_co_u32_e32 v31, vcc, v18, v31, vcc
	s_and_b64 vcc, exec, s[0:1]
	s_waitcnt vmcnt(0)
	global_store_dwordx4 v[30:31], v[9:12], off
	v_xor_b32_e32 v18, 0x80000000, v12
	v_mov_b32_e32 v33, v12
	v_mov_b32_e32 v32, v11
	;; [unrolled: 1-line block ×5, first 2 shown]
	global_store_dwordx4 v[3:4], v[30:33], off offset:-8
	s_cbranch_vccnz .LBB127_23
; %bb.25:                               ;   in Loop: Header=BB127_24 Depth=2
	v_add_u32_e32 v30, s40, v27
	v_ashrrev_i32_e32 v31, 31, v30
	v_lshlrev_b64 v[30:31], 4, v[30:31]
	v_mov_b32_e32 v18, s46
	v_add_co_u32_e32 v34, vcc, s30, v30
	s_mov_b32 s7, s4
	v_addc_co_u32_e32 v35, vcc, v18, v31, vcc
	s_mov_b32 s5, s4
	s_mov_b32 s6, s4
	v_mov_b32_e32 v33, s7
	v_mov_b32_e32 v32, s6
	;; [unrolled: 1-line block ×4, first 2 shown]
	global_store_dwordx4 v[23:24], v[30:33], off
	global_store_dwordx4 v[34:35], v[30:33], off
	s_branch .LBB127_23
.LBB127_26:
	s_or_b64 exec, exec, s[8:9]
.LBB127_27:
	s_or_b64 exec, exec, s[2:3]
.LBB127_28:
	s_lshl_b32 s2, s33, 3
	s_add_i32 s0, s2, 0
	v_lshlrev_b32_e32 v1, 3, v0
	v_add_u32_e32 v2, 0, v1
	v_add_u32_e32 v1, s0, v1
	v_cmp_eq_u32_e32 vcc, 0, v0
	ds_write_b64 v2, v[13:14]
	ds_write_b64 v1, v[15:16]
	s_waitcnt vmcnt(0) lgkmcnt(0)
	s_barrier
	s_and_saveexec_b64 s[0:1], vcc
	s_cbranch_execz .LBB127_40
; %bb.29:
	s_min_i32 s4, s27, s33
	s_cmp_lt_i32 s4, 2
	s_cbranch_scc1 .LBB127_37
; %bb.30:
	s_add_i32 s3, s4, -1
	s_add_i32 s4, s4, -2
	s_cmp_lt_u32 s4, 7
	s_cbranch_scc1 .LBB127_34
; %bb.31:
	s_and_b32 s4, s3, -8
	s_mov_b32 s6, 0
	s_add_i32 s5, 0, 8
.LBB127_32:                             ; =>This Inner Loop Header: Depth=1
	v_mov_b32_e32 v21, s5
	s_add_i32 s7, s5, s2
	ds_read2_b64 v[1:4], v21 offset1:1
	v_mov_b32_e32 v22, s7
	ds_read2_b64 v[5:8], v22 offset1:1
	ds_read2_b64 v[9:12], v21 offset0:2 offset1:3
	ds_read2_b64 v[17:20], v22 offset0:2 offset1:3
	s_mov_b32 s7, s6
	s_add_i32 s5, s5, 64
	s_waitcnt lgkmcnt(3)
	v_add_f64 v[1:2], v[13:14], v[1:2]
	s_waitcnt lgkmcnt(2)
	v_add_f64 v[5:6], v[15:16], v[5:6]
	s_add_i32 s6, s6, 8
	s_cmp_lg_u32 s4, s6
	v_add_f64 v[1:2], v[1:2], v[3:4]
	v_add_f64 v[3:4], v[5:6], v[7:8]
	s_waitcnt lgkmcnt(1)
	v_add_f64 v[1:2], v[1:2], v[9:10]
	s_waitcnt lgkmcnt(0)
	v_add_f64 v[3:4], v[3:4], v[17:18]
	v_add_f64 v[17:18], v[1:2], v[11:12]
	;; [unrolled: 1-line block ×3, first 2 shown]
	ds_read2_b64 v[1:4], v21 offset0:4 offset1:5
	ds_read2_b64 v[5:8], v22 offset0:4 offset1:5
	;; [unrolled: 1-line block ×4, first 2 shown]
	s_waitcnt lgkmcnt(3)
	v_add_f64 v[1:2], v[17:18], v[1:2]
	s_waitcnt lgkmcnt(2)
	v_add_f64 v[5:6], v[19:20], v[5:6]
	v_add_f64 v[1:2], v[1:2], v[3:4]
	;; [unrolled: 1-line block ×3, first 2 shown]
	s_waitcnt lgkmcnt(1)
	v_add_f64 v[1:2], v[1:2], v[9:10]
	s_waitcnt lgkmcnt(0)
	v_add_f64 v[3:4], v[3:4], v[13:14]
	v_add_f64 v[13:14], v[1:2], v[11:12]
	;; [unrolled: 1-line block ×3, first 2 shown]
	s_cbranch_scc1 .LBB127_32
; %bb.33:
	s_add_i32 s4, s7, 9
	s_and_b32 s3, s3, 7
	s_cmp_eq_u32 s3, 0
	s_cbranch_scc0 .LBB127_35
	s_branch .LBB127_37
.LBB127_34:
	s_mov_b32 s4, 1
	s_and_b32 s3, s3, 7
	s_cmp_eq_u32 s3, 0
	s_cbranch_scc1 .LBB127_37
.LBB127_35:
	s_lshl_b32 s4, s4, 3
	s_add_i32 s4, s4, 0
.LBB127_36:                             ; =>This Inner Loop Header: Depth=1
	s_add_i32 s5, s4, s2
	v_mov_b32_e32 v1, s4
	v_mov_b32_e32 v3, s5
	ds_read_b64 v[1:2], v1
	ds_read_b64 v[3:4], v3
	s_add_i32 s4, s4, 8
	s_add_i32 s3, s3, -1
	s_cmp_lg_u32 s3, 0
	s_waitcnt lgkmcnt(1)
	v_add_f64 v[13:14], v[13:14], v[1:2]
	s_waitcnt lgkmcnt(0)
	v_add_f64 v[15:16], v[15:16], v[3:4]
	s_cbranch_scc1 .LBB127_36
.LBB127_37:
	v_add_f64 v[1:2], v[15:16], v[13:14]
	s_lshl_b64 s[2:3], s[34:35], 3
	s_add_u32 s4, s16, s2
	s_addc_u32 s5, s17, s3
	s_add_u32 s2, s12, s2
	s_addc_u32 s3, s13, s3
	v_mul_f64 v[1:2], s[10:11], v[1:2]
	v_mul_f64 v[2:3], s[10:11], v[1:2]
	v_mov_b32_e32 v1, 0
	global_store_dwordx2 v1, v[2:3], s[4:5]
	global_store_dwordx2 v1, v[13:14], s[2:3]
	global_load_dwordx2 v[2:3], v1, s[4:5]
	s_waitcnt vmcnt(0)
	v_cmp_lt_f64_e32 vcc, v[13:14], v[2:3]
	s_and_b64 exec, exec, vcc
	s_cbranch_execz .LBB127_40
; %bb.38:
	s_lshl_b64 s[4:5], s[34:35], 2
	s_add_u32 s4, s22, s4
	s_mov_b64 s[2:3], exec
	s_addc_u32 s5, s23, s5
	v_mov_b32_e32 v2, 1
	global_store_dword v1, v2, s[4:5] offset:4
	v_mbcnt_lo_u32_b32 v1, s2, 0
	v_mbcnt_hi_u32_b32 v1, s3, v1
	v_cmp_eq_u32_e32 vcc, 0, v1
	s_and_b64 s[4:5], exec, vcc
	s_mov_b64 exec, s[4:5]
	s_cbranch_execz .LBB127_40
; %bb.39:
	s_bcnt1_i32_b64 s2, s[2:3]
	v_mov_b32_e32 v1, 0
	v_mov_b32_e32 v2, s2
	global_atomic_add v1, v2, s[22:23]
.LBB127_40:
	s_or_b64 exec, exec, s[0:1]
	s_cmp_eq_u32 s34, 0
	s_cselect_b64 s[2:3], -1, 0
	s_cmp_lg_u64 s[18:19], 0
	s_cselect_b64 s[4:5], -1, 0
	s_cmp_lg_u64 s[20:21], 0
	s_cselect_b64 s[6:7], -1, 0
	s_and_b64 s[4:5], s[4:5], s[6:7]
	s_and_b64 s[2:3], s[4:5], s[2:3]
	v_cmp_gt_i32_e32 vcc, s26, v0
	s_mov_b64 s[0:1], 0
	s_and_b64 s[2:3], s[2:3], vcc
	s_and_saveexec_b64 s[4:5], s[2:3]
	s_cbranch_execz .LBB127_43
; %bb.41:
	v_lshlrev_b32_e32 v1, 1, v0
	s_lshl_b32 s2, s33, 1
	v_lshlrev_b32_e32 v2, 2, v0
	v_mov_b32_e32 v3, 0
	s_lshl_b32 s3, s33, 2
	v_mov_b32_e32 v4, s19
	v_mov_b32_e32 v5, s21
.LBB127_42:                             ; =>This Inner Loop Header: Depth=1
	v_add_co_u32_e32 v6, vcc, s18, v2
	v_addc_co_u32_e32 v7, vcc, v4, v3, vcc
	v_add_co_u32_e32 v8, vcc, s20, v2
	v_addc_co_u32_e32 v9, vcc, v5, v3, vcc
	v_add_co_u32_e32 v2, vcc, s3, v2
	v_add_u32_e32 v0, s33, v0
	v_addc_co_u32_e32 v3, vcc, 0, v3, vcc
	v_cmp_le_i32_e32 vcc, s26, v0
	v_add_u32_e32 v10, 1, v1
	global_store_dword v[6:7], v1, off
	global_store_dword v[8:9], v10, off
	s_or_b64 s[0:1], vcc, s[0:1]
	v_add_u32_e32 v1, s2, v1
	s_andn2_b64 exec, exec, s[0:1]
	s_cbranch_execnz .LBB127_42
.LBB127_43:
	s_endpgm
	.section	.rodata,"a",@progbits
	.p2align	6, 0x0
	.amdhsa_kernel _ZN9rocsolver6v33100L10syevj_initI19rocblas_complex_numIdEdPS3_EEv14rocblas_evect_13rocblas_fill_iiT1_iilT0_PS8_PT_S9_PiSC_SC_
		.amdhsa_group_segment_fixed_size 0
		.amdhsa_private_segment_fixed_size 0
		.amdhsa_kernarg_size 352
		.amdhsa_user_sgpr_count 6
		.amdhsa_user_sgpr_private_segment_buffer 1
		.amdhsa_user_sgpr_dispatch_ptr 0
		.amdhsa_user_sgpr_queue_ptr 0
		.amdhsa_user_sgpr_kernarg_segment_ptr 1
		.amdhsa_user_sgpr_dispatch_id 0
		.amdhsa_user_sgpr_flat_scratch_init 0
		.amdhsa_user_sgpr_private_segment_size 0
		.amdhsa_uses_dynamic_stack 0
		.amdhsa_system_sgpr_private_segment_wavefront_offset 0
		.amdhsa_system_sgpr_workgroup_id_x 1
		.amdhsa_system_sgpr_workgroup_id_y 1
		.amdhsa_system_sgpr_workgroup_id_z 0
		.amdhsa_system_sgpr_workgroup_info 0
		.amdhsa_system_vgpr_workitem_id 0
		.amdhsa_next_free_vgpr 37
		.amdhsa_next_free_sgpr 55
		.amdhsa_reserve_vcc 1
		.amdhsa_reserve_flat_scratch 0
		.amdhsa_float_round_mode_32 0
		.amdhsa_float_round_mode_16_64 0
		.amdhsa_float_denorm_mode_32 3
		.amdhsa_float_denorm_mode_16_64 3
		.amdhsa_dx10_clamp 1
		.amdhsa_ieee_mode 1
		.amdhsa_fp16_overflow 0
		.amdhsa_exception_fp_ieee_invalid_op 0
		.amdhsa_exception_fp_denorm_src 0
		.amdhsa_exception_fp_ieee_div_zero 0
		.amdhsa_exception_fp_ieee_overflow 0
		.amdhsa_exception_fp_ieee_underflow 0
		.amdhsa_exception_fp_ieee_inexact 0
		.amdhsa_exception_int_div_zero 0
	.end_amdhsa_kernel
	.section	.text._ZN9rocsolver6v33100L10syevj_initI19rocblas_complex_numIdEdPS3_EEv14rocblas_evect_13rocblas_fill_iiT1_iilT0_PS8_PT_S9_PiSC_SC_,"axG",@progbits,_ZN9rocsolver6v33100L10syevj_initI19rocblas_complex_numIdEdPS3_EEv14rocblas_evect_13rocblas_fill_iiT1_iilT0_PS8_PT_S9_PiSC_SC_,comdat
.Lfunc_end127:
	.size	_ZN9rocsolver6v33100L10syevj_initI19rocblas_complex_numIdEdPS3_EEv14rocblas_evect_13rocblas_fill_iiT1_iilT0_PS8_PT_S9_PiSC_SC_, .Lfunc_end127-_ZN9rocsolver6v33100L10syevj_initI19rocblas_complex_numIdEdPS3_EEv14rocblas_evect_13rocblas_fill_iiT1_iilT0_PS8_PT_S9_PiSC_SC_
                                        ; -- End function
	.set _ZN9rocsolver6v33100L10syevj_initI19rocblas_complex_numIdEdPS3_EEv14rocblas_evect_13rocblas_fill_iiT1_iilT0_PS8_PT_S9_PiSC_SC_.num_vgpr, 37
	.set _ZN9rocsolver6v33100L10syevj_initI19rocblas_complex_numIdEdPS3_EEv14rocblas_evect_13rocblas_fill_iiT1_iilT0_PS8_PT_S9_PiSC_SC_.num_agpr, 0
	.set _ZN9rocsolver6v33100L10syevj_initI19rocblas_complex_numIdEdPS3_EEv14rocblas_evect_13rocblas_fill_iiT1_iilT0_PS8_PT_S9_PiSC_SC_.numbered_sgpr, 55
	.set _ZN9rocsolver6v33100L10syevj_initI19rocblas_complex_numIdEdPS3_EEv14rocblas_evect_13rocblas_fill_iiT1_iilT0_PS8_PT_S9_PiSC_SC_.num_named_barrier, 0
	.set _ZN9rocsolver6v33100L10syevj_initI19rocblas_complex_numIdEdPS3_EEv14rocblas_evect_13rocblas_fill_iiT1_iilT0_PS8_PT_S9_PiSC_SC_.private_seg_size, 0
	.set _ZN9rocsolver6v33100L10syevj_initI19rocblas_complex_numIdEdPS3_EEv14rocblas_evect_13rocblas_fill_iiT1_iilT0_PS8_PT_S9_PiSC_SC_.uses_vcc, 1
	.set _ZN9rocsolver6v33100L10syevj_initI19rocblas_complex_numIdEdPS3_EEv14rocblas_evect_13rocblas_fill_iiT1_iilT0_PS8_PT_S9_PiSC_SC_.uses_flat_scratch, 0
	.set _ZN9rocsolver6v33100L10syevj_initI19rocblas_complex_numIdEdPS3_EEv14rocblas_evect_13rocblas_fill_iiT1_iilT0_PS8_PT_S9_PiSC_SC_.has_dyn_sized_stack, 0
	.set _ZN9rocsolver6v33100L10syevj_initI19rocblas_complex_numIdEdPS3_EEv14rocblas_evect_13rocblas_fill_iiT1_iilT0_PS8_PT_S9_PiSC_SC_.has_recursion, 0
	.set _ZN9rocsolver6v33100L10syevj_initI19rocblas_complex_numIdEdPS3_EEv14rocblas_evect_13rocblas_fill_iiT1_iilT0_PS8_PT_S9_PiSC_SC_.has_indirect_call, 0
	.section	.AMDGPU.csdata,"",@progbits
; Kernel info:
; codeLenInByte = 2280
; TotalNumSgprs: 59
; NumVgprs: 37
; ScratchSize: 0
; MemoryBound: 0
; FloatMode: 240
; IeeeMode: 1
; LDSByteSize: 0 bytes/workgroup (compile time only)
; SGPRBlocks: 7
; VGPRBlocks: 9
; NumSGPRsForWavesPerEU: 59
; NumVGPRsForWavesPerEU: 37
; Occupancy: 6
; WaveLimiterHint : 0
; COMPUTE_PGM_RSRC2:SCRATCH_EN: 0
; COMPUTE_PGM_RSRC2:USER_SGPR: 6
; COMPUTE_PGM_RSRC2:TRAP_HANDLER: 0
; COMPUTE_PGM_RSRC2:TGID_X_EN: 1
; COMPUTE_PGM_RSRC2:TGID_Y_EN: 1
; COMPUTE_PGM_RSRC2:TGID_Z_EN: 0
; COMPUTE_PGM_RSRC2:TIDIG_COMP_CNT: 0
	.section	.text._ZN9rocsolver6v33100L17syevj_diag_kernelI19rocblas_complex_numIdEdPS3_EEviT1_iilT0_PT_Pi,"axG",@progbits,_ZN9rocsolver6v33100L17syevj_diag_kernelI19rocblas_complex_numIdEdPS3_EEviT1_iilT0_PT_Pi,comdat
	.globl	_ZN9rocsolver6v33100L17syevj_diag_kernelI19rocblas_complex_numIdEdPS3_EEviT1_iilT0_PT_Pi ; -- Begin function _ZN9rocsolver6v33100L17syevj_diag_kernelI19rocblas_complex_numIdEdPS3_EEviT1_iilT0_PT_Pi
	.p2align	8
	.type	_ZN9rocsolver6v33100L17syevj_diag_kernelI19rocblas_complex_numIdEdPS3_EEviT1_iilT0_PT_Pi,@function
_ZN9rocsolver6v33100L17syevj_diag_kernelI19rocblas_complex_numIdEdPS3_EEviT1_iilT0_PT_Pi: ; @_ZN9rocsolver6v33100L17syevj_diag_kernelI19rocblas_complex_numIdEdPS3_EEviT1_iilT0_PT_Pi
; %bb.0:
	s_load_dwordx8 s[8:15], s[4:5], 0x18
	s_mov_b32 s2, s7
	s_ashr_i32 s3, s7, 31
	s_lshl_b64 s[0:1], s[2:3], 2
	s_waitcnt lgkmcnt(0)
	s_add_u32 s0, s14, s0
	s_addc_u32 s1, s15, s1
	s_load_dword s0, s[0:1], 0x4
	s_waitcnt lgkmcnt(0)
	s_cmp_lg_u32 s0, 0
	s_cbranch_scc1 .LBB128_58
; %bb.1:
	s_load_dword s7, s[4:5], 0x44
	s_load_dword s30, s[4:5], 0x0
	s_add_u32 s0, s4, 56
	s_addc_u32 s1, s5, 0
	v_max_i32_e32 v2, v0, v1
	s_waitcnt lgkmcnt(0)
	s_and_b32 s7, s7, 0xffff
	s_add_i32 s14, s30, -1
	s_lshl_b32 s19, s7, 1
	s_lshr_b32 s7, s14, 31
	s_add_i32 s14, s14, s7
	s_mul_i32 s31, s19, s6
	s_and_b32 s7, s14, -2
	s_sub_i32 s7, s7, s31
	s_add_i32 s7, s7, 2
	s_min_i32 s17, s19, s7
	s_ashr_i32 s18, s17, 1
	v_cmp_gt_i32_e32 vcc, s18, v2
	s_and_saveexec_b64 s[14:15], vcc
	s_cbranch_execz .LBB128_58
; %bb.2:
	s_cmp_eq_u64 s[12:13], 0
	s_mov_b64 s[20:21], 0
	s_cbranch_scc1 .LBB128_4
; %bb.3:
	s_load_dword s0, s[0:1], 0x0
	s_waitcnt lgkmcnt(0)
	s_mul_i32 s0, s0, s2
	s_add_i32 s0, s0, s6
	s_mul_i32 s0, s19, s0
	s_mul_i32 s0, s0, s19
	s_ashr_i32 s1, s0, 31
	s_lshl_b64 s[0:1], s[0:1], 4
	s_add_u32 s20, s12, s0
	s_addc_u32 s21, s13, s1
.LBB128_4:
	s_cmp_lg_u64 s[20:21], 0
	v_lshlrev_b32_e32 v3, 1, v0
	s_cselect_b64 s[22:23], -1, 0
	s_cmp_eq_u64 s[20:21], 0
	v_lshlrev_b32_e32 v2, 1, v1
	s_cbranch_scc1 .LBB128_6
; %bb.5:
	v_mad_u32_u24 v8, s19, v2, v3
	v_mov_b32_e32 v9, 0
	v_lshlrev_b64 v[6:7], 4, v[8:9]
	v_mov_b32_e32 v4, 0x3ff00000
	v_cmp_eq_u32_e32 vcc, v3, v2
	v_cndmask_b32_e32 v5, 0, v4, vcc
	v_mov_b32_e32 v10, s21
	v_add_co_u32_e32 v12, vcc, s20, v6
	v_add_u32_e32 v8, s19, v8
	v_addc_co_u32_e32 v13, vcc, v10, v7, vcc
	v_mov_b32_e32 v4, v9
	v_mov_b32_e32 v6, v9
	;; [unrolled: 1-line block ×3, first 2 shown]
	v_lshlrev_b64 v[8:9], 4, v[8:9]
	s_mov_b32 s12, 0
	v_add_co_u32_e32 v14, vcc, s20, v8
	v_addc_co_u32_e32 v15, vcc, v10, v9, vcc
	s_mov_b32 s13, s12
	s_mov_b32 s14, s12
	;; [unrolled: 1-line block ×3, first 2 shown]
	v_mov_b32_e32 v8, s12
	v_mov_b32_e32 v9, s13
	;; [unrolled: 1-line block ×4, first 2 shown]
	global_store_dwordx4 v[12:13], v[4:7], off
	global_store_dwordx4 v[14:15], v[8:11], off
	global_store_dwordx4 v[12:13], v[8:11], off offset:16
	global_store_dwordx4 v[14:15], v[4:7], off offset:16
.LBB128_6:
	s_lshl_b32 s0, s18, 3
	s_add_i32 s25, s0, 0
	s_lshl_b32 s0, s18, 4
	s_add_i32 s24, s25, s0
	s_lshl_b32 s0, s18, 2
	v_add_u32_e32 v9, s31, v3
	s_add_i32 s33, s24, s0
	v_or_b32_e32 v10, 1, v9
	v_cmp_eq_u32_e64 s[0:1], 0, v1
	v_lshlrev_b32_e32 v1, 2, v0
	s_and_saveexec_b64 s[6:7], s[0:1]
	s_cbranch_execz .LBB128_8
; %bb.7:
	v_add_u32_e32 v4, s24, v1
	v_add_u32_e32 v3, s33, v1
	ds_write_b32 v4, v9
	ds_write_b32 v3, v10
.LBB128_8:
	s_or_b64 exec, exec, s[6:7]
	s_cmp_lt_i32 s17, 2
	s_cbranch_scc1 .LBB128_58
; %bb.9:
	v_mov_b32_e32 v3, 0
	v_mov_b32_e32 v4, 0x100000
	v_div_scale_f64 v[5:6], s[6:7], s[10:11], s[10:11], v[3:4]
	s_mov_b32 s6, 0
	s_mov_b32 s7, 0x100000
	v_mul_u32_u24_e32 v28, s19, v2
	v_mad_u32_u24 v29, s19, v2, s19
	v_add_u32_e32 v30, s24, v1
	v_add_u32_e32 v31, s33, v1
	s_load_dwordx4 s[12:15], s[4:5], 0x8
	s_mul_i32 s3, s8, s3
	s_mul_hi_u32 s5, s8, s2
	s_mul_i32 s4, s8, s2
	v_lshl_add_u32 v27, v0, 4, s25
	s_mov_b32 s24, 0
	s_mov_b32 s16, 0
	v_lshl_add_u32 v26, v0, 3, 0
	v_rcp_f64_e32 v[7:8], v[5:6]
	s_brev_b32 s25, 8
	v_add_u32_e32 v32, -4, v30
	v_mov_b32_e32 v36, 0x260
	s_movk_i32 s37, 0x204
	v_mov_b32_e32 v37, 0x100
	v_mov_b32_e32 v38, 0xffffff80
	;; [unrolled: 1-line block ×6, first 2 shown]
                                        ; implicit-def: $vgpr18_vgpr19
	v_fma_f64 v[11:12], -v[5:6], v[7:8], 1.0
	v_fma_f64 v[7:8], v[7:8], v[11:12], v[7:8]
	v_mov_b32_e32 v12, s11
	v_mov_b32_e32 v11, s10
	v_div_scale_f64 v[12:13], vcc, s[6:7], v[11:12], s[6:7]
	v_add_u32_e32 v11, s31, v2
	s_mul_i32 s6, s9, s2
	s_add_i32 s2, s5, s3
	v_fma_f64 v[14:15], -v[5:6], v[7:8], 1.0
	s_add_i32 s5, s2, s6
	s_lshl_b64 s[4:5], s[4:5], 4
	s_waitcnt lgkmcnt(0)
	s_ashr_i32 s7, s14, 31
	s_mov_b32 s6, s14
	s_add_u32 s8, s12, s4
	v_mul_lo_u32 v33, v11, s15
	s_addc_u32 s9, s13, s5
	v_fma_f64 v[7:8], v[7:8], v[14:15], v[7:8]
	s_lshl_b64 s[4:5], s[6:7], 4
	s_add_u32 s14, s8, s4
	s_addc_u32 s34, s9, s5
	s_add_i32 s18, s18, -1
	s_add_i32 s4, s33, -4
	v_or_b32_e32 v16, 1, v11
	v_cmp_gt_i32_e64 s[2:3], s30, v16
	v_mul_f64 v[14:15], v[12:13], v[7:8]
	s_add_i32 s35, s15, 1
	v_add_u32_e32 v34, s15, v33
	s_add_i32 s36, s17, -1
                                        ; implicit-def: $vgpr16_vgpr17
	v_fma_f64 v[1:2], -v[5:6], v[14:15], v[12:13]
	v_add_u32_e32 v5, 4, v31
	v_mov_b32_e32 v6, s4
	v_div_fmas_f64 v[1:2], v[1:2], v[7:8], v[14:15]
	v_cmp_eq_u32_e32 vcc, s18, v0
	v_cndmask_b32_e32 v35, v5, v6, vcc
                                        ; implicit-def: $vgpr14_vgpr15
	v_div_fixup_f64 v[12:13], v[1:2], s[10:11], v[3:4]
                                        ; implicit-def: $vgpr3_vgpr4
	s_branch .LBB128_11
.LBB128_10:                             ;   in Loop: Header=BB128_11 Depth=1
	s_or_b64 exec, exec, s[4:5]
	s_add_i32 s36, s36, -1
	s_cmp_lg_u32 s36, 0
	s_cbranch_scc0 .LBB128_58
.LBB128_11:                             ; =>This Inner Loop Header: Depth=1
	v_cmp_gt_i32_e64 s[4:5], s30, v9
	s_and_b64 s[8:9], s[0:1], s[4:5]
	v_cmp_gt_i32_e64 s[6:7], s30, v10
	s_and_b64 s[10:11], s[8:9], s[6:7]
	s_and_saveexec_b64 s[12:13], s[10:11]
	s_cbranch_execz .LBB128_37
; %bb.12:                               ;   in Loop: Header=BB128_11 Depth=1
	v_mul_lo_u32 v22, v10, s15
	v_mov_b32_e32 v3, s34
                                        ; implicit-def: $vgpr20_vgpr21
	v_add_u32_e32 v1, v9, v22
	v_ashrrev_i32_e32 v2, 31, v1
	v_lshlrev_b64 v[1:2], 4, v[1:2]
	v_add_co_u32_e32 v1, vcc, s14, v1
	v_addc_co_u32_e32 v2, vcc, v3, v2, vcc
	global_load_dwordx4 v[5:8], v[1:2], off
	s_waitcnt vmcnt(0)
	v_cmp_gt_f64_e32 vcc, 0, v[5:6]
	v_xor_b32_e32 v2, 0x80000000, v6
	v_xor_b32_e32 v3, 0x80000000, v8
	v_mov_b32_e32 v1, v5
	v_cndmask_b32_e32 v2, v6, v2, vcc
	v_cmp_gt_f64_e32 vcc, 0, v[7:8]
	v_cndmask_b32_e32 v4, v8, v3, vcc
	v_mov_b32_e32 v3, v7
	v_cmp_ngt_f64_e32 vcc, v[1:2], v[3:4]
	s_and_saveexec_b64 s[8:9], vcc
	s_xor_b64 s[8:9], exec, s[8:9]
	s_cbranch_execz .LBB128_16
; %bb.13:                               ;   in Loop: Header=BB128_11 Depth=1
	v_cmp_neq_f64_e32 vcc, 0, v[7:8]
	v_mov_b32_e32 v20, 0
	v_mov_b32_e32 v21, 0
	s_and_saveexec_b64 s[18:19], vcc
	s_cbranch_execz .LBB128_15
; %bb.14:                               ;   in Loop: Header=BB128_11 Depth=1
	v_div_scale_f64 v[18:19], s[26:27], v[3:4], v[3:4], v[1:2]
	v_rcp_f64_e32 v[20:21], v[18:19]
	v_fma_f64 v[23:24], -v[18:19], v[20:21], 1.0
	v_fma_f64 v[20:21], v[20:21], v[23:24], v[20:21]
	v_div_scale_f64 v[23:24], vcc, v[1:2], v[3:4], v[1:2]
	v_fma_f64 v[43:44], -v[18:19], v[20:21], 1.0
	v_fma_f64 v[20:21], v[20:21], v[43:44], v[20:21]
	v_mul_f64 v[43:44], v[23:24], v[20:21]
	v_fma_f64 v[18:19], -v[18:19], v[43:44], v[23:24]
	v_div_fmas_f64 v[18:19], v[18:19], v[20:21], v[43:44]
	v_div_fixup_f64 v[1:2], v[18:19], v[3:4], v[1:2]
	v_fma_f64 v[1:2], v[1:2], v[1:2], 1.0
	v_cmp_gt_f64_e32 vcc, s[24:25], v[1:2]
	v_cndmask_b32_e32 v18, 0, v37, vcc
	v_ldexp_f64 v[1:2], v[1:2], v18
	v_rsq_f64_e32 v[18:19], v[1:2]
	v_mul_f64 v[20:21], v[1:2], v[18:19]
	v_mul_f64 v[18:19], v[18:19], 0.5
	v_fma_f64 v[23:24], -v[18:19], v[20:21], 0.5
	v_fma_f64 v[20:21], v[20:21], v[23:24], v[20:21]
	v_fma_f64 v[18:19], v[18:19], v[23:24], v[18:19]
	v_fma_f64 v[23:24], -v[20:21], v[20:21], v[1:2]
	v_fma_f64 v[20:21], v[23:24], v[18:19], v[20:21]
	v_fma_f64 v[23:24], -v[20:21], v[20:21], v[1:2]
	v_fma_f64 v[18:19], v[23:24], v[18:19], v[20:21]
	v_cndmask_b32_e32 v20, 0, v38, vcc
	v_cmp_class_f64_e32 vcc, v[1:2], v36
	v_ldexp_f64 v[18:19], v[18:19], v20
	v_cndmask_b32_e32 v2, v19, v2, vcc
	v_cndmask_b32_e32 v1, v18, v1, vcc
	v_mul_f64 v[20:21], v[3:4], v[1:2]
.LBB128_15:                             ;   in Loop: Header=BB128_11 Depth=1
	s_or_b64 exec, exec, s[18:19]
                                        ; implicit-def: $vgpr1_vgpr2
                                        ; implicit-def: $vgpr3_vgpr4
.LBB128_16:                             ;   in Loop: Header=BB128_11 Depth=1
	s_andn2_saveexec_b64 s[8:9], s[8:9]
	s_cbranch_execz .LBB128_18
; %bb.17:                               ;   in Loop: Header=BB128_11 Depth=1
	v_div_scale_f64 v[18:19], s[18:19], v[1:2], v[1:2], v[3:4]
	v_rcp_f64_e32 v[20:21], v[18:19]
	v_fma_f64 v[23:24], -v[18:19], v[20:21], 1.0
	v_fma_f64 v[20:21], v[20:21], v[23:24], v[20:21]
	v_div_scale_f64 v[23:24], vcc, v[3:4], v[1:2], v[3:4]
	v_fma_f64 v[43:44], -v[18:19], v[20:21], 1.0
	v_fma_f64 v[20:21], v[20:21], v[43:44], v[20:21]
	v_mul_f64 v[43:44], v[23:24], v[20:21]
	v_fma_f64 v[18:19], -v[18:19], v[43:44], v[23:24]
	v_div_fmas_f64 v[18:19], v[18:19], v[20:21], v[43:44]
	v_div_fixup_f64 v[3:4], v[18:19], v[1:2], v[3:4]
	v_fma_f64 v[3:4], v[3:4], v[3:4], 1.0
	v_cmp_gt_f64_e32 vcc, s[24:25], v[3:4]
	v_cndmask_b32_e32 v18, 0, v37, vcc
	v_ldexp_f64 v[3:4], v[3:4], v18
	v_rsq_f64_e32 v[18:19], v[3:4]
	v_mul_f64 v[20:21], v[3:4], v[18:19]
	v_mul_f64 v[18:19], v[18:19], 0.5
	v_fma_f64 v[23:24], -v[18:19], v[20:21], 0.5
	v_fma_f64 v[20:21], v[20:21], v[23:24], v[20:21]
	v_fma_f64 v[18:19], v[18:19], v[23:24], v[18:19]
	v_fma_f64 v[23:24], -v[20:21], v[20:21], v[3:4]
	v_fma_f64 v[20:21], v[23:24], v[18:19], v[20:21]
	v_fma_f64 v[23:24], -v[20:21], v[20:21], v[3:4]
	v_fma_f64 v[18:19], v[23:24], v[18:19], v[20:21]
	v_cndmask_b32_e32 v20, 0, v38, vcc
	v_cmp_class_f64_e32 vcc, v[3:4], v36
	v_ldexp_f64 v[18:19], v[18:19], v20
	v_cndmask_b32_e32 v4, v19, v4, vcc
	v_cndmask_b32_e32 v3, v18, v3, vcc
	v_mul_f64 v[20:21], v[1:2], v[3:4]
.LBB128_18:                             ;   in Loop: Header=BB128_11 Depth=1
	s_or_b64 exec, exec, s[8:9]
	v_mul_f64 v[1:2], v[20:21], v[20:21]
	v_mov_b32_e32 v3, 0
	v_mov_b32_e32 v18, 0
	;; [unrolled: 1-line block ×4, first 2 shown]
	v_cmp_nlt_f64_e32 vcc, v[1:2], v[12:13]
	v_mov_b32_e32 v1, 0
	v_mov_b32_e32 v2, 0
	s_and_saveexec_b64 s[18:19], vcc
	s_cbranch_execz .LBB128_36
; %bb.19:                               ;   in Loop: Header=BB128_11 Depth=1
	v_add_u32_e32 v1, v22, v10
	v_ashrrev_i32_e32 v2, 31, v1
	v_mul_lo_u32 v3, v9, s35
	v_lshlrev_b64 v[1:2], 4, v[1:2]
	v_mov_b32_e32 v4, s34
	v_add_co_u32_e32 v1, vcc, s14, v1
	v_addc_co_u32_e32 v2, vcc, v4, v2, vcc
	v_ashrrev_i32_e32 v4, 31, v3
	v_lshlrev_b64 v[3:4], 4, v[3:4]
	v_mov_b32_e32 v18, s34
	v_add_co_u32_e32 v3, vcc, s14, v3
	v_addc_co_u32_e32 v4, vcc, v18, v4, vcc
	global_load_dwordx2 v[3:4], v[3:4], off
	s_nop 0
	global_load_dwordx2 v[18:19], v[1:2], off
	v_add_f64 v[1:2], v[20:21], v[20:21]
	v_cmp_class_f64_e64 s[26:27], v[1:2], s37
	s_waitcnt vmcnt(0)
	v_add_f64 v[3:4], v[18:19], -v[3:4]
	v_max_f64 v[18:19], |v[3:4]|, |v[1:2]|
	v_cmp_ngt_f64_e32 vcc, 0, v[3:4]
	v_cmp_class_f64_e64 s[28:29], v[3:4], s37
	v_frexp_exp_i32_f64_e32 v22, v[18:19]
	v_sub_u32_e32 v23, 0, v22
	v_ldexp_f64 v[18:19], |v[1:2]|, v23
	v_ldexp_f64 v[23:24], |v[3:4]|, v23
	v_mul_f64 v[18:19], v[18:19], v[18:19]
	v_fma_f64 v[18:19], v[23:24], v[23:24], v[18:19]
	v_rsq_f64_e32 v[23:24], v[18:19]
	v_cmp_eq_f64_e64 s[8:9], 0, v[18:19]
	v_mul_f64 v[43:44], v[18:19], v[23:24]
	v_mul_f64 v[23:24], v[23:24], 0.5
	v_fma_f64 v[45:46], -v[23:24], v[43:44], 0.5
	v_fma_f64 v[43:44], v[43:44], v[45:46], v[43:44]
	v_fma_f64 v[23:24], v[23:24], v[45:46], v[23:24]
	v_fma_f64 v[45:46], -v[43:44], v[43:44], v[18:19]
	v_fma_f64 v[23:24], v[45:46], v[23:24], v[43:44]
	v_cndmask_b32_e64 v19, v24, v19, s[8:9]
	v_cndmask_b32_e64 v18, v23, v18, s[8:9]
                                        ; implicit-def: $vgpr24_vgpr25
	s_and_saveexec_b64 s[8:9], vcc
	s_xor_b64 s[8:9], exec, s[8:9]
	s_cbranch_execz .LBB128_21
; %bb.20:                               ;   in Loop: Header=BB128_11 Depth=1
	v_ldexp_f64 v[18:19], v[18:19], v22
	v_cmp_o_f64_e32 vcc, v[3:4], v[1:2]
                                        ; implicit-def: $vgpr22
	v_cndmask_b32_e32 v18, 0, v18, vcc
	v_cndmask_b32_e32 v19, v39, v19, vcc
	s_or_b64 vcc, s[26:27], s[28:29]
	v_cndmask_b32_e32 v25, v19, v40, vcc
	v_cndmask_b32_e64 v24, v18, 0, vcc
                                        ; implicit-def: $vgpr18_vgpr19
.LBB128_21:                             ;   in Loop: Header=BB128_11 Depth=1
	s_andn2_saveexec_b64 s[8:9], s[8:9]
	s_cbranch_execz .LBB128_23
; %bb.22:                               ;   in Loop: Header=BB128_11 Depth=1
	v_ldexp_f64 v[18:19], -v[18:19], v22
	v_cmp_o_f64_e32 vcc, v[1:2], v[1:2]
	v_cndmask_b32_e32 v18, 0, v18, vcc
	v_cndmask_b32_e32 v19, v41, v19, vcc
	s_or_b64 vcc, s[26:27], s[28:29]
	v_cndmask_b32_e32 v25, v19, v42, vcc
	v_cndmask_b32_e64 v24, v18, 0, vcc
.LBB128_23:                             ;   in Loop: Header=BB128_11 Depth=1
	s_or_b64 exec, exec, s[8:9]
	v_cmp_neq_f64_e32 vcc, 0, v[1:2]
	v_mov_b32_e32 v22, 0
	v_mov_b32_e32 v18, 0
	;; [unrolled: 1-line block ×4, first 2 shown]
	s_and_saveexec_b64 s[8:9], vcc
	s_cbranch_execz .LBB128_31
; %bb.24:                               ;   in Loop: Header=BB128_11 Depth=1
	v_add_f64 v[3:4], v[3:4], v[24:25]
	v_mov_b32_e32 v18, 0
	v_mov_b32_e32 v22, 0
	v_mov_b32_e32 v19, 0
	v_mov_b32_e32 v23, 0x3ff00000
	v_cmp_neq_f64_e32 vcc, 0, v[3:4]
	s_and_saveexec_b64 s[26:27], vcc
	s_cbranch_execz .LBB128_30
; %bb.25:                               ;   in Loop: Header=BB128_11 Depth=1
	v_cmp_ngt_f64_e64 s[28:29], |v[1:2]|, |v[3:4]|
                                        ; implicit-def: $vgpr18_vgpr19
                                        ; implicit-def: $vgpr22_vgpr23
	s_and_saveexec_b64 s[38:39], s[28:29]
	s_xor_b64 s[28:29], exec, s[38:39]
	s_cbranch_execz .LBB128_27
; %bb.26:                               ;   in Loop: Header=BB128_11 Depth=1
	v_div_scale_f64 v[18:19], s[38:39], v[3:4], v[3:4], -v[1:2]
	v_rcp_f64_e32 v[22:23], v[18:19]
	v_fma_f64 v[24:25], -v[18:19], v[22:23], 1.0
	v_fma_f64 v[22:23], v[22:23], v[24:25], v[22:23]
	v_div_scale_f64 v[24:25], vcc, -v[1:2], v[3:4], -v[1:2]
	v_fma_f64 v[43:44], -v[18:19], v[22:23], 1.0
	v_fma_f64 v[22:23], v[22:23], v[43:44], v[22:23]
	v_mul_f64 v[43:44], v[24:25], v[22:23]
	v_fma_f64 v[18:19], -v[18:19], v[43:44], v[24:25]
	v_div_fmas_f64 v[18:19], v[18:19], v[22:23], v[43:44]
	v_div_fixup_f64 v[1:2], v[18:19], v[3:4], -v[1:2]
	v_fma_f64 v[3:4], v[1:2], v[1:2], 1.0
	v_cmp_gt_f64_e32 vcc, s[24:25], v[3:4]
	v_cndmask_b32_e32 v18, 0, v37, vcc
	v_ldexp_f64 v[3:4], v[3:4], v18
	v_rsq_f64_e32 v[18:19], v[3:4]
	v_mul_f64 v[22:23], v[3:4], v[18:19]
	v_mul_f64 v[18:19], v[18:19], 0.5
	v_fma_f64 v[24:25], -v[18:19], v[22:23], 0.5
	v_fma_f64 v[22:23], v[22:23], v[24:25], v[22:23]
	v_fma_f64 v[18:19], v[18:19], v[24:25], v[18:19]
	v_fma_f64 v[24:25], -v[22:23], v[22:23], v[3:4]
	v_fma_f64 v[22:23], v[24:25], v[18:19], v[22:23]
	v_fma_f64 v[24:25], -v[22:23], v[22:23], v[3:4]
	v_fma_f64 v[18:19], v[24:25], v[18:19], v[22:23]
	v_cndmask_b32_e32 v22, 0, v38, vcc
	v_cmp_class_f64_e32 vcc, v[3:4], v36
	v_ldexp_f64 v[18:19], v[18:19], v22
	v_cndmask_b32_e32 v4, v19, v4, vcc
	v_cndmask_b32_e32 v3, v18, v3, vcc
	v_div_scale_f64 v[18:19], s[38:39], v[3:4], v[3:4], 1.0
	v_div_scale_f64 v[43:44], vcc, 1.0, v[3:4], 1.0
	v_rcp_f64_e32 v[22:23], v[18:19]
	v_fma_f64 v[24:25], -v[18:19], v[22:23], 1.0
	v_fma_f64 v[22:23], v[22:23], v[24:25], v[22:23]
	v_fma_f64 v[24:25], -v[18:19], v[22:23], 1.0
	v_fma_f64 v[22:23], v[22:23], v[24:25], v[22:23]
	v_mul_f64 v[24:25], v[43:44], v[22:23]
	v_fma_f64 v[18:19], -v[18:19], v[24:25], v[43:44]
	v_div_fmas_f64 v[18:19], v[18:19], v[22:23], v[24:25]
	v_div_fixup_f64 v[18:19], v[18:19], v[3:4], 1.0
                                        ; implicit-def: $vgpr3_vgpr4
	v_mul_f64 v[22:23], v[1:2], v[18:19]
                                        ; implicit-def: $vgpr1_vgpr2
.LBB128_27:                             ;   in Loop: Header=BB128_11 Depth=1
	s_andn2_saveexec_b64 s[28:29], s[28:29]
	s_cbranch_execz .LBB128_29
; %bb.28:                               ;   in Loop: Header=BB128_11 Depth=1
	v_div_scale_f64 v[18:19], s[38:39], v[1:2], v[1:2], -v[3:4]
	v_rcp_f64_e32 v[22:23], v[18:19]
	v_fma_f64 v[24:25], -v[18:19], v[22:23], 1.0
	v_fma_f64 v[22:23], v[22:23], v[24:25], v[22:23]
	v_div_scale_f64 v[24:25], vcc, -v[3:4], v[1:2], -v[3:4]
	v_fma_f64 v[43:44], -v[18:19], v[22:23], 1.0
	v_fma_f64 v[22:23], v[22:23], v[43:44], v[22:23]
	v_mul_f64 v[43:44], v[24:25], v[22:23]
	v_fma_f64 v[18:19], -v[18:19], v[43:44], v[24:25]
	v_div_fmas_f64 v[18:19], v[18:19], v[22:23], v[43:44]
	v_div_fixup_f64 v[1:2], v[18:19], v[1:2], -v[3:4]
	v_fma_f64 v[3:4], v[1:2], v[1:2], 1.0
	v_cmp_gt_f64_e32 vcc, s[24:25], v[3:4]
	v_cndmask_b32_e32 v18, 0, v37, vcc
	v_ldexp_f64 v[3:4], v[3:4], v18
	v_rsq_f64_e32 v[18:19], v[3:4]
	v_mul_f64 v[22:23], v[3:4], v[18:19]
	v_mul_f64 v[18:19], v[18:19], 0.5
	v_fma_f64 v[24:25], -v[18:19], v[22:23], 0.5
	v_fma_f64 v[22:23], v[22:23], v[24:25], v[22:23]
	v_fma_f64 v[18:19], v[18:19], v[24:25], v[18:19]
	v_fma_f64 v[24:25], -v[22:23], v[22:23], v[3:4]
	v_fma_f64 v[22:23], v[24:25], v[18:19], v[22:23]
	v_fma_f64 v[24:25], -v[22:23], v[22:23], v[3:4]
	v_fma_f64 v[18:19], v[24:25], v[18:19], v[22:23]
	v_cndmask_b32_e32 v22, 0, v38, vcc
	v_cmp_class_f64_e32 vcc, v[3:4], v36
	v_ldexp_f64 v[18:19], v[18:19], v22
	v_cndmask_b32_e32 v4, v19, v4, vcc
	v_cndmask_b32_e32 v3, v18, v3, vcc
	v_div_scale_f64 v[18:19], s[38:39], v[3:4], v[3:4], 1.0
	v_div_scale_f64 v[43:44], vcc, 1.0, v[3:4], 1.0
	v_rcp_f64_e32 v[22:23], v[18:19]
	v_fma_f64 v[24:25], -v[18:19], v[22:23], 1.0
	v_fma_f64 v[22:23], v[22:23], v[24:25], v[22:23]
	v_fma_f64 v[24:25], -v[18:19], v[22:23], 1.0
	v_fma_f64 v[22:23], v[22:23], v[24:25], v[22:23]
	v_mul_f64 v[24:25], v[43:44], v[22:23]
	v_fma_f64 v[18:19], -v[18:19], v[24:25], v[43:44]
	v_div_fmas_f64 v[18:19], v[18:19], v[22:23], v[24:25]
	v_div_fixup_f64 v[22:23], v[18:19], v[3:4], 1.0
	v_mul_f64 v[18:19], v[1:2], v[22:23]
.LBB128_29:                             ;   in Loop: Header=BB128_11 Depth=1
	s_or_b64 exec, exec, s[28:29]
.LBB128_30:                             ;   in Loop: Header=BB128_11 Depth=1
	s_or_b64 exec, exec, s[26:27]
.LBB128_31:                             ;   in Loop: Header=BB128_11 Depth=1
	s_or_b64 exec, exec, s[8:9]
	v_mul_f64 v[5:6], v[5:6], v[22:23]
	v_mul_f64 v[7:8], v[7:8], v[22:23]
	v_cmp_lg_f64_e32 vcc, 0, v[20:21]
                                        ; implicit-def: $vgpr3_vgpr4
	s_and_saveexec_b64 s[8:9], vcc
	s_xor_b64 s[8:9], exec, s[8:9]
	s_cbranch_execz .LBB128_33
; %bb.32:                               ;   in Loop: Header=BB128_11 Depth=1
	v_div_scale_f64 v[1:2], s[26:27], v[20:21], v[20:21], 0
	v_rcp_f64_e32 v[3:4], v[1:2]
	v_fma_f64 v[22:23], -v[1:2], v[3:4], 1.0
	v_fma_f64 v[3:4], v[3:4], v[22:23], v[3:4]
	v_div_scale_f64 v[22:23], vcc, 0, v[20:21], 0
	v_fma_f64 v[24:25], -v[1:2], v[3:4], 1.0
	v_fma_f64 v[3:4], v[3:4], v[24:25], v[3:4]
	v_mul_f64 v[24:25], v[22:23], v[3:4]
	v_fma_f64 v[1:2], -v[1:2], v[24:25], v[22:23]
	v_div_fmas_f64 v[1:2], v[1:2], v[3:4], v[24:25]
	v_div_fixup_f64 v[1:2], v[1:2], v[20:21], 0
	v_fma_f64 v[3:4], v[1:2], 0, v[20:21]
	v_div_scale_f64 v[20:21], s[26:27], v[3:4], v[3:4], 1.0
	v_rcp_f64_e32 v[22:23], v[20:21]
	v_fma_f64 v[24:25], -v[20:21], v[22:23], 1.0
	v_fma_f64 v[22:23], v[22:23], v[24:25], v[22:23]
	v_div_scale_f64 v[24:25], vcc, 1.0, v[3:4], 1.0
	v_fma_f64 v[43:44], -v[20:21], v[22:23], 1.0
	v_fma_f64 v[22:23], v[22:23], v[43:44], v[22:23]
	v_mul_f64 v[43:44], v[24:25], v[22:23]
	v_fma_f64 v[20:21], -v[20:21], v[43:44], v[24:25]
	v_div_fmas_f64 v[20:21], v[20:21], v[22:23], v[43:44]
	v_fma_f64 v[22:23], v[1:2], v[7:8], v[5:6]
	v_fma_f64 v[5:6], -v[1:2], v[5:6], v[7:8]
                                        ; implicit-def: $vgpr7_vgpr8
	v_div_fixup_f64 v[3:4], v[20:21], v[3:4], 1.0
                                        ; implicit-def: $vgpr20_vgpr21
	v_mul_f64 v[1:2], v[3:4], v[22:23]
	v_mul_f64 v[3:4], v[3:4], v[5:6]
                                        ; implicit-def: $vgpr5_vgpr6
.LBB128_33:                             ;   in Loop: Header=BB128_11 Depth=1
	s_andn2_saveexec_b64 s[8:9], s[8:9]
	s_cbranch_execz .LBB128_35
; %bb.34:                               ;   in Loop: Header=BB128_11 Depth=1
	v_div_scale_f64 v[1:2], s[26:27], 0, 0, v[20:21]
	v_rcp_f64_e32 v[3:4], v[1:2]
	v_fma_f64 v[22:23], -v[1:2], v[3:4], 1.0
	v_fma_f64 v[3:4], v[3:4], v[22:23], v[3:4]
	v_div_scale_f64 v[22:23], vcc, v[20:21], 0, v[20:21]
	v_fma_f64 v[24:25], -v[1:2], v[3:4], 1.0
	v_fma_f64 v[3:4], v[3:4], v[24:25], v[3:4]
	v_mul_f64 v[24:25], v[22:23], v[3:4]
	v_fma_f64 v[1:2], -v[1:2], v[24:25], v[22:23]
	v_div_fmas_f64 v[1:2], v[1:2], v[3:4], v[24:25]
	v_div_fixup_f64 v[1:2], v[1:2], 0, v[20:21]
	v_fma_f64 v[3:4], v[20:21], v[1:2], 0
	v_div_scale_f64 v[20:21], s[26:27], v[3:4], v[3:4], 1.0
	v_rcp_f64_e32 v[22:23], v[20:21]
	v_fma_f64 v[24:25], -v[20:21], v[22:23], 1.0
	v_fma_f64 v[22:23], v[22:23], v[24:25], v[22:23]
	v_div_scale_f64 v[24:25], vcc, 1.0, v[3:4], 1.0
	v_fma_f64 v[43:44], -v[20:21], v[22:23], 1.0
	v_fma_f64 v[22:23], v[22:23], v[43:44], v[22:23]
	v_mul_f64 v[43:44], v[24:25], v[22:23]
	v_fma_f64 v[20:21], -v[20:21], v[43:44], v[24:25]
	v_div_fmas_f64 v[20:21], v[20:21], v[22:23], v[43:44]
	v_fma_f64 v[22:23], v[1:2], v[5:6], v[7:8]
	v_fma_f64 v[5:6], v[1:2], v[7:8], -v[5:6]
	v_div_fixup_f64 v[3:4], v[20:21], v[3:4], 1.0
	v_mul_f64 v[1:2], v[3:4], v[22:23]
	v_mul_f64 v[3:4], v[3:4], v[5:6]
.LBB128_35:                             ;   in Loop: Header=BB128_11 Depth=1
	s_or_b64 exec, exec, s[8:9]
.LBB128_36:                             ;   in Loop: Header=BB128_11 Depth=1
	s_or_b64 exec, exec, s[18:19]
	ds_write_b64 v26, v[18:19]
	ds_write2_b64 v27, v[1:2], v[3:4] offset1:1
.LBB128_37:                             ;   in Loop: Header=BB128_11 Depth=1
	s_or_b64 exec, exec, s[12:13]
	s_and_b64 s[4:5], s[4:5], s[6:7]
	s_waitcnt vmcnt(0) lgkmcnt(0)
	s_barrier
	s_and_saveexec_b64 s[6:7], s[4:5]
	s_cbranch_execz .LBB128_45
; %bb.38:                               ;   in Loop: Header=BB128_11 Depth=1
	ds_read_b64 v[18:19], v26
	ds_read2_b64 v[1:4], v27 offset1:1
	s_andn2_b64 vcc, exec, s[22:23]
	s_cbranch_vccnz .LBB128_42
; %bb.39:                               ;   in Loop: Header=BB128_11 Depth=1
	v_subrev_u32_e32 v5, s31, v10
	v_add_u32_e32 v14, v5, v28
	v_subrev_u32_e32 v6, s31, v9
	v_ashrrev_i32_e32 v15, 31, v14
	v_add_u32_e32 v7, v6, v28
	v_lshlrev_b64 v[14:15], 4, v[14:15]
	v_ashrrev_i32_e32 v8, 31, v7
	v_lshlrev_b64 v[7:8], 4, v[7:8]
	v_mov_b32_e32 v20, s21
	v_add_co_u32_e32 v24, vcc, s20, v14
	v_addc_co_u32_e32 v25, vcc, v20, v15, vcc
	v_add_co_u32_e32 v7, vcc, s20, v7
	global_load_dwordx4 v[14:17], v[24:25], off
	v_addc_co_u32_e32 v8, vcc, v20, v8, vcc
	global_load_dwordx4 v[20:23], v[7:8], off
	s_waitcnt vmcnt(1) lgkmcnt(0)
	v_mul_f64 v[43:44], v[3:4], v[16:17]
	v_mul_f64 v[45:46], v[3:4], v[14:15]
	s_waitcnt vmcnt(0)
	v_mul_f64 v[47:48], v[1:2], v[20:21]
	v_mul_f64 v[49:50], v[1:2], v[22:23]
	v_fma_f64 v[43:44], v[1:2], v[14:15], v[43:44]
	v_fma_f64 v[45:46], v[1:2], v[16:17], -v[45:46]
	v_fma_f64 v[47:48], v[3:4], v[22:23], -v[47:48]
	v_fma_f64 v[49:50], v[20:21], -v[3:4], -v[49:50]
	v_fma_f64 v[20:21], v[18:19], v[20:21], v[43:44]
	v_fma_f64 v[22:23], v[18:19], v[22:23], v[45:46]
	;; [unrolled: 1-line block ×4, first 2 shown]
	global_store_dwordx4 v[7:8], v[20:23], off
	global_store_dwordx4 v[24:25], v[14:17], off
	s_and_saveexec_b64 s[8:9], s[2:3]
	s_cbranch_execz .LBB128_41
; %bb.40:                               ;   in Loop: Header=BB128_11 Depth=1
	v_add_u32_e32 v6, v6, v29
	v_ashrrev_i32_e32 v7, 31, v6
	v_add_u32_e32 v5, v5, v29
	v_lshlrev_b64 v[14:15], 4, v[6:7]
	v_ashrrev_i32_e32 v6, 31, v5
	v_lshlrev_b64 v[5:6], 4, v[5:6]
	v_mov_b32_e32 v16, s21
	v_add_co_u32_e32 v20, vcc, s20, v5
	v_addc_co_u32_e32 v21, vcc, v16, v6, vcc
	v_add_co_u32_e32 v22, vcc, s20, v14
	global_load_dwordx4 v[5:8], v[20:21], off
	v_addc_co_u32_e32 v23, vcc, v16, v15, vcc
	global_load_dwordx4 v[14:17], v[22:23], off
	s_waitcnt vmcnt(1)
	v_mul_f64 v[24:25], v[3:4], v[7:8]
	v_mul_f64 v[43:44], v[3:4], v[5:6]
	s_waitcnt vmcnt(0)
	v_mul_f64 v[45:46], v[1:2], v[14:15]
	v_mul_f64 v[47:48], v[1:2], v[16:17]
	v_fma_f64 v[24:25], v[1:2], v[5:6], v[24:25]
	v_fma_f64 v[43:44], v[1:2], v[7:8], -v[43:44]
	v_fma_f64 v[45:46], v[3:4], v[16:17], -v[45:46]
	v_fma_f64 v[47:48], v[14:15], -v[3:4], -v[47:48]
	v_fma_f64 v[14:15], v[18:19], v[14:15], v[24:25]
	v_fma_f64 v[16:17], v[18:19], v[16:17], v[43:44]
	;; [unrolled: 1-line block ×4, first 2 shown]
	global_store_dwordx4 v[22:23], v[14:17], off
	global_store_dwordx4 v[20:21], v[5:8], off
.LBB128_41:                             ;   in Loop: Header=BB128_11 Depth=1
	s_or_b64 exec, exec, s[8:9]
.LBB128_42:                             ;   in Loop: Header=BB128_11 Depth=1
	v_mad_u64_u32 v[5:6], s[8:9], v9, s15, v[11:12]
	v_mad_u64_u32 v[7:8], s[8:9], v10, s15, v[11:12]
	v_ashrrev_i32_e32 v6, 31, v5
	v_lshlrev_b64 v[20:21], 4, v[5:6]
	v_ashrrev_i32_e32 v8, 31, v7
	v_lshlrev_b64 v[5:6], 4, v[7:8]
	v_mov_b32_e32 v7, s34
	v_add_co_u32_e32 v5, vcc, s14, v5
	v_addc_co_u32_e32 v6, vcc, v7, v6, vcc
	v_mov_b32_e32 v22, s34
	v_add_co_u32_e32 v7, vcc, s14, v20
	global_load_dwordx4 v[14:17], v[5:6], off
	v_addc_co_u32_e32 v8, vcc, v22, v21, vcc
	global_load_dwordx4 v[20:23], v[7:8], off
	s_waitcnt vmcnt(1) lgkmcnt(0)
	v_mul_f64 v[24:25], v[3:4], v[16:17]
	v_mul_f64 v[43:44], v[3:4], v[14:15]
	s_waitcnt vmcnt(0)
	v_mul_f64 v[45:46], v[1:2], v[20:21]
	v_mul_f64 v[47:48], v[1:2], v[22:23]
	v_fma_f64 v[24:25], v[1:2], v[14:15], v[24:25]
	v_fma_f64 v[43:44], v[1:2], v[16:17], -v[43:44]
	v_fma_f64 v[45:46], v[3:4], v[22:23], -v[45:46]
	v_fma_f64 v[47:48], v[20:21], -v[3:4], -v[47:48]
	v_fma_f64 v[20:21], v[18:19], v[20:21], v[24:25]
	v_fma_f64 v[22:23], v[18:19], v[22:23], v[43:44]
	;; [unrolled: 1-line block ×4, first 2 shown]
	global_store_dwordx4 v[7:8], v[20:23], off
	global_store_dwordx4 v[5:6], v[14:17], off
	s_and_saveexec_b64 s[8:9], s[2:3]
	s_cbranch_execz .LBB128_44
; %bb.43:                               ;   in Loop: Header=BB128_11 Depth=1
	global_load_dwordx4 v[14:17], v[5:6], off offset:16
	global_load_dwordx4 v[20:23], v[7:8], off offset:16
	s_waitcnt vmcnt(1)
	v_mul_f64 v[24:25], v[3:4], v[16:17]
	v_mul_f64 v[43:44], v[3:4], v[14:15]
	s_waitcnt vmcnt(0)
	v_mul_f64 v[45:46], v[1:2], v[20:21]
	v_mul_f64 v[47:48], v[1:2], v[22:23]
	v_fma_f64 v[24:25], v[1:2], v[14:15], v[24:25]
	v_fma_f64 v[43:44], v[1:2], v[16:17], -v[43:44]
	v_fma_f64 v[45:46], v[3:4], v[22:23], -v[45:46]
	v_fma_f64 v[47:48], v[20:21], -v[3:4], -v[47:48]
	v_fma_f64 v[20:21], v[18:19], v[20:21], v[24:25]
	v_fma_f64 v[22:23], v[18:19], v[22:23], v[43:44]
	;; [unrolled: 1-line block ×4, first 2 shown]
	global_store_dwordx4 v[7:8], v[20:23], off offset:16
	global_store_dwordx4 v[5:6], v[14:17], off offset:16
.LBB128_44:                             ;   in Loop: Header=BB128_11 Depth=1
	s_or_b64 exec, exec, s[8:9]
	v_mov_b32_e32 v17, v2
	v_xor_b32_e32 v15, 0x80000000, v4
	v_mov_b32_e32 v14, v3
	v_mov_b32_e32 v16, v1
.LBB128_45:                             ;   in Loop: Header=BB128_11 Depth=1
	s_or_b64 exec, exec, s[6:7]
	s_waitcnt vmcnt(0)
	s_barrier
	s_and_saveexec_b64 s[6:7], s[4:5]
	s_cbranch_execz .LBB128_48
; %bb.46:                               ;   in Loop: Header=BB128_11 Depth=1
	v_add_u32_e32 v5, v9, v33
	v_ashrrev_i32_e32 v6, 31, v5
	v_lshlrev_b64 v[20:21], 4, v[5:6]
	v_add_u32_e32 v5, v10, v33
	v_ashrrev_i32_e32 v6, 31, v5
	v_lshlrev_b64 v[5:6], 4, v[5:6]
	v_mov_b32_e32 v7, s34
	v_add_co_u32_e32 v24, vcc, s14, v5
	v_addc_co_u32_e32 v25, vcc, v7, v6, vcc
	v_mov_b32_e32 v22, s34
	v_add_co_u32_e32 v43, vcc, s14, v20
	global_load_dwordx4 v[5:8], v[24:25], off
	v_addc_co_u32_e32 v44, vcc, v22, v21, vcc
	global_load_dwordx4 v[20:23], v[43:44], off
	s_waitcnt vmcnt(1)
	v_mul_f64 v[45:46], v[3:4], v[7:8]
	v_mul_f64 v[47:48], v[1:2], v[7:8]
	s_waitcnt vmcnt(0)
	v_mul_f64 v[49:50], v[16:17], v[20:21]
	v_mul_f64 v[51:52], v[16:17], v[22:23]
	v_fma_f64 v[45:46], v[1:2], v[5:6], -v[45:46]
	v_fma_f64 v[47:48], v[3:4], v[5:6], v[47:48]
	v_fma_f64 v[49:50], v[14:15], v[22:23], -v[49:50]
	v_fma_f64 v[51:52], v[20:21], -v[14:15], -v[51:52]
	v_fma_f64 v[20:21], v[18:19], v[20:21], v[45:46]
	v_fma_f64 v[22:23], v[18:19], v[22:23], v[47:48]
	;; [unrolled: 1-line block ×4, first 2 shown]
	global_store_dwordx4 v[43:44], v[20:23], off
	global_store_dwordx4 v[24:25], v[5:8], off
	s_and_b64 exec, exec, s[2:3]
	s_cbranch_execz .LBB128_48
; %bb.47:                               ;   in Loop: Header=BB128_11 Depth=1
	v_add_u32_e32 v5, v9, v34
	v_ashrrev_i32_e32 v6, 31, v5
	v_lshlrev_b64 v[20:21], 4, v[5:6]
	v_add_u32_e32 v5, v10, v34
	v_ashrrev_i32_e32 v6, 31, v5
	v_lshlrev_b64 v[5:6], 4, v[5:6]
	v_mov_b32_e32 v7, s34
	v_add_co_u32_e32 v24, vcc, s14, v5
	v_addc_co_u32_e32 v25, vcc, v7, v6, vcc
	v_mov_b32_e32 v22, s34
	v_add_co_u32_e32 v43, vcc, s14, v20
	global_load_dwordx4 v[5:8], v[24:25], off
	v_addc_co_u32_e32 v44, vcc, v22, v21, vcc
	global_load_dwordx4 v[20:23], v[43:44], off
	s_waitcnt vmcnt(1)
	v_mul_f64 v[45:46], v[3:4], v[7:8]
	v_mul_f64 v[47:48], v[1:2], v[7:8]
	s_waitcnt vmcnt(0)
	v_mul_f64 v[49:50], v[16:17], v[20:21]
	v_mul_f64 v[51:52], v[16:17], v[22:23]
	v_fma_f64 v[45:46], v[1:2], v[5:6], -v[45:46]
	v_fma_f64 v[47:48], v[3:4], v[5:6], v[47:48]
	v_fma_f64 v[49:50], v[14:15], v[22:23], -v[49:50]
	v_fma_f64 v[51:52], v[20:21], -v[14:15], -v[51:52]
	v_fma_f64 v[20:21], v[18:19], v[20:21], v[45:46]
	v_fma_f64 v[22:23], v[18:19], v[22:23], v[47:48]
	;; [unrolled: 1-line block ×4, first 2 shown]
	global_store_dwordx4 v[43:44], v[20:23], off
	global_store_dwordx4 v[24:25], v[5:8], off
.LBB128_48:                             ;   in Loop: Header=BB128_11 Depth=1
	s_or_b64 exec, exec, s[6:7]
	s_waitcnt vmcnt(0)
	s_barrier
	s_and_saveexec_b64 s[4:5], s[10:11]
	s_cbranch_execz .LBB128_50
; %bb.49:                               ;   in Loop: Header=BB128_11 Depth=1
	v_mad_u64_u32 v[5:6], s[6:7], v10, s15, v[9:10]
	v_mad_u64_u32 v[22:23], s[6:7], v9, s15, v[10:11]
	v_ashrrev_i32_e32 v6, 31, v5
	v_lshlrev_b64 v[5:6], 4, v[5:6]
	v_mov_b32_e32 v7, s34
	v_add_co_u32_e32 v20, vcc, s14, v5
	v_addc_co_u32_e32 v21, vcc, v7, v6, vcc
	s_mov_b32 s17, s16
	s_mov_b32 s18, s16
	s_mov_b32 s19, s16
	v_mov_b32_e32 v5, s16
	v_mov_b32_e32 v6, s17
	v_mov_b32_e32 v7, s18
	v_mov_b32_e32 v8, s19
	v_ashrrev_i32_e32 v23, 31, v22
	global_store_dwordx4 v[20:21], v[5:8], off
	v_lshlrev_b64 v[20:21], 4, v[22:23]
	v_mov_b32_e32 v10, s34
	v_add_co_u32_e32 v20, vcc, s14, v20
	v_addc_co_u32_e32 v21, vcc, v10, v21, vcc
	global_store_dwordx4 v[20:21], v[5:8], off
.LBB128_50:                             ;   in Loop: Header=BB128_11 Depth=1
	s_or_b64 exec, exec, s[4:5]
	v_cmp_lt_i32_e32 vcc, 0, v0
	s_and_saveexec_b64 s[4:5], vcc
	s_cbranch_execz .LBB128_56
; %bb.51:                               ;   in Loop: Header=BB128_11 Depth=1
	v_cmp_ne_u32_e32 vcc, 1, v0
                                        ; implicit-def: $vgpr9
	s_and_saveexec_b64 s[6:7], vcc
	s_xor_b64 s[6:7], exec, s[6:7]
; %bb.52:                               ;   in Loop: Header=BB128_11 Depth=1
	ds_read_b32 v9, v32
; %bb.53:                               ;   in Loop: Header=BB128_11 Depth=1
	s_andn2_saveexec_b64 s[6:7], s[6:7]
	s_cbranch_execz .LBB128_55
; %bb.54:                               ;   in Loop: Header=BB128_11 Depth=1
	v_mov_b32_e32 v5, s33
	s_waitcnt lgkmcnt(0)
	ds_read_b32 v9, v5
.LBB128_55:                             ;   in Loop: Header=BB128_11 Depth=1
	s_or_b64 exec, exec, s[6:7]
.LBB128_56:                             ;   in Loop: Header=BB128_11 Depth=1
	s_or_b64 exec, exec, s[4:5]
	ds_read_b32 v10, v35
	s_waitcnt vmcnt(0) lgkmcnt(0)
	s_barrier
	s_and_saveexec_b64 s[4:5], s[0:1]
	s_cbranch_execz .LBB128_10
; %bb.57:                               ;   in Loop: Header=BB128_11 Depth=1
	ds_write_b32 v30, v9
	ds_write_b32 v31, v10
	s_branch .LBB128_10
.LBB128_58:
	s_endpgm
	.section	.rodata,"a",@progbits
	.p2align	6, 0x0
	.amdhsa_kernel _ZN9rocsolver6v33100L17syevj_diag_kernelI19rocblas_complex_numIdEdPS3_EEviT1_iilT0_PT_Pi
		.amdhsa_group_segment_fixed_size 0
		.amdhsa_private_segment_fixed_size 0
		.amdhsa_kernarg_size 312
		.amdhsa_user_sgpr_count 6
		.amdhsa_user_sgpr_private_segment_buffer 1
		.amdhsa_user_sgpr_dispatch_ptr 0
		.amdhsa_user_sgpr_queue_ptr 0
		.amdhsa_user_sgpr_kernarg_segment_ptr 1
		.amdhsa_user_sgpr_dispatch_id 0
		.amdhsa_user_sgpr_flat_scratch_init 0
		.amdhsa_user_sgpr_private_segment_size 0
		.amdhsa_uses_dynamic_stack 0
		.amdhsa_system_sgpr_private_segment_wavefront_offset 0
		.amdhsa_system_sgpr_workgroup_id_x 1
		.amdhsa_system_sgpr_workgroup_id_y 0
		.amdhsa_system_sgpr_workgroup_id_z 1
		.amdhsa_system_sgpr_workgroup_info 0
		.amdhsa_system_vgpr_workitem_id 1
		.amdhsa_next_free_vgpr 53
		.amdhsa_next_free_sgpr 40
		.amdhsa_reserve_vcc 1
		.amdhsa_reserve_flat_scratch 0
		.amdhsa_float_round_mode_32 0
		.amdhsa_float_round_mode_16_64 0
		.amdhsa_float_denorm_mode_32 3
		.amdhsa_float_denorm_mode_16_64 3
		.amdhsa_dx10_clamp 1
		.amdhsa_ieee_mode 1
		.amdhsa_fp16_overflow 0
		.amdhsa_exception_fp_ieee_invalid_op 0
		.amdhsa_exception_fp_denorm_src 0
		.amdhsa_exception_fp_ieee_div_zero 0
		.amdhsa_exception_fp_ieee_overflow 0
		.amdhsa_exception_fp_ieee_underflow 0
		.amdhsa_exception_fp_ieee_inexact 0
		.amdhsa_exception_int_div_zero 0
	.end_amdhsa_kernel
	.section	.text._ZN9rocsolver6v33100L17syevj_diag_kernelI19rocblas_complex_numIdEdPS3_EEviT1_iilT0_PT_Pi,"axG",@progbits,_ZN9rocsolver6v33100L17syevj_diag_kernelI19rocblas_complex_numIdEdPS3_EEviT1_iilT0_PT_Pi,comdat
.Lfunc_end128:
	.size	_ZN9rocsolver6v33100L17syevj_diag_kernelI19rocblas_complex_numIdEdPS3_EEviT1_iilT0_PT_Pi, .Lfunc_end128-_ZN9rocsolver6v33100L17syevj_diag_kernelI19rocblas_complex_numIdEdPS3_EEviT1_iilT0_PT_Pi
                                        ; -- End function
	.set _ZN9rocsolver6v33100L17syevj_diag_kernelI19rocblas_complex_numIdEdPS3_EEviT1_iilT0_PT_Pi.num_vgpr, 53
	.set _ZN9rocsolver6v33100L17syevj_diag_kernelI19rocblas_complex_numIdEdPS3_EEviT1_iilT0_PT_Pi.num_agpr, 0
	.set _ZN9rocsolver6v33100L17syevj_diag_kernelI19rocblas_complex_numIdEdPS3_EEviT1_iilT0_PT_Pi.numbered_sgpr, 40
	.set _ZN9rocsolver6v33100L17syevj_diag_kernelI19rocblas_complex_numIdEdPS3_EEviT1_iilT0_PT_Pi.num_named_barrier, 0
	.set _ZN9rocsolver6v33100L17syevj_diag_kernelI19rocblas_complex_numIdEdPS3_EEviT1_iilT0_PT_Pi.private_seg_size, 0
	.set _ZN9rocsolver6v33100L17syevj_diag_kernelI19rocblas_complex_numIdEdPS3_EEviT1_iilT0_PT_Pi.uses_vcc, 1
	.set _ZN9rocsolver6v33100L17syevj_diag_kernelI19rocblas_complex_numIdEdPS3_EEviT1_iilT0_PT_Pi.uses_flat_scratch, 0
	.set _ZN9rocsolver6v33100L17syevj_diag_kernelI19rocblas_complex_numIdEdPS3_EEviT1_iilT0_PT_Pi.has_dyn_sized_stack, 0
	.set _ZN9rocsolver6v33100L17syevj_diag_kernelI19rocblas_complex_numIdEdPS3_EEviT1_iilT0_PT_Pi.has_recursion, 0
	.set _ZN9rocsolver6v33100L17syevj_diag_kernelI19rocblas_complex_numIdEdPS3_EEviT1_iilT0_PT_Pi.has_indirect_call, 0
	.section	.AMDGPU.csdata,"",@progbits
; Kernel info:
; codeLenInByte = 4492
; TotalNumSgprs: 44
; NumVgprs: 53
; ScratchSize: 0
; MemoryBound: 0
; FloatMode: 240
; IeeeMode: 1
; LDSByteSize: 0 bytes/workgroup (compile time only)
; SGPRBlocks: 5
; VGPRBlocks: 13
; NumSGPRsForWavesPerEU: 44
; NumVGPRsForWavesPerEU: 53
; Occupancy: 4
; WaveLimiterHint : 0
; COMPUTE_PGM_RSRC2:SCRATCH_EN: 0
; COMPUTE_PGM_RSRC2:USER_SGPR: 6
; COMPUTE_PGM_RSRC2:TRAP_HANDLER: 0
; COMPUTE_PGM_RSRC2:TGID_X_EN: 1
; COMPUTE_PGM_RSRC2:TGID_Y_EN: 0
; COMPUTE_PGM_RSRC2:TGID_Z_EN: 1
; COMPUTE_PGM_RSRC2:TIDIG_COMP_CNT: 1
	.section	.text._ZN9rocsolver6v33100L21syevj_diag_rotate_orgILb0E19rocblas_complex_numIdEdPS3_EEvbiT2_iilPT0_Pi,"axG",@progbits,_ZN9rocsolver6v33100L21syevj_diag_rotate_orgILb0E19rocblas_complex_numIdEdPS3_EEvbiT2_iilPT0_Pi,comdat
	.globl	_ZN9rocsolver6v33100L21syevj_diag_rotate_orgILb0E19rocblas_complex_numIdEdPS3_EEvbiT2_iilPT0_Pi ; -- Begin function _ZN9rocsolver6v33100L21syevj_diag_rotate_orgILb0E19rocblas_complex_numIdEdPS3_EEvbiT2_iilPT0_Pi
	.p2align	8
	.type	_ZN9rocsolver6v33100L21syevj_diag_rotate_orgILb0E19rocblas_complex_numIdEdPS3_EEvbiT2_iilPT0_Pi,@function
_ZN9rocsolver6v33100L21syevj_diag_rotate_orgILb0E19rocblas_complex_numIdEdPS3_EEvbiT2_iilPT0_Pi: ; @_ZN9rocsolver6v33100L21syevj_diag_rotate_orgILb0E19rocblas_complex_numIdEdPS3_EEvbiT2_iilPT0_Pi
; %bb.0:
	s_load_dwordx2 s[0:1], s[4:5], 0x0
	s_load_dwordx2 s[2:3], s[4:5], 0x28
	s_waitcnt lgkmcnt(0)
	s_bitcmp1_b32 s0, 0
	s_cselect_b64 s[10:11], -1, 0
	s_ashr_i32 s9, s8, 31
	s_lshl_b64 s[12:13], s[8:9], 2
	s_add_u32 s2, s2, s12
	s_addc_u32 s3, s3, s13
	s_load_dword s0, s[2:3], 0x4
	s_waitcnt lgkmcnt(0)
	s_cmp_lg_u32 s0, 0
	s_cselect_b64 s[2:3], -1, 0
	s_cmp_eq_u32 s6, s7
	s_cselect_b64 s[12:13], -1, 0
	s_and_b64 s[10:11], s[12:13], s[10:11]
	s_or_b64 s[2:3], s[10:11], s[2:3]
	s_and_b64 vcc, exec, s[2:3]
	s_cbranch_vccnz .LBB129_7
; %bb.1:
	s_load_dword s0, s[4:5], 0x3c
	s_add_u32 s2, s4, 48
	s_addc_u32 s3, s5, 0
	s_waitcnt lgkmcnt(0)
	s_and_b32 s10, s0, 0xffff
	s_mul_i32 s0, s6, s10
	s_mul_i32 s11, s7, s10
	v_add_u32_e32 v9, s0, v0
	v_add_u32_e32 v4, s11, v1
	v_max_i32_e32 v2, v9, v4
	v_cmp_gt_i32_e32 vcc, s1, v2
	s_and_saveexec_b64 s[12:13], vcc
	s_cbranch_execz .LBB129_7
; %bb.2:
	s_load_dwordx8 s[12:19], s[4:5], 0x8
	s_sub_i32 s0, s1, s0
	s_min_i32 s4, s0, s10
	s_waitcnt lgkmcnt(0)
	s_mul_i32 s5, s16, s9
	s_mul_hi_u32 s9, s16, s8
	s_add_i32 s5, s9, s5
	s_mul_i32 s9, s17, s8
	s_add_i32 s17, s5, s9
	s_mul_i32 s16, s16, s8
	s_ashr_i32 s1, s14, 31
	s_lshl_b64 s[16:17], s[16:17], 4
	s_mov_b32 s0, s14
	s_add_u32 s5, s12, s16
	s_addc_u32 s9, s13, s17
	s_lshl_b64 s[0:1], s[0:1], 4
	s_add_u32 s0, s5, s0
	s_addc_u32 s1, s9, s1
	s_cmp_lt_i32 s4, 1
	s_cbranch_scc1 .LBB129_5
; %bb.3:
	s_load_dword s2, s[2:3], 0x0
	s_mul_i32 s3, s6, s15
	s_add_i32 s3, s7, s3
	s_mul_i32 s3, s3, s10
	v_add_u32_e32 v5, s3, v1
	s_waitcnt lgkmcnt(0)
	s_mul_i32 s2, s2, s8
	s_add_i32 s2, s2, s6
	s_mul_i32 s2, s2, s10
	s_mul_i32 s2, s2, s10
	s_ashr_i32 s3, s2, 31
	s_lshl_b64 s[2:3], s[2:3], 4
	s_add_u32 s2, s18, s2
	v_lshlrev_b32_e32 v0, 4, v0
	s_addc_u32 s3, s19, s3
	v_mov_b32_e32 v1, s3
	v_add_co_u32_e32 v0, vcc, s2, v0
	v_addc_co_u32_e32 v1, vcc, 0, v1, vcc
	v_add_co_u32_e32 v7, vcc, 8, v0
	v_addc_co_u32_e32 v8, vcc, 0, v1, vcc
	v_mov_b32_e32 v2, 0
	v_mov_b32_e32 v0, 0
	s_lshl_b32 s2, s10, 4
	v_mov_b32_e32 v3, 0
	v_mov_b32_e32 v1, 0
	;; [unrolled: 1-line block ×3, first 2 shown]
.LBB129_4:                              ; =>This Inner Loop Header: Depth=1
	v_ashrrev_i32_e32 v6, 31, v5
	v_lshlrev_b64 v[15:16], 4, v[5:6]
	global_load_dwordx4 v[11:14], v[7:8], off offset:-8
	v_add_co_u32_e32 v15, vcc, s0, v15
	v_addc_co_u32_e32 v16, vcc, v10, v16, vcc
	global_load_dwordx4 v[15:18], v[15:16], off
	s_add_i32 s4, s4, -1
	v_add_co_u32_e32 v7, vcc, s2, v7
	v_addc_co_u32_e32 v8, vcc, 0, v8, vcc
	s_cmp_lg_u32 s4, 0
	v_add_u32_e32 v5, s15, v5
	s_waitcnt vmcnt(0)
	v_mul_f64 v[19:20], v[17:18], v[13:14]
	v_mul_f64 v[13:14], v[15:16], v[13:14]
	v_fma_f64 v[19:20], v[15:16], v[11:12], -v[19:20]
	v_fma_f64 v[11:12], v[17:18], v[11:12], v[13:14]
	v_add_f64 v[0:1], v[0:1], v[19:20]
	v_add_f64 v[2:3], v[2:3], v[11:12]
	s_cbranch_scc1 .LBB129_4
	s_branch .LBB129_6
.LBB129_5:
	v_mov_b32_e32 v2, 0
	v_mov_b32_e32 v0, 0
	;; [unrolled: 1-line block ×4, first 2 shown]
.LBB129_6:
	v_mad_u64_u32 v[4:5], s[2:3], v9, s15, v[4:5]
	v_mov_b32_e32 v6, s1
	v_ashrrev_i32_e32 v5, 31, v4
	v_lshlrev_b64 v[4:5], 4, v[4:5]
	s_barrier
	v_add_co_u32_e32 v4, vcc, s0, v4
	v_addc_co_u32_e32 v5, vcc, v6, v5, vcc
	global_store_dwordx4 v[4:5], v[0:3], off
.LBB129_7:
	s_endpgm
	.section	.rodata,"a",@progbits
	.p2align	6, 0x0
	.amdhsa_kernel _ZN9rocsolver6v33100L21syevj_diag_rotate_orgILb0E19rocblas_complex_numIdEdPS3_EEvbiT2_iilPT0_Pi
		.amdhsa_group_segment_fixed_size 0
		.amdhsa_private_segment_fixed_size 0
		.amdhsa_kernarg_size 304
		.amdhsa_user_sgpr_count 6
		.amdhsa_user_sgpr_private_segment_buffer 1
		.amdhsa_user_sgpr_dispatch_ptr 0
		.amdhsa_user_sgpr_queue_ptr 0
		.amdhsa_user_sgpr_kernarg_segment_ptr 1
		.amdhsa_user_sgpr_dispatch_id 0
		.amdhsa_user_sgpr_flat_scratch_init 0
		.amdhsa_user_sgpr_private_segment_size 0
		.amdhsa_uses_dynamic_stack 0
		.amdhsa_system_sgpr_private_segment_wavefront_offset 0
		.amdhsa_system_sgpr_workgroup_id_x 1
		.amdhsa_system_sgpr_workgroup_id_y 1
		.amdhsa_system_sgpr_workgroup_id_z 1
		.amdhsa_system_sgpr_workgroup_info 0
		.amdhsa_system_vgpr_workitem_id 1
		.amdhsa_next_free_vgpr 21
		.amdhsa_next_free_sgpr 20
		.amdhsa_reserve_vcc 1
		.amdhsa_reserve_flat_scratch 0
		.amdhsa_float_round_mode_32 0
		.amdhsa_float_round_mode_16_64 0
		.amdhsa_float_denorm_mode_32 3
		.amdhsa_float_denorm_mode_16_64 3
		.amdhsa_dx10_clamp 1
		.amdhsa_ieee_mode 1
		.amdhsa_fp16_overflow 0
		.amdhsa_exception_fp_ieee_invalid_op 0
		.amdhsa_exception_fp_denorm_src 0
		.amdhsa_exception_fp_ieee_div_zero 0
		.amdhsa_exception_fp_ieee_overflow 0
		.amdhsa_exception_fp_ieee_underflow 0
		.amdhsa_exception_fp_ieee_inexact 0
		.amdhsa_exception_int_div_zero 0
	.end_amdhsa_kernel
	.section	.text._ZN9rocsolver6v33100L21syevj_diag_rotate_orgILb0E19rocblas_complex_numIdEdPS3_EEvbiT2_iilPT0_Pi,"axG",@progbits,_ZN9rocsolver6v33100L21syevj_diag_rotate_orgILb0E19rocblas_complex_numIdEdPS3_EEvbiT2_iilPT0_Pi,comdat
.Lfunc_end129:
	.size	_ZN9rocsolver6v33100L21syevj_diag_rotate_orgILb0E19rocblas_complex_numIdEdPS3_EEvbiT2_iilPT0_Pi, .Lfunc_end129-_ZN9rocsolver6v33100L21syevj_diag_rotate_orgILb0E19rocblas_complex_numIdEdPS3_EEvbiT2_iilPT0_Pi
                                        ; -- End function
	.set _ZN9rocsolver6v33100L21syevj_diag_rotate_orgILb0E19rocblas_complex_numIdEdPS3_EEvbiT2_iilPT0_Pi.num_vgpr, 21
	.set _ZN9rocsolver6v33100L21syevj_diag_rotate_orgILb0E19rocblas_complex_numIdEdPS3_EEvbiT2_iilPT0_Pi.num_agpr, 0
	.set _ZN9rocsolver6v33100L21syevj_diag_rotate_orgILb0E19rocblas_complex_numIdEdPS3_EEvbiT2_iilPT0_Pi.numbered_sgpr, 20
	.set _ZN9rocsolver6v33100L21syevj_diag_rotate_orgILb0E19rocblas_complex_numIdEdPS3_EEvbiT2_iilPT0_Pi.num_named_barrier, 0
	.set _ZN9rocsolver6v33100L21syevj_diag_rotate_orgILb0E19rocblas_complex_numIdEdPS3_EEvbiT2_iilPT0_Pi.private_seg_size, 0
	.set _ZN9rocsolver6v33100L21syevj_diag_rotate_orgILb0E19rocblas_complex_numIdEdPS3_EEvbiT2_iilPT0_Pi.uses_vcc, 1
	.set _ZN9rocsolver6v33100L21syevj_diag_rotate_orgILb0E19rocblas_complex_numIdEdPS3_EEvbiT2_iilPT0_Pi.uses_flat_scratch, 0
	.set _ZN9rocsolver6v33100L21syevj_diag_rotate_orgILb0E19rocblas_complex_numIdEdPS3_EEvbiT2_iilPT0_Pi.has_dyn_sized_stack, 0
	.set _ZN9rocsolver6v33100L21syevj_diag_rotate_orgILb0E19rocblas_complex_numIdEdPS3_EEvbiT2_iilPT0_Pi.has_recursion, 0
	.set _ZN9rocsolver6v33100L21syevj_diag_rotate_orgILb0E19rocblas_complex_numIdEdPS3_EEvbiT2_iilPT0_Pi.has_indirect_call, 0
	.section	.AMDGPU.csdata,"",@progbits
; Kernel info:
; codeLenInByte = 520
; TotalNumSgprs: 24
; NumVgprs: 21
; ScratchSize: 0
; MemoryBound: 0
; FloatMode: 240
; IeeeMode: 1
; LDSByteSize: 0 bytes/workgroup (compile time only)
; SGPRBlocks: 2
; VGPRBlocks: 5
; NumSGPRsForWavesPerEU: 24
; NumVGPRsForWavesPerEU: 21
; Occupancy: 10
; WaveLimiterHint : 0
; COMPUTE_PGM_RSRC2:SCRATCH_EN: 0
; COMPUTE_PGM_RSRC2:USER_SGPR: 6
; COMPUTE_PGM_RSRC2:TRAP_HANDLER: 0
; COMPUTE_PGM_RSRC2:TGID_X_EN: 1
; COMPUTE_PGM_RSRC2:TGID_Y_EN: 1
; COMPUTE_PGM_RSRC2:TGID_Z_EN: 1
; COMPUTE_PGM_RSRC2:TIDIG_COMP_CNT: 1
	.section	.text._ZN9rocsolver6v33100L21syevj_diag_rotate_orgILb1E19rocblas_complex_numIdEdPS3_EEvbiT2_iilPT0_Pi,"axG",@progbits,_ZN9rocsolver6v33100L21syevj_diag_rotate_orgILb1E19rocblas_complex_numIdEdPS3_EEvbiT2_iilPT0_Pi,comdat
	.globl	_ZN9rocsolver6v33100L21syevj_diag_rotate_orgILb1E19rocblas_complex_numIdEdPS3_EEvbiT2_iilPT0_Pi ; -- Begin function _ZN9rocsolver6v33100L21syevj_diag_rotate_orgILb1E19rocblas_complex_numIdEdPS3_EEvbiT2_iilPT0_Pi
	.p2align	8
	.type	_ZN9rocsolver6v33100L21syevj_diag_rotate_orgILb1E19rocblas_complex_numIdEdPS3_EEvbiT2_iilPT0_Pi,@function
_ZN9rocsolver6v33100L21syevj_diag_rotate_orgILb1E19rocblas_complex_numIdEdPS3_EEvbiT2_iilPT0_Pi: ; @_ZN9rocsolver6v33100L21syevj_diag_rotate_orgILb1E19rocblas_complex_numIdEdPS3_EEvbiT2_iilPT0_Pi
; %bb.0:
	s_load_dwordx2 s[2:3], s[4:5], 0x0
	s_load_dwordx2 s[0:1], s[4:5], 0x28
	s_waitcnt lgkmcnt(0)
	s_bitcmp1_b32 s2, 0
	s_cselect_b64 s[10:11], -1, 0
	s_ashr_i32 s9, s8, 31
	s_lshl_b64 s[12:13], s[8:9], 2
	s_add_u32 s0, s0, s12
	s_addc_u32 s1, s1, s13
	s_load_dword s0, s[0:1], 0x4
	s_waitcnt lgkmcnt(0)
	s_cmp_lg_u32 s0, 0
	s_cselect_b64 s[0:1], -1, 0
	s_cmp_eq_u32 s6, s7
	s_cselect_b64 s[12:13], -1, 0
	s_and_b64 s[10:11], s[12:13], s[10:11]
	s_or_b64 s[0:1], s[10:11], s[0:1]
	s_and_b64 vcc, exec, s[0:1]
	s_cbranch_vccnz .LBB130_7
; %bb.1:
	s_load_dword s2, s[4:5], 0x3c
	s_add_u32 s0, s4, 48
	s_addc_u32 s1, s5, 0
	s_waitcnt lgkmcnt(0)
	s_and_b32 s11, s2, 0xffff
	s_mul_i32 s10, s6, s11
	s_mul_i32 s7, s7, s11
	v_add_u32_e32 v8, s10, v0
	v_add_u32_e32 v1, s7, v1
	v_max_i32_e32 v2, v8, v1
	v_cmp_gt_i32_e32 vcc, s3, v2
	s_and_saveexec_b64 s[12:13], vcc
	s_cbranch_execz .LBB130_7
; %bb.2:
	s_load_dwordx8 s[12:19], s[4:5], 0x8
	s_sub_i32 s2, s3, s10
	s_min_i32 s4, s2, s11
	s_waitcnt lgkmcnt(0)
	s_mul_i32 s5, s16, s9
	s_mul_hi_u32 s7, s16, s8
	s_add_i32 s5, s7, s5
	s_mul_i32 s7, s17, s8
	s_add_i32 s17, s5, s7
	s_mul_i32 s16, s16, s8
	s_ashr_i32 s3, s14, 31
	s_lshl_b64 s[16:17], s[16:17], 4
	s_mov_b32 s2, s14
	s_add_u32 s5, s12, s16
	s_addc_u32 s7, s13, s17
	s_lshl_b64 s[2:3], s[2:3], 4
	v_mul_lo_u32 v9, v1, s15
	s_add_u32 s2, s5, s2
	s_addc_u32 s3, s7, s3
	s_cmp_lt_i32 s4, 1
	s_cbranch_scc1 .LBB130_5
; %bb.3:
	s_load_dword s0, s[0:1], 0x0
	v_lshlrev_b32_e32 v0, 4, v0
	v_mov_b32_e32 v2, 0
	v_add_u32_e32 v6, s10, v9
	v_mov_b32_e32 v3, 0
	s_waitcnt lgkmcnt(0)
	s_mul_i32 s0, s0, s8
	s_add_i32 s0, s0, s6
	s_mul_i32 s0, s0, s11
	s_mul_i32 s0, s0, s11
	s_ashr_i32 s1, s0, 31
	s_lshl_b64 s[0:1], s[0:1], 4
	s_add_u32 s0, s18, s0
	s_addc_u32 s1, s19, s1
	v_mov_b32_e32 v1, s1
	v_add_co_u32_e32 v0, vcc, s0, v0
	v_addc_co_u32_e32 v1, vcc, 0, v1, vcc
	v_add_co_u32_e32 v4, vcc, 8, v0
	v_addc_co_u32_e32 v5, vcc, 0, v1, vcc
	v_mov_b32_e32 v0, 0
	s_lshl_b32 s0, s11, 4
	v_mov_b32_e32 v1, 0
	v_mov_b32_e32 v10, s3
.LBB130_4:                              ; =>This Inner Loop Header: Depth=1
	v_ashrrev_i32_e32 v7, 31, v6
	v_lshlrev_b64 v[15:16], 4, v[6:7]
	global_load_dwordx4 v[11:14], v[4:5], off offset:-8
	v_add_co_u32_e32 v15, vcc, s2, v15
	v_addc_co_u32_e32 v16, vcc, v10, v16, vcc
	global_load_dwordx4 v[15:18], v[15:16], off
	s_add_i32 s4, s4, -1
	v_add_co_u32_e32 v4, vcc, s0, v4
	v_addc_co_u32_e32 v5, vcc, 0, v5, vcc
	s_cmp_lg_u32 s4, 0
	v_add_u32_e32 v6, 1, v6
	s_waitcnt vmcnt(0)
	v_mul_f64 v[19:20], v[13:14], v[17:18]
	v_mul_f64 v[13:14], v[13:14], v[15:16]
	v_fma_f64 v[19:20], v[11:12], v[15:16], v[19:20]
	v_fma_f64 v[11:12], v[11:12], v[17:18], -v[13:14]
	v_add_f64 v[0:1], v[0:1], v[19:20]
	v_add_f64 v[2:3], v[2:3], v[11:12]
	s_cbranch_scc1 .LBB130_4
	s_branch .LBB130_6
.LBB130_5:
	v_mov_b32_e32 v2, 0
	v_mov_b32_e32 v0, 0
	;; [unrolled: 1-line block ×4, first 2 shown]
.LBB130_6:
	v_add_u32_e32 v4, v9, v8
	v_ashrrev_i32_e32 v5, 31, v4
	v_lshlrev_b64 v[4:5], 4, v[4:5]
	v_mov_b32_e32 v6, s3
	v_add_co_u32_e32 v4, vcc, s2, v4
	v_addc_co_u32_e32 v5, vcc, v6, v5, vcc
	s_barrier
	global_store_dwordx4 v[4:5], v[0:3], off
.LBB130_7:
	s_endpgm
	.section	.rodata,"a",@progbits
	.p2align	6, 0x0
	.amdhsa_kernel _ZN9rocsolver6v33100L21syevj_diag_rotate_orgILb1E19rocblas_complex_numIdEdPS3_EEvbiT2_iilPT0_Pi
		.amdhsa_group_segment_fixed_size 0
		.amdhsa_private_segment_fixed_size 0
		.amdhsa_kernarg_size 304
		.amdhsa_user_sgpr_count 6
		.amdhsa_user_sgpr_private_segment_buffer 1
		.amdhsa_user_sgpr_dispatch_ptr 0
		.amdhsa_user_sgpr_queue_ptr 0
		.amdhsa_user_sgpr_kernarg_segment_ptr 1
		.amdhsa_user_sgpr_dispatch_id 0
		.amdhsa_user_sgpr_flat_scratch_init 0
		.amdhsa_user_sgpr_private_segment_size 0
		.amdhsa_uses_dynamic_stack 0
		.amdhsa_system_sgpr_private_segment_wavefront_offset 0
		.amdhsa_system_sgpr_workgroup_id_x 1
		.amdhsa_system_sgpr_workgroup_id_y 1
		.amdhsa_system_sgpr_workgroup_id_z 1
		.amdhsa_system_sgpr_workgroup_info 0
		.amdhsa_system_vgpr_workitem_id 1
		.amdhsa_next_free_vgpr 21
		.amdhsa_next_free_sgpr 20
		.amdhsa_reserve_vcc 1
		.amdhsa_reserve_flat_scratch 0
		.amdhsa_float_round_mode_32 0
		.amdhsa_float_round_mode_16_64 0
		.amdhsa_float_denorm_mode_32 3
		.amdhsa_float_denorm_mode_16_64 3
		.amdhsa_dx10_clamp 1
		.amdhsa_ieee_mode 1
		.amdhsa_fp16_overflow 0
		.amdhsa_exception_fp_ieee_invalid_op 0
		.amdhsa_exception_fp_denorm_src 0
		.amdhsa_exception_fp_ieee_div_zero 0
		.amdhsa_exception_fp_ieee_overflow 0
		.amdhsa_exception_fp_ieee_underflow 0
		.amdhsa_exception_fp_ieee_inexact 0
		.amdhsa_exception_int_div_zero 0
	.end_amdhsa_kernel
	.section	.text._ZN9rocsolver6v33100L21syevj_diag_rotate_orgILb1E19rocblas_complex_numIdEdPS3_EEvbiT2_iilPT0_Pi,"axG",@progbits,_ZN9rocsolver6v33100L21syevj_diag_rotate_orgILb1E19rocblas_complex_numIdEdPS3_EEvbiT2_iilPT0_Pi,comdat
.Lfunc_end130:
	.size	_ZN9rocsolver6v33100L21syevj_diag_rotate_orgILb1E19rocblas_complex_numIdEdPS3_EEvbiT2_iilPT0_Pi, .Lfunc_end130-_ZN9rocsolver6v33100L21syevj_diag_rotate_orgILb1E19rocblas_complex_numIdEdPS3_EEvbiT2_iilPT0_Pi
                                        ; -- End function
	.set _ZN9rocsolver6v33100L21syevj_diag_rotate_orgILb1E19rocblas_complex_numIdEdPS3_EEvbiT2_iilPT0_Pi.num_vgpr, 21
	.set _ZN9rocsolver6v33100L21syevj_diag_rotate_orgILb1E19rocblas_complex_numIdEdPS3_EEvbiT2_iilPT0_Pi.num_agpr, 0
	.set _ZN9rocsolver6v33100L21syevj_diag_rotate_orgILb1E19rocblas_complex_numIdEdPS3_EEvbiT2_iilPT0_Pi.numbered_sgpr, 20
	.set _ZN9rocsolver6v33100L21syevj_diag_rotate_orgILb1E19rocblas_complex_numIdEdPS3_EEvbiT2_iilPT0_Pi.num_named_barrier, 0
	.set _ZN9rocsolver6v33100L21syevj_diag_rotate_orgILb1E19rocblas_complex_numIdEdPS3_EEvbiT2_iilPT0_Pi.private_seg_size, 0
	.set _ZN9rocsolver6v33100L21syevj_diag_rotate_orgILb1E19rocblas_complex_numIdEdPS3_EEvbiT2_iilPT0_Pi.uses_vcc, 1
	.set _ZN9rocsolver6v33100L21syevj_diag_rotate_orgILb1E19rocblas_complex_numIdEdPS3_EEvbiT2_iilPT0_Pi.uses_flat_scratch, 0
	.set _ZN9rocsolver6v33100L21syevj_diag_rotate_orgILb1E19rocblas_complex_numIdEdPS3_EEvbiT2_iilPT0_Pi.has_dyn_sized_stack, 0
	.set _ZN9rocsolver6v33100L21syevj_diag_rotate_orgILb1E19rocblas_complex_numIdEdPS3_EEvbiT2_iilPT0_Pi.has_recursion, 0
	.set _ZN9rocsolver6v33100L21syevj_diag_rotate_orgILb1E19rocblas_complex_numIdEdPS3_EEvbiT2_iilPT0_Pi.has_indirect_call, 0
	.section	.AMDGPU.csdata,"",@progbits
; Kernel info:
; codeLenInByte = 512
; TotalNumSgprs: 24
; NumVgprs: 21
; ScratchSize: 0
; MemoryBound: 0
; FloatMode: 240
; IeeeMode: 1
; LDSByteSize: 0 bytes/workgroup (compile time only)
; SGPRBlocks: 2
; VGPRBlocks: 5
; NumSGPRsForWavesPerEU: 24
; NumVGPRsForWavesPerEU: 21
; Occupancy: 10
; WaveLimiterHint : 0
; COMPUTE_PGM_RSRC2:SCRATCH_EN: 0
; COMPUTE_PGM_RSRC2:USER_SGPR: 6
; COMPUTE_PGM_RSRC2:TRAP_HANDLER: 0
; COMPUTE_PGM_RSRC2:TGID_X_EN: 1
; COMPUTE_PGM_RSRC2:TGID_Y_EN: 1
; COMPUTE_PGM_RSRC2:TGID_Z_EN: 1
; COMPUTE_PGM_RSRC2:TIDIG_COMP_CNT: 1
	.section	.text._ZN9rocsolver6v33100L17syevj_diag_rotateILb0E19rocblas_complex_numIdEdPS3_EEvbiiT2_iilPT0_Pii,"axG",@progbits,_ZN9rocsolver6v33100L17syevj_diag_rotateILb0E19rocblas_complex_numIdEdPS3_EEvbiiT2_iilPT0_Pii,comdat
	.globl	_ZN9rocsolver6v33100L17syevj_diag_rotateILb0E19rocblas_complex_numIdEdPS3_EEvbiiT2_iilPT0_Pii ; -- Begin function _ZN9rocsolver6v33100L17syevj_diag_rotateILb0E19rocblas_complex_numIdEdPS3_EEvbiiT2_iilPT0_Pii
	.p2align	8
	.type	_ZN9rocsolver6v33100L17syevj_diag_rotateILb0E19rocblas_complex_numIdEdPS3_EEvbiiT2_iilPT0_Pii,@function
_ZN9rocsolver6v33100L17syevj_diag_rotateILb0E19rocblas_complex_numIdEdPS3_EEvbiiT2_iilPT0_Pii: ; @_ZN9rocsolver6v33100L17syevj_diag_rotateILb0E19rocblas_complex_numIdEdPS3_EEvbiiT2_iilPT0_Pii
; %bb.0:
	s_load_dwordx4 s[36:39], s[4:5], 0x0
	s_add_u32 flat_scratch_lo, s6, s11
	s_addc_u32 flat_scratch_hi, s7, 0
	s_add_u32 s0, s0, s11
	s_addc_u32 s1, s1, 0
	s_waitcnt lgkmcnt(0)
	s_abs_i32 s27, s37
	v_mov_b32_e32 v42, v0
	v_cvt_f32_u32_e32 v0, s27
	s_mul_i32 s50, s37, s37
	s_mov_b32 s26, s10
	s_mov_b64 s[28:29], s[4:5]
	v_rcp_iflag_f32_e32 v0, v0
	s_mov_b32 s34, s9
	s_mov_b32 s35, s8
	v_mov_b32_e32 v41, v1
	v_mul_f32_e32 v0, 0x4f7ffffe, v0
	v_cvt_u32_f32_e32 v0, v0
	s_cmpk_lt_u32 s50, 0x1001
	s_mov_b64 s[4:5], -1
	s_mov_b32 s32, 0
	v_readfirstlane_b32 s39, v0
	s_cbranch_scc1 .LBB131_2
; %bb.1:
	s_add_u32 s8, s28, 64
	s_addc_u32 s9, s29, 0
	s_getpc_b64 s[4:5]
	s_add_u32 s4, s4, __PRETTY_FUNCTION__._ZN9rocsolver6v33100L17syevj_diag_rotateILb0E19rocblas_complex_numIdEdPS3_EEvbiiT2_iilPT0_Pii@rel32@lo+4
	s_addc_u32 s5, s5, __PRETTY_FUNCTION__._ZN9rocsolver6v33100L17syevj_diag_rotateILb0E19rocblas_complex_numIdEdPS3_EEvbiiT2_iilPT0_Pii@rel32@hi+12
	s_getpc_b64 s[6:7]
	s_add_u32 s6, s6, __assert_fail@rel32@lo+4
	s_addc_u32 s7, s7, __assert_fail@rel32@hi+12
	v_mov_b32_e32 v0, s4
	v_mov_b32_e32 v1, s5
	s_swappc_b64 s[30:31], s[6:7]
	s_mov_b64 s[4:5], 0
	; divergent unreachable
.LBB131_2:
	s_andn2_b64 vcc, exec, s[4:5]
	s_cbranch_vccnz .LBB131_36
; %bb.3:
	s_load_dword s33, s[28:29], 0x38
	s_waitcnt lgkmcnt(0)
	s_cmp_ge_u32 s26, s33
	s_cbranch_scc1 .LBB131_36
; %bb.4:
	s_mov_b64 s[4:5], src_shared_base
	s_sub_i32 s4, 0, s27
	s_mul_i32 s4, s4, s39
	s_add_i32 s6, s38, -1
	s_mul_hi_u32 s4, s39, s4
	s_abs_i32 s7, s6
	s_add_i32 s39, s39, s4
	s_ashr_i32 s6, s6, 31
	s_ashr_i32 s8, s37, 31
	s_load_dwordx4 s[20:23], s[28:29], 0x40
	s_cmpk_lt_u32 s50, 0x801
	s_mul_hi_u32 s4, s7, s39
	s_cselect_b64 s[24:25], -1, 0
	s_bitcmp1_b32 s36, 0
	s_cselect_b64 s[30:31], -1, 0
	s_xor_b32 s6, s6, s8
	s_mul_i32 s8, s4, s27
	s_sub_i32 s7, s7, s8
	s_waitcnt lgkmcnt(0)
	s_lshr_b32 s36, s23, 16
	s_and_b32 s23, s23, 0xffff
	s_add_i32 s8, s4, 1
	s_sub_i32 s9, s7, s27
	s_cmp_ge_u32 s7, s27
	s_cselect_b32 s4, s8, s4
	s_cselect_b32 s7, s9, s7
	s_add_i32 s8, s4, 1
	s_load_dwordx8 s[12:19], s[28:29], 0x10
	s_load_dwordx2 s[40:41], s[28:29], 0x30
	s_cmp_ge_u32 s7, s27
	s_cselect_b32 s4, s8, s4
	s_xor_b32 s4, s4, s6
	s_sub_i32 s51, s4, s6
	s_lshl_b32 s4, s50, 4
	s_add_i32 s52, s51, 1
	s_add_i32 s53, s4, 0
	s_waitcnt lgkmcnt(0)
	s_ashr_i32 s7, s14, 31
	v_mul_lo_u32 v0, v41, s37
	s_cmp_lt_u32 s35, s52
	s_mul_i32 s4, s51, s37
	s_cselect_b64 s[8:9], -1, 0
	s_sub_i32 s55, s38, s4
	s_mov_b32 s6, s14
	s_cmp_lt_u32 s34, s52
	s_cselect_b64 s[10:11], -1, 0
	s_ashr_i32 s57, s15, 31
	s_lshl_b64 s[6:7], s[6:7], 4
	v_lshlrev_b32_e32 v0, 4, v0
	v_lshlrev_b32_e32 v1, 4, v42
	s_add_u32 s59, s12, s6
	v_add3_u32 v8, v0, v1, 0
	s_mul_i32 s6, s37, s36
	v_cndmask_b32_e64 v0, 0, 1, s[8:9]
	v_mad_u32_u24 v6, v41, s23, v42
	s_mul_i32 s56, s36, s23
	s_addc_u32 s60, s13, s7
	s_lshl_b32 s62, s6, 4
	v_add_u32_e32 v9, 0, v1
	v_cmp_ne_u32_e64 s[6:7], 1, v0
	v_cndmask_b32_e64 v0, 0, 1, s[24:25]
	v_cndmask_b32_e64 v1, 0, 1, s[10:11]
	s_mov_b32 s29, 0
	s_mov_b32 s54, s5
	v_cmp_gt_u32_e64 s[4:5], s50, v6
	s_mov_b32 s58, s15
	v_lshl_add_u32 v7, v6, 4, s53
	s_lshl_b32 s61, s56, 4
	s_lshl_b32 s63, s23, 4
	s_mul_i32 s64, s34, s37
	s_mul_i32 s65, s21, s37
	s_lshl_b32 s66, s37, 4
	v_mov_b32_e32 v5, 0
	v_cmp_ne_u32_e64 s[8:9], 1, v0
	v_cmp_ne_u32_e64 s[10:11], 1, v1
	s_branch .LBB131_6
.LBB131_5:                              ;   in Loop: Header=BB131_6 Depth=1
	s_add_i32 s26, s26, s22
	s_cmp_lt_u32 s26, s33
	s_cbranch_scc0 .LBB131_36
.LBB131_6:                              ; =>This Loop Header: Depth=1
                                        ;     Child Loop BB131_10 Depth 2
                                        ;       Child Loop BB131_13 Depth 3
                                        ;       Child Loop BB131_19 Depth 3
                                        ;         Child Loop BB131_23 Depth 4
                                        ;           Child Loop BB131_25 Depth 5
                                        ;         Child Loop BB131_29 Depth 4
                                        ;           Child Loop BB131_33 Depth 5
                                        ;             Child Loop BB131_35 Depth 6
	s_mov_b32 s27, s29
	s_lshl_b64 s[12:13], s[26:27], 2
	s_add_u32 s12, s40, s12
	s_addc_u32 s13, s41, s13
	global_load_dword v0, v5, s[12:13] offset:4
	s_waitcnt vmcnt(0)
	v_cmp_ne_u32_e32 vcc, 0, v0
	s_cbranch_vccnz .LBB131_5
; %bb.7:                                ;   in Loop: Header=BB131_6 Depth=1
	s_and_b64 vcc, exec, s[6:7]
	s_cbranch_vccnz .LBB131_5
; %bb.8:                                ;   in Loop: Header=BB131_6 Depth=1
	s_mul_i32 s12, s17, s26
	s_mul_hi_u32 s13, s16, s26
	s_add_i32 s13, s13, s12
	s_mul_i32 s12, s16, s26
	s_lshl_b64 s[12:13], s[12:13], 4
	s_add_u32 s27, s59, s12
	s_addc_u32 s67, s60, s13
	s_mul_i32 s68, s26, s52
	s_mov_b32 s69, s35
	s_branch .LBB131_10
.LBB131_9:                              ;   in Loop: Header=BB131_10 Depth=2
	s_add_i32 s69, s69, s20
	s_cmp_ge_u32 s69, s52
	s_cbranch_scc1 .LBB131_5
.LBB131_10:                             ;   Parent Loop BB131_6 Depth=1
                                        ; =>  This Loop Header: Depth=2
                                        ;       Child Loop BB131_13 Depth 3
                                        ;       Child Loop BB131_19 Depth 3
                                        ;         Child Loop BB131_23 Depth 4
                                        ;           Child Loop BB131_25 Depth 5
                                        ;         Child Loop BB131_29 Depth 4
                                        ;           Child Loop BB131_33 Depth 5
                                        ;             Child Loop BB131_35 Depth 6
	s_add_i32 s12, s69, s68
	s_mul_i32 s28, s12, s50
	s_lshl_b64 s[12:13], s[28:29], 4
	s_add_u32 s38, s18, s12
	s_addc_u32 s28, s19, s13
	s_and_b64 vcc, exec, s[8:9]
	s_cbranch_vccnz .LBB131_15
; %bb.11:                               ;   in Loop: Header=BB131_10 Depth=2
	s_barrier
	s_and_saveexec_b64 s[12:13], s[4:5]
	s_cbranch_execz .LBB131_14
; %bb.12:                               ;   in Loop: Header=BB131_10 Depth=2
	s_mov_b64 s[14:15], 0
	v_mov_b32_e32 v0, s28
	v_mov_b32_e32 v1, v7
	;; [unrolled: 1-line block ×3, first 2 shown]
.LBB131_13:                             ;   Parent Loop BB131_6 Depth=1
                                        ;     Parent Loop BB131_10 Depth=2
                                        ; =>    This Inner Loop Header: Depth=3
	v_lshlrev_b64 v[2:3], 4, v[4:5]
	v_add_u32_e32 v4, s56, v4
	v_add_co_u32_e32 v2, vcc, s38, v2
	v_addc_co_u32_e32 v3, vcc, v0, v3, vcc
	global_load_dwordx4 v[10:13], v[2:3], off
	v_cmp_le_u32_e32 vcc, s50, v4
	s_or_b64 s[14:15], vcc, s[14:15]
	s_waitcnt vmcnt(0)
	ds_write2_b64 v1, v[10:11], v[12:13] offset1:1
	v_add_u32_e32 v1, s61, v1
	s_andn2_b64 exec, exec, s[14:15]
	s_cbranch_execnz .LBB131_13
.LBB131_14:                             ;   in Loop: Header=BB131_10 Depth=2
	s_or_b64 exec, exec, s[12:13]
	s_waitcnt lgkmcnt(0)
	s_barrier
.LBB131_15:                             ;   in Loop: Header=BB131_10 Depth=2
	s_and_b64 vcc, exec, s[10:11]
	s_cbranch_vccnz .LBB131_9
; %bb.16:                               ;   in Loop: Header=BB131_10 Depth=2
	s_and_b64 s[12:13], s[24:25], exec
	s_cselect_b32 s28, s54, s28
	s_cselect_b32 s70, s53, s38
	s_cmp_eq_u32 s69, s51
	s_cselect_b32 s71, s55, s37
	s_cmp_gt_i32 s71, 0
	s_mul_i32 s72, s69, s37
	v_cmp_gt_u32_e64 s[12:13], s71, v41
	s_cselect_b64 s[38:39], -1, 0
	s_mov_b32 s73, s64
	s_mov_b32 s74, s34
	s_branch .LBB131_19
.LBB131_17:                             ;   in Loop: Header=BB131_19 Depth=3
	s_or_b64 exec, exec, s[42:43]
	s_waitcnt vmcnt(0)
	s_barrier
.LBB131_18:                             ;   in Loop: Header=BB131_19 Depth=3
	s_add_i32 s74, s74, s21
	s_add_i32 s73, s73, s65
	s_cmp_ge_u32 s74, s52
	s_cbranch_scc1 .LBB131_9
.LBB131_19:                             ;   Parent Loop BB131_6 Depth=1
                                        ;     Parent Loop BB131_10 Depth=2
                                        ; =>    This Loop Header: Depth=3
                                        ;         Child Loop BB131_23 Depth 4
                                        ;           Child Loop BB131_25 Depth 5
                                        ;         Child Loop BB131_29 Depth 4
                                        ;           Child Loop BB131_33 Depth 5
                                        ;             Child Loop BB131_35 Depth 6
	s_cmp_eq_u32 s69, s74
	s_cselect_b64 s[14:15], -1, 0
	s_and_b64 s[14:15], s[30:31], s[14:15]
	s_and_b64 vcc, exec, s[14:15]
	s_cbranch_vccnz .LBB131_18
; %bb.20:                               ;   in Loop: Header=BB131_19 Depth=3
	s_cmp_eq_u32 s74, s51
	s_cselect_b32 s75, s55, s37
	s_barrier
	s_and_saveexec_b64 s[42:43], s[12:13]
	s_cbranch_execz .LBB131_26
; %bb.21:                               ;   in Loop: Header=BB131_19 Depth=3
	v_cmp_gt_u32_e32 vcc, s75, v42
	s_mov_b64 s[44:45], 0
	v_mov_b32_e32 v0, v8
	v_mov_b32_e32 v1, v41
	s_branch .LBB131_23
.LBB131_22:                             ;   in Loop: Header=BB131_23 Depth=4
	s_or_b64 exec, exec, s[46:47]
	v_add_u32_e32 v1, s36, v1
	v_cmp_le_u32_e64 s[14:15], s71, v1
	s_or_b64 s[44:45], s[14:15], s[44:45]
	v_add_u32_e32 v0, s62, v0
	s_andn2_b64 exec, exec, s[44:45]
	s_cbranch_execz .LBB131_26
.LBB131_23:                             ;   Parent Loop BB131_6 Depth=1
                                        ;     Parent Loop BB131_10 Depth=2
                                        ;       Parent Loop BB131_19 Depth=3
                                        ; =>      This Loop Header: Depth=4
                                        ;           Child Loop BB131_25 Depth 5
	s_and_saveexec_b64 s[46:47], vcc
	s_cbranch_execz .LBB131_22
; %bb.24:                               ;   in Loop: Header=BB131_23 Depth=4
	v_add_u32_e32 v4, s72, v1
	v_mad_u64_u32 v[2:3], s[14:15], v4, s58, 0
	s_mov_b64 s[48:49], 0
	v_mov_b32_e32 v10, v0
	v_mad_u64_u32 v[3:4], s[14:15], v4, s57, v[3:4]
	v_mov_b32_e32 v4, s67
	v_mov_b32_e32 v11, v42
	v_lshlrev_b64 v[2:3], 4, v[2:3]
	v_add_co_u32_e64 v2, s[14:15], s27, v2
	v_addc_co_u32_e64 v3, s[14:15], v4, v3, s[14:15]
.LBB131_25:                             ;   Parent Loop BB131_6 Depth=1
                                        ;     Parent Loop BB131_10 Depth=2
                                        ;       Parent Loop BB131_19 Depth=3
                                        ;         Parent Loop BB131_23 Depth=4
                                        ; =>        This Inner Loop Header: Depth=5
	v_add_u32_e32 v4, s73, v11
	v_lshlrev_b64 v[12:13], 4, v[4:5]
	v_add_u32_e32 v11, s23, v11
	v_add_co_u32_e64 v12, s[14:15], v2, v12
	v_addc_co_u32_e64 v13, s[14:15], v3, v13, s[14:15]
	global_load_dwordx4 v[12:15], v[12:13], off
	v_cmp_le_u32_e64 s[14:15], s75, v11
	s_or_b64 s[48:49], s[14:15], s[48:49]
	s_waitcnt vmcnt(0)
	ds_write2_b64 v10, v[12:13], v[14:15] offset1:1
	v_add_u32_e32 v10, s63, v10
	s_andn2_b64 exec, exec, s[48:49]
	s_cbranch_execnz .LBB131_25
	s_branch .LBB131_22
.LBB131_26:                             ;   in Loop: Header=BB131_19 Depth=3
	s_or_b64 exec, exec, s[42:43]
	s_waitcnt lgkmcnt(0)
	s_barrier
	s_and_saveexec_b64 s[42:43], s[12:13]
	s_cbranch_execz .LBB131_17
; %bb.27:                               ;   in Loop: Header=BB131_19 Depth=3
	s_mul_i32 s76, s74, s37
	v_cmp_gt_u32_e64 s[14:15], s75, v42
	s_mov_b64 s[44:45], 0
	v_mov_b32_e32 v10, v41
	s_branch .LBB131_29
.LBB131_28:                             ;   in Loop: Header=BB131_29 Depth=4
	s_or_b64 exec, exec, s[46:47]
	v_add_u32_e32 v10, s36, v10
	v_cmp_le_u32_e32 vcc, s71, v10
	s_or_b64 s[44:45], vcc, s[44:45]
	s_andn2_b64 exec, exec, s[44:45]
	s_cbranch_execz .LBB131_17
.LBB131_29:                             ;   Parent Loop BB131_6 Depth=1
                                        ;     Parent Loop BB131_10 Depth=2
                                        ;       Parent Loop BB131_19 Depth=3
                                        ; =>      This Loop Header: Depth=4
                                        ;           Child Loop BB131_33 Depth 5
                                        ;             Child Loop BB131_35 Depth 6
	s_and_saveexec_b64 s[46:47], s[14:15]
	s_cbranch_execz .LBB131_28
; %bb.30:                               ;   in Loop: Header=BB131_29 Depth=4
	v_add_u32_e32 v2, s72, v10
	v_mad_u64_u32 v[0:1], s[48:49], v2, s58, 0
	v_mov_b32_e32 v13, v9
	v_mov_b32_e32 v14, v42
	v_mad_u64_u32 v[1:2], s[48:49], v2, s57, v[1:2]
	v_mov_b32_e32 v2, s67
	s_mov_b64 s[48:49], 0
	v_lshlrev_b64 v[0:1], 4, v[0:1]
	v_add_co_u32_e32 v11, vcc, s27, v0
	v_addc_co_u32_e32 v12, vcc, v2, v1, vcc
	s_branch .LBB131_33
.LBB131_31:                             ;   in Loop: Header=BB131_33 Depth=5
	v_mov_b32_e32 v0, v2
	v_mov_b32_e32 v1, v3
.LBB131_32:                             ;   in Loop: Header=BB131_33 Depth=5
	v_add_u32_e32 v4, s76, v14
	v_lshlrev_b64 v[15:16], 4, v[4:5]
	v_add_u32_e32 v14, s23, v14
	v_add_co_u32_e32 v15, vcc, v11, v15
	v_addc_co_u32_e32 v16, vcc, v12, v16, vcc
	v_cmp_le_u32_e32 vcc, s75, v14
	s_or_b64 s[48:49], vcc, s[48:49]
	v_add_u32_e32 v13, s63, v13
	global_store_dwordx4 v[15:16], v[0:3], off
	s_andn2_b64 exec, exec, s[48:49]
	s_cbranch_execz .LBB131_28
.LBB131_33:                             ;   Parent Loop BB131_6 Depth=1
                                        ;     Parent Loop BB131_10 Depth=2
                                        ;       Parent Loop BB131_19 Depth=3
                                        ;         Parent Loop BB131_29 Depth=4
                                        ; =>        This Loop Header: Depth=5
                                        ;             Child Loop BB131_35 Depth 6
	v_mov_b32_e32 v2, 0
	v_mov_b32_e32 v3, 0
	s_andn2_b64 vcc, exec, s[38:39]
	s_cbranch_vccnz .LBB131_31
; %bb.34:                               ;   in Loop: Header=BB131_33 Depth=5
	v_mov_b32_e32 v0, v2
	v_mov_b32_e32 v4, v10
	;; [unrolled: 1-line block ×3, first 2 shown]
	s_mov_b32 s77, s71
	v_mov_b32_e32 v1, v3
.LBB131_35:                             ;   Parent Loop BB131_6 Depth=1
                                        ;     Parent Loop BB131_10 Depth=2
                                        ;       Parent Loop BB131_19 Depth=3
                                        ;         Parent Loop BB131_29 Depth=4
                                        ;           Parent Loop BB131_33 Depth=5
                                        ; =>          This Inner Loop Header: Depth=6
	v_lshlrev_b64 v[16:17], 4, v[4:5]
	v_mov_b32_e32 v18, s28
	v_add_co_u32_e32 v16, vcc, s70, v16
	v_addc_co_u32_e32 v17, vcc, v18, v17, vcc
	flat_load_dwordx4 v[16:19], v[16:17]
	ds_read2_b64 v[20:23], v15 offset1:1
	s_add_i32 s77, s77, -1
	v_add_u32_e32 v15, s66, v15
	s_cmp_eq_u32 s77, 0
	v_add_u32_e32 v4, s37, v4
	s_waitcnt vmcnt(0) lgkmcnt(0)
	v_mul_f64 v[24:25], v[22:23], v[18:19]
	v_mul_f64 v[18:19], v[20:21], v[18:19]
	v_fma_f64 v[20:21], v[20:21], v[16:17], -v[24:25]
	v_fma_f64 v[16:17], v[22:23], v[16:17], v[18:19]
	v_add_f64 v[0:1], v[0:1], v[20:21]
	v_add_f64 v[2:3], v[2:3], v[16:17]
	s_cbranch_scc0 .LBB131_35
	s_branch .LBB131_32
.LBB131_36:
	s_endpgm
	.section	.rodata,"a",@progbits
	.p2align	6, 0x0
	.amdhsa_kernel _ZN9rocsolver6v33100L17syevj_diag_rotateILb0E19rocblas_complex_numIdEdPS3_EEvbiiT2_iilPT0_Pii
		.amdhsa_group_segment_fixed_size 0
		.amdhsa_private_segment_fixed_size 64
		.amdhsa_kernarg_size 320
		.amdhsa_user_sgpr_count 8
		.amdhsa_user_sgpr_private_segment_buffer 1
		.amdhsa_user_sgpr_dispatch_ptr 0
		.amdhsa_user_sgpr_queue_ptr 0
		.amdhsa_user_sgpr_kernarg_segment_ptr 1
		.amdhsa_user_sgpr_dispatch_id 0
		.amdhsa_user_sgpr_flat_scratch_init 1
		.amdhsa_user_sgpr_private_segment_size 0
		.amdhsa_uses_dynamic_stack 0
		.amdhsa_system_sgpr_private_segment_wavefront_offset 1
		.amdhsa_system_sgpr_workgroup_id_x 1
		.amdhsa_system_sgpr_workgroup_id_y 1
		.amdhsa_system_sgpr_workgroup_id_z 1
		.amdhsa_system_sgpr_workgroup_info 0
		.amdhsa_system_vgpr_workitem_id 1
		.amdhsa_next_free_vgpr 43
		.amdhsa_next_free_sgpr 78
		.amdhsa_reserve_vcc 1
		.amdhsa_reserve_flat_scratch 1
		.amdhsa_float_round_mode_32 0
		.amdhsa_float_round_mode_16_64 0
		.amdhsa_float_denorm_mode_32 3
		.amdhsa_float_denorm_mode_16_64 3
		.amdhsa_dx10_clamp 1
		.amdhsa_ieee_mode 1
		.amdhsa_fp16_overflow 0
		.amdhsa_exception_fp_ieee_invalid_op 0
		.amdhsa_exception_fp_denorm_src 0
		.amdhsa_exception_fp_ieee_div_zero 0
		.amdhsa_exception_fp_ieee_overflow 0
		.amdhsa_exception_fp_ieee_underflow 0
		.amdhsa_exception_fp_ieee_inexact 0
		.amdhsa_exception_int_div_zero 0
	.end_amdhsa_kernel
	.section	.text._ZN9rocsolver6v33100L17syevj_diag_rotateILb0E19rocblas_complex_numIdEdPS3_EEvbiiT2_iilPT0_Pii,"axG",@progbits,_ZN9rocsolver6v33100L17syevj_diag_rotateILb0E19rocblas_complex_numIdEdPS3_EEvbiiT2_iilPT0_Pii,comdat
.Lfunc_end131:
	.size	_ZN9rocsolver6v33100L17syevj_diag_rotateILb0E19rocblas_complex_numIdEdPS3_EEvbiiT2_iilPT0_Pii, .Lfunc_end131-_ZN9rocsolver6v33100L17syevj_diag_rotateILb0E19rocblas_complex_numIdEdPS3_EEvbiiT2_iilPT0_Pii
                                        ; -- End function
	.set _ZN9rocsolver6v33100L17syevj_diag_rotateILb0E19rocblas_complex_numIdEdPS3_EEvbiiT2_iilPT0_Pii.num_vgpr, max(43, .L__assert_fail.num_vgpr)
	.set _ZN9rocsolver6v33100L17syevj_diag_rotateILb0E19rocblas_complex_numIdEdPS3_EEvbiiT2_iilPT0_Pii.num_agpr, max(0, .L__assert_fail.num_agpr)
	.set _ZN9rocsolver6v33100L17syevj_diag_rotateILb0E19rocblas_complex_numIdEdPS3_EEvbiiT2_iilPT0_Pii.numbered_sgpr, max(78, .L__assert_fail.numbered_sgpr)
	.set _ZN9rocsolver6v33100L17syevj_diag_rotateILb0E19rocblas_complex_numIdEdPS3_EEvbiiT2_iilPT0_Pii.num_named_barrier, max(0, .L__assert_fail.num_named_barrier)
	.set _ZN9rocsolver6v33100L17syevj_diag_rotateILb0E19rocblas_complex_numIdEdPS3_EEvbiiT2_iilPT0_Pii.private_seg_size, 0+max(.L__assert_fail.private_seg_size)
	.set _ZN9rocsolver6v33100L17syevj_diag_rotateILb0E19rocblas_complex_numIdEdPS3_EEvbiiT2_iilPT0_Pii.uses_vcc, or(1, .L__assert_fail.uses_vcc)
	.set _ZN9rocsolver6v33100L17syevj_diag_rotateILb0E19rocblas_complex_numIdEdPS3_EEvbiiT2_iilPT0_Pii.uses_flat_scratch, or(1, .L__assert_fail.uses_flat_scratch)
	.set _ZN9rocsolver6v33100L17syevj_diag_rotateILb0E19rocblas_complex_numIdEdPS3_EEvbiiT2_iilPT0_Pii.has_dyn_sized_stack, or(0, .L__assert_fail.has_dyn_sized_stack)
	.set _ZN9rocsolver6v33100L17syevj_diag_rotateILb0E19rocblas_complex_numIdEdPS3_EEvbiiT2_iilPT0_Pii.has_recursion, or(0, .L__assert_fail.has_recursion)
	.set _ZN9rocsolver6v33100L17syevj_diag_rotateILb0E19rocblas_complex_numIdEdPS3_EEvbiiT2_iilPT0_Pii.has_indirect_call, or(0, .L__assert_fail.has_indirect_call)
	.section	.AMDGPU.csdata,"",@progbits
; Kernel info:
; codeLenInByte = 1464
; TotalNumSgprs: 84
; NumVgprs: 43
; ScratchSize: 64
; MemoryBound: 0
; FloatMode: 240
; IeeeMode: 1
; LDSByteSize: 0 bytes/workgroup (compile time only)
; SGPRBlocks: 10
; VGPRBlocks: 10
; NumSGPRsForWavesPerEU: 84
; NumVGPRsForWavesPerEU: 43
; Occupancy: 5
; WaveLimiterHint : 1
; COMPUTE_PGM_RSRC2:SCRATCH_EN: 1
; COMPUTE_PGM_RSRC2:USER_SGPR: 8
; COMPUTE_PGM_RSRC2:TRAP_HANDLER: 0
; COMPUTE_PGM_RSRC2:TGID_X_EN: 1
; COMPUTE_PGM_RSRC2:TGID_Y_EN: 1
; COMPUTE_PGM_RSRC2:TGID_Z_EN: 1
; COMPUTE_PGM_RSRC2:TIDIG_COMP_CNT: 1
	.section	.text._ZN9rocsolver6v33100L17syevj_diag_rotateILb1E19rocblas_complex_numIdEdPS3_EEvbiiT2_iilPT0_Pii,"axG",@progbits,_ZN9rocsolver6v33100L17syevj_diag_rotateILb1E19rocblas_complex_numIdEdPS3_EEvbiiT2_iilPT0_Pii,comdat
	.globl	_ZN9rocsolver6v33100L17syevj_diag_rotateILb1E19rocblas_complex_numIdEdPS3_EEvbiiT2_iilPT0_Pii ; -- Begin function _ZN9rocsolver6v33100L17syevj_diag_rotateILb1E19rocblas_complex_numIdEdPS3_EEvbiiT2_iilPT0_Pii
	.p2align	8
	.type	_ZN9rocsolver6v33100L17syevj_diag_rotateILb1E19rocblas_complex_numIdEdPS3_EEvbiiT2_iilPT0_Pii,@function
_ZN9rocsolver6v33100L17syevj_diag_rotateILb1E19rocblas_complex_numIdEdPS3_EEvbiiT2_iilPT0_Pii: ; @_ZN9rocsolver6v33100L17syevj_diag_rotateILb1E19rocblas_complex_numIdEdPS3_EEvbiiT2_iilPT0_Pii
; %bb.0:
	s_load_dwordx4 s[36:39], s[4:5], 0x0
	s_add_u32 flat_scratch_lo, s6, s11
	s_addc_u32 flat_scratch_hi, s7, 0
	s_add_u32 s0, s0, s11
	s_addc_u32 s1, s1, 0
	s_waitcnt lgkmcnt(0)
	s_abs_i32 s27, s37
	v_mov_b32_e32 v42, v0
	v_cvt_f32_u32_e32 v0, s27
	s_mul_i32 s50, s37, s37
	s_mov_b32 s26, s10
	s_mov_b64 s[28:29], s[4:5]
	v_rcp_iflag_f32_e32 v0, v0
	s_mov_b32 s34, s9
	s_mov_b32 s35, s8
	v_mov_b32_e32 v41, v1
	v_mul_f32_e32 v0, 0x4f7ffffe, v0
	v_cvt_u32_f32_e32 v0, v0
	s_cmpk_lt_u32 s50, 0x1001
	s_mov_b64 s[4:5], -1
	s_mov_b32 s32, 0
	v_readfirstlane_b32 s39, v0
	s_cbranch_scc1 .LBB132_2
; %bb.1:
	s_add_u32 s8, s28, 64
	s_addc_u32 s9, s29, 0
	s_getpc_b64 s[4:5]
	s_add_u32 s4, s4, __PRETTY_FUNCTION__._ZN9rocsolver6v33100L17syevj_diag_rotateILb1E19rocblas_complex_numIdEdPS3_EEvbiiT2_iilPT0_Pii@rel32@lo+4
	s_addc_u32 s5, s5, __PRETTY_FUNCTION__._ZN9rocsolver6v33100L17syevj_diag_rotateILb1E19rocblas_complex_numIdEdPS3_EEvbiiT2_iilPT0_Pii@rel32@hi+12
	s_getpc_b64 s[6:7]
	s_add_u32 s6, s6, __assert_fail@rel32@lo+4
	s_addc_u32 s7, s7, __assert_fail@rel32@hi+12
	v_mov_b32_e32 v0, s4
	v_mov_b32_e32 v1, s5
	s_swappc_b64 s[30:31], s[6:7]
	s_mov_b64 s[4:5], 0
	; divergent unreachable
.LBB132_2:
	s_andn2_b64 vcc, exec, s[4:5]
	s_cbranch_vccnz .LBB132_36
; %bb.3:
	s_load_dword s33, s[28:29], 0x38
	s_waitcnt lgkmcnt(0)
	s_cmp_ge_u32 s26, s33
	s_cbranch_scc1 .LBB132_36
; %bb.4:
	s_mov_b64 s[4:5], src_shared_base
	s_sub_i32 s4, 0, s27
	s_mul_i32 s4, s4, s39
	s_add_i32 s6, s38, -1
	s_mul_hi_u32 s4, s39, s4
	s_abs_i32 s7, s6
	s_add_i32 s39, s39, s4
	s_ashr_i32 s6, s6, 31
	s_ashr_i32 s8, s37, 31
	s_load_dwordx4 s[20:23], s[28:29], 0x40
	s_cmpk_lt_u32 s50, 0x801
	s_mul_hi_u32 s4, s7, s39
	s_cselect_b64 s[24:25], -1, 0
	s_bitcmp1_b32 s36, 0
	s_cselect_b64 s[30:31], -1, 0
	s_xor_b32 s6, s6, s8
	s_mul_i32 s8, s4, s27
	s_sub_i32 s7, s7, s8
	s_waitcnt lgkmcnt(0)
	s_lshr_b32 s36, s23, 16
	s_and_b32 s23, s23, 0xffff
	s_add_i32 s8, s4, 1
	s_sub_i32 s9, s7, s27
	s_cmp_ge_u32 s7, s27
	s_cselect_b32 s4, s8, s4
	s_cselect_b32 s7, s9, s7
	s_add_i32 s8, s4, 1
	s_load_dwordx8 s[12:19], s[28:29], 0x10
	s_load_dwordx2 s[40:41], s[28:29], 0x30
	s_cmp_ge_u32 s7, s27
	s_cselect_b32 s4, s8, s4
	s_xor_b32 s4, s4, s6
	s_sub_i32 s51, s4, s6
	s_lshl_b32 s4, s50, 4
	s_add_i32 s52, s51, 1
	s_add_i32 s53, s4, 0
	s_waitcnt lgkmcnt(0)
	s_ashr_i32 s7, s14, 31
	v_mul_lo_u32 v0, v41, s37
	s_cmp_lt_u32 s35, s52
	s_mul_i32 s4, s51, s37
	s_cselect_b64 s[8:9], -1, 0
	s_sub_i32 s55, s38, s4
	s_mov_b32 s6, s14
	s_cmp_lt_u32 s34, s52
	s_cselect_b64 s[10:11], -1, 0
	s_ashr_i32 s57, s15, 31
	s_lshl_b64 s[6:7], s[6:7], 4
	v_lshlrev_b32_e32 v0, 4, v0
	v_lshlrev_b32_e32 v1, 4, v42
	s_add_u32 s59, s12, s6
	v_add3_u32 v8, v0, v1, 0
	s_mul_i32 s6, s37, s36
	v_add_u32_e32 v9, 0, v0
	v_cndmask_b32_e64 v0, 0, 1, s[8:9]
	v_mad_u32_u24 v6, v41, s23, v42
	s_mul_i32 s56, s36, s23
	s_addc_u32 s60, s13, s7
	s_lshl_b32 s62, s6, 4
	v_cmp_ne_u32_e64 s[6:7], 1, v0
	v_cndmask_b32_e64 v0, 0, 1, s[24:25]
	v_cndmask_b32_e64 v1, 0, 1, s[10:11]
	s_mov_b32 s29, 0
	s_mov_b32 s54, s5
	v_cmp_gt_u32_e64 s[4:5], s50, v6
	s_mov_b32 s58, s15
	v_lshl_add_u32 v7, v6, 4, s53
	s_lshl_b32 s61, s56, 4
	s_lshl_b32 s63, s23, 4
	s_mul_i32 s64, s35, s37
	s_mul_i32 s65, s20, s37
	v_mov_b32_e32 v5, 0
	v_cmp_ne_u32_e64 s[8:9], 1, v0
	v_cmp_ne_u32_e64 s[10:11], 1, v1
	s_branch .LBB132_6
.LBB132_5:                              ;   in Loop: Header=BB132_6 Depth=1
	s_add_i32 s26, s26, s22
	s_cmp_lt_u32 s26, s33
	s_cbranch_scc0 .LBB132_36
.LBB132_6:                              ; =>This Loop Header: Depth=1
                                        ;     Child Loop BB132_10 Depth 2
                                        ;       Child Loop BB132_13 Depth 3
                                        ;       Child Loop BB132_19 Depth 3
                                        ;         Child Loop BB132_23 Depth 4
                                        ;           Child Loop BB132_25 Depth 5
                                        ;         Child Loop BB132_29 Depth 4
                                        ;           Child Loop BB132_33 Depth 5
                                        ;             Child Loop BB132_35 Depth 6
	s_mov_b32 s27, s29
	s_lshl_b64 s[12:13], s[26:27], 2
	s_add_u32 s12, s40, s12
	s_addc_u32 s13, s41, s13
	global_load_dword v0, v5, s[12:13] offset:4
	s_waitcnt vmcnt(0)
	v_cmp_ne_u32_e32 vcc, 0, v0
	s_cbranch_vccnz .LBB132_5
; %bb.7:                                ;   in Loop: Header=BB132_6 Depth=1
	s_and_b64 vcc, exec, s[6:7]
	s_cbranch_vccnz .LBB132_5
; %bb.8:                                ;   in Loop: Header=BB132_6 Depth=1
	s_mul_i32 s12, s17, s26
	s_mul_hi_u32 s13, s16, s26
	s_add_i32 s13, s13, s12
	s_mul_i32 s12, s16, s26
	s_lshl_b64 s[12:13], s[12:13], 4
	s_add_u32 s27, s59, s12
	s_addc_u32 s66, s60, s13
	s_mul_i32 s67, s26, s52
	s_mov_b32 s68, s64
	s_mov_b32 s69, s35
	s_branch .LBB132_10
.LBB132_9:                              ;   in Loop: Header=BB132_10 Depth=2
	s_add_i32 s69, s69, s20
	s_add_i32 s68, s68, s65
	s_cmp_ge_u32 s69, s52
	s_cbranch_scc1 .LBB132_5
.LBB132_10:                             ;   Parent Loop BB132_6 Depth=1
                                        ; =>  This Loop Header: Depth=2
                                        ;       Child Loop BB132_13 Depth 3
                                        ;       Child Loop BB132_19 Depth 3
                                        ;         Child Loop BB132_23 Depth 4
                                        ;           Child Loop BB132_25 Depth 5
                                        ;         Child Loop BB132_29 Depth 4
                                        ;           Child Loop BB132_33 Depth 5
                                        ;             Child Loop BB132_35 Depth 6
	s_add_i32 s12, s69, s67
	s_mul_i32 s28, s12, s50
	s_lshl_b64 s[12:13], s[28:29], 4
	s_add_u32 s38, s18, s12
	s_addc_u32 s28, s19, s13
	s_and_b64 vcc, exec, s[8:9]
	s_cbranch_vccnz .LBB132_15
; %bb.11:                               ;   in Loop: Header=BB132_10 Depth=2
	s_barrier
	s_and_saveexec_b64 s[12:13], s[4:5]
	s_cbranch_execz .LBB132_14
; %bb.12:                               ;   in Loop: Header=BB132_10 Depth=2
	s_mov_b64 s[14:15], 0
	v_mov_b32_e32 v0, s28
	v_mov_b32_e32 v1, v7
	;; [unrolled: 1-line block ×3, first 2 shown]
.LBB132_13:                             ;   Parent Loop BB132_6 Depth=1
                                        ;     Parent Loop BB132_10 Depth=2
                                        ; =>    This Inner Loop Header: Depth=3
	v_lshlrev_b64 v[2:3], 4, v[4:5]
	v_add_u32_e32 v4, s56, v4
	v_add_co_u32_e32 v2, vcc, s38, v2
	v_addc_co_u32_e32 v3, vcc, v0, v3, vcc
	global_load_dwordx4 v[10:13], v[2:3], off
	v_cmp_le_u32_e32 vcc, s50, v4
	s_or_b64 s[14:15], vcc, s[14:15]
	s_waitcnt vmcnt(0)
	ds_write2_b64 v1, v[10:11], v[12:13] offset1:1
	v_add_u32_e32 v1, s61, v1
	s_andn2_b64 exec, exec, s[14:15]
	s_cbranch_execnz .LBB132_13
.LBB132_14:                             ;   in Loop: Header=BB132_10 Depth=2
	s_or_b64 exec, exec, s[12:13]
	s_waitcnt lgkmcnt(0)
	s_barrier
.LBB132_15:                             ;   in Loop: Header=BB132_10 Depth=2
	s_and_b64 vcc, exec, s[10:11]
	s_cbranch_vccnz .LBB132_9
; %bb.16:                               ;   in Loop: Header=BB132_10 Depth=2
	s_and_b64 s[12:13], s[24:25], exec
	s_cselect_b32 s28, s54, s28
	s_cselect_b32 s70, s53, s38
	s_cmp_eq_u32 s69, s51
	s_cselect_b32 s71, s55, s37
	s_cmp_gt_i32 s71, 0
	s_mul_i32 s72, s69, s37
	v_cmp_gt_u32_e64 s[12:13], s71, v42
	s_cselect_b64 s[38:39], -1, 0
	s_mov_b32 s73, s34
	s_branch .LBB132_19
.LBB132_17:                             ;   in Loop: Header=BB132_19 Depth=3
	s_or_b64 exec, exec, s[14:15]
	s_waitcnt vmcnt(0)
	s_barrier
.LBB132_18:                             ;   in Loop: Header=BB132_19 Depth=3
	s_add_i32 s73, s73, s21
	s_cmp_ge_u32 s73, s52
	s_cbranch_scc1 .LBB132_9
.LBB132_19:                             ;   Parent Loop BB132_6 Depth=1
                                        ;     Parent Loop BB132_10 Depth=2
                                        ; =>    This Loop Header: Depth=3
                                        ;         Child Loop BB132_23 Depth 4
                                        ;           Child Loop BB132_25 Depth 5
                                        ;         Child Loop BB132_29 Depth 4
                                        ;           Child Loop BB132_33 Depth 5
                                        ;             Child Loop BB132_35 Depth 6
	s_cmp_eq_u32 s69, s73
	s_cselect_b64 s[14:15], -1, 0
	s_and_b64 s[14:15], s[30:31], s[14:15]
	s_and_b64 vcc, exec, s[14:15]
	s_cbranch_vccnz .LBB132_18
; %bb.20:                               ;   in Loop: Header=BB132_19 Depth=3
	s_cmp_eq_u32 s73, s51
	s_cselect_b32 s75, s55, s37
	s_mul_i32 s74, s73, s37
	v_cmp_gt_u32_e32 vcc, s75, v41
	s_barrier
	s_and_saveexec_b64 s[42:43], vcc
	s_cbranch_execz .LBB132_26
; %bb.21:                               ;   in Loop: Header=BB132_19 Depth=3
	s_mov_b64 s[44:45], 0
	v_mov_b32_e32 v0, v8
	v_mov_b32_e32 v1, v41
	s_branch .LBB132_23
.LBB132_22:                             ;   in Loop: Header=BB132_23 Depth=4
	s_or_b64 exec, exec, s[46:47]
	v_add_u32_e32 v1, s36, v1
	v_cmp_le_u32_e64 s[14:15], s75, v1
	s_or_b64 s[44:45], s[14:15], s[44:45]
	v_add_u32_e32 v0, s62, v0
	s_andn2_b64 exec, exec, s[44:45]
	s_cbranch_execz .LBB132_26
.LBB132_23:                             ;   Parent Loop BB132_6 Depth=1
                                        ;     Parent Loop BB132_10 Depth=2
                                        ;       Parent Loop BB132_19 Depth=3
                                        ; =>      This Loop Header: Depth=4
                                        ;           Child Loop BB132_25 Depth 5
	s_and_saveexec_b64 s[46:47], s[12:13]
	s_cbranch_execz .LBB132_22
; %bb.24:                               ;   in Loop: Header=BB132_23 Depth=4
	v_add_u32_e32 v4, s74, v1
	v_mad_u64_u32 v[2:3], s[14:15], v4, s58, 0
	s_mov_b64 s[48:49], 0
	v_mov_b32_e32 v10, v0
	v_mad_u64_u32 v[3:4], s[14:15], v4, s57, v[3:4]
	v_mov_b32_e32 v4, s66
	v_mov_b32_e32 v11, v42
	v_lshlrev_b64 v[2:3], 4, v[2:3]
	v_add_co_u32_e64 v2, s[14:15], s27, v2
	v_addc_co_u32_e64 v3, s[14:15], v4, v3, s[14:15]
.LBB132_25:                             ;   Parent Loop BB132_6 Depth=1
                                        ;     Parent Loop BB132_10 Depth=2
                                        ;       Parent Loop BB132_19 Depth=3
                                        ;         Parent Loop BB132_23 Depth=4
                                        ; =>        This Inner Loop Header: Depth=5
	v_add_u32_e32 v4, s68, v11
	v_lshlrev_b64 v[12:13], 4, v[4:5]
	v_add_u32_e32 v11, s23, v11
	v_add_co_u32_e64 v12, s[14:15], v2, v12
	v_addc_co_u32_e64 v13, s[14:15], v3, v13, s[14:15]
	global_load_dwordx4 v[12:15], v[12:13], off
	v_cmp_le_u32_e64 s[14:15], s71, v11
	s_or_b64 s[48:49], s[14:15], s[48:49]
	s_waitcnt vmcnt(0)
	ds_write2_b64 v10, v[12:13], v[14:15] offset1:1
	v_add_u32_e32 v10, s63, v10
	s_andn2_b64 exec, exec, s[48:49]
	s_cbranch_execnz .LBB132_25
	s_branch .LBB132_22
.LBB132_26:                             ;   in Loop: Header=BB132_19 Depth=3
	s_or_b64 exec, exec, s[42:43]
	s_waitcnt lgkmcnt(0)
	s_barrier
	s_and_saveexec_b64 s[14:15], vcc
	s_cbranch_execz .LBB132_17
; %bb.27:                               ;   in Loop: Header=BB132_19 Depth=3
	s_mov_b64 s[42:43], 0
	v_mov_b32_e32 v10, v9
	v_mov_b32_e32 v11, v41
	s_branch .LBB132_29
.LBB132_28:                             ;   in Loop: Header=BB132_29 Depth=4
	s_or_b64 exec, exec, s[44:45]
	v_add_u32_e32 v11, s36, v11
	v_cmp_le_u32_e32 vcc, s75, v11
	s_or_b64 s[42:43], vcc, s[42:43]
	v_add_u32_e32 v10, s62, v10
	s_andn2_b64 exec, exec, s[42:43]
	s_cbranch_execz .LBB132_17
.LBB132_29:                             ;   Parent Loop BB132_6 Depth=1
                                        ;     Parent Loop BB132_10 Depth=2
                                        ;       Parent Loop BB132_19 Depth=3
                                        ; =>      This Loop Header: Depth=4
                                        ;           Child Loop BB132_33 Depth 5
                                        ;             Child Loop BB132_35 Depth 6
	s_and_saveexec_b64 s[44:45], s[12:13]
	s_cbranch_execz .LBB132_28
; %bb.30:                               ;   in Loop: Header=BB132_29 Depth=4
	v_add_u32_e32 v2, s74, v11
	v_mad_u64_u32 v[0:1], s[46:47], v2, s58, 0
	v_mov_b32_e32 v14, v42
	v_mad_u64_u32 v[1:2], s[46:47], v2, s57, v[1:2]
	v_mov_b32_e32 v2, s66
	s_mov_b64 s[46:47], 0
	v_lshlrev_b64 v[0:1], 4, v[0:1]
	v_add_co_u32_e32 v12, vcc, s27, v0
	v_addc_co_u32_e32 v13, vcc, v2, v1, vcc
	s_branch .LBB132_33
.LBB132_31:                             ;   in Loop: Header=BB132_33 Depth=5
	v_mov_b32_e32 v0, v2
	v_mov_b32_e32 v1, v3
.LBB132_32:                             ;   in Loop: Header=BB132_33 Depth=5
	v_add_u32_e32 v4, s72, v14
	v_lshlrev_b64 v[15:16], 4, v[4:5]
	v_add_u32_e32 v14, s23, v14
	v_add_co_u32_e32 v15, vcc, v12, v15
	v_addc_co_u32_e32 v16, vcc, v13, v16, vcc
	v_cmp_le_u32_e32 vcc, s71, v14
	s_or_b64 s[46:47], vcc, s[46:47]
	global_store_dwordx4 v[15:16], v[0:3], off
	s_andn2_b64 exec, exec, s[46:47]
	s_cbranch_execz .LBB132_28
.LBB132_33:                             ;   Parent Loop BB132_6 Depth=1
                                        ;     Parent Loop BB132_10 Depth=2
                                        ;       Parent Loop BB132_19 Depth=3
                                        ;         Parent Loop BB132_29 Depth=4
                                        ; =>        This Loop Header: Depth=5
                                        ;             Child Loop BB132_35 Depth 6
	v_mov_b32_e32 v2, 0
	v_mov_b32_e32 v3, 0
	s_andn2_b64 vcc, exec, s[38:39]
	s_cbranch_vccnz .LBB132_31
; %bb.34:                               ;   in Loop: Header=BB132_33 Depth=5
	v_mov_b32_e32 v0, v2
	v_mov_b32_e32 v4, v14
	s_mov_b32 s48, s71
	v_mov_b32_e32 v15, v10
	v_mov_b32_e32 v1, v3
.LBB132_35:                             ;   Parent Loop BB132_6 Depth=1
                                        ;     Parent Loop BB132_10 Depth=2
                                        ;       Parent Loop BB132_19 Depth=3
                                        ;         Parent Loop BB132_29 Depth=4
                                        ;           Parent Loop BB132_33 Depth=5
                                        ; =>          This Inner Loop Header: Depth=6
	v_lshlrev_b64 v[16:17], 4, v[4:5]
	v_mov_b32_e32 v18, s28
	v_add_co_u32_e32 v16, vcc, s70, v16
	v_addc_co_u32_e32 v17, vcc, v18, v17, vcc
	flat_load_dwordx4 v[16:19], v[16:17]
	ds_read2_b64 v[20:23], v15 offset1:1
	s_add_i32 s48, s48, -1
	v_add_u32_e32 v15, 16, v15
	s_cmp_eq_u32 s48, 0
	v_add_u32_e32 v4, s37, v4
	s_waitcnt vmcnt(0) lgkmcnt(0)
	v_mul_f64 v[24:25], v[18:19], v[22:23]
	v_mul_f64 v[18:19], v[18:19], v[20:21]
	v_fma_f64 v[20:21], v[16:17], v[20:21], v[24:25]
	v_fma_f64 v[16:17], v[16:17], v[22:23], -v[18:19]
	v_add_f64 v[0:1], v[0:1], v[20:21]
	v_add_f64 v[2:3], v[2:3], v[16:17]
	s_cbranch_scc0 .LBB132_35
	s_branch .LBB132_32
.LBB132_36:
	s_endpgm
	.section	.rodata,"a",@progbits
	.p2align	6, 0x0
	.amdhsa_kernel _ZN9rocsolver6v33100L17syevj_diag_rotateILb1E19rocblas_complex_numIdEdPS3_EEvbiiT2_iilPT0_Pii
		.amdhsa_group_segment_fixed_size 0
		.amdhsa_private_segment_fixed_size 64
		.amdhsa_kernarg_size 320
		.amdhsa_user_sgpr_count 8
		.amdhsa_user_sgpr_private_segment_buffer 1
		.amdhsa_user_sgpr_dispatch_ptr 0
		.amdhsa_user_sgpr_queue_ptr 0
		.amdhsa_user_sgpr_kernarg_segment_ptr 1
		.amdhsa_user_sgpr_dispatch_id 0
		.amdhsa_user_sgpr_flat_scratch_init 1
		.amdhsa_user_sgpr_private_segment_size 0
		.amdhsa_uses_dynamic_stack 0
		.amdhsa_system_sgpr_private_segment_wavefront_offset 1
		.amdhsa_system_sgpr_workgroup_id_x 1
		.amdhsa_system_sgpr_workgroup_id_y 1
		.amdhsa_system_sgpr_workgroup_id_z 1
		.amdhsa_system_sgpr_workgroup_info 0
		.amdhsa_system_vgpr_workitem_id 1
		.amdhsa_next_free_vgpr 43
		.amdhsa_next_free_sgpr 76
		.amdhsa_reserve_vcc 1
		.amdhsa_reserve_flat_scratch 1
		.amdhsa_float_round_mode_32 0
		.amdhsa_float_round_mode_16_64 0
		.amdhsa_float_denorm_mode_32 3
		.amdhsa_float_denorm_mode_16_64 3
		.amdhsa_dx10_clamp 1
		.amdhsa_ieee_mode 1
		.amdhsa_fp16_overflow 0
		.amdhsa_exception_fp_ieee_invalid_op 0
		.amdhsa_exception_fp_denorm_src 0
		.amdhsa_exception_fp_ieee_div_zero 0
		.amdhsa_exception_fp_ieee_overflow 0
		.amdhsa_exception_fp_ieee_underflow 0
		.amdhsa_exception_fp_ieee_inexact 0
		.amdhsa_exception_int_div_zero 0
	.end_amdhsa_kernel
	.section	.text._ZN9rocsolver6v33100L17syevj_diag_rotateILb1E19rocblas_complex_numIdEdPS3_EEvbiiT2_iilPT0_Pii,"axG",@progbits,_ZN9rocsolver6v33100L17syevj_diag_rotateILb1E19rocblas_complex_numIdEdPS3_EEvbiiT2_iilPT0_Pii,comdat
.Lfunc_end132:
	.size	_ZN9rocsolver6v33100L17syevj_diag_rotateILb1E19rocblas_complex_numIdEdPS3_EEvbiiT2_iilPT0_Pii, .Lfunc_end132-_ZN9rocsolver6v33100L17syevj_diag_rotateILb1E19rocblas_complex_numIdEdPS3_EEvbiiT2_iilPT0_Pii
                                        ; -- End function
	.set _ZN9rocsolver6v33100L17syevj_diag_rotateILb1E19rocblas_complex_numIdEdPS3_EEvbiiT2_iilPT0_Pii.num_vgpr, max(43, .L__assert_fail.num_vgpr)
	.set _ZN9rocsolver6v33100L17syevj_diag_rotateILb1E19rocblas_complex_numIdEdPS3_EEvbiiT2_iilPT0_Pii.num_agpr, max(0, .L__assert_fail.num_agpr)
	.set _ZN9rocsolver6v33100L17syevj_diag_rotateILb1E19rocblas_complex_numIdEdPS3_EEvbiiT2_iilPT0_Pii.numbered_sgpr, max(76, .L__assert_fail.numbered_sgpr)
	.set _ZN9rocsolver6v33100L17syevj_diag_rotateILb1E19rocblas_complex_numIdEdPS3_EEvbiiT2_iilPT0_Pii.num_named_barrier, max(0, .L__assert_fail.num_named_barrier)
	.set _ZN9rocsolver6v33100L17syevj_diag_rotateILb1E19rocblas_complex_numIdEdPS3_EEvbiiT2_iilPT0_Pii.private_seg_size, 0+max(.L__assert_fail.private_seg_size)
	.set _ZN9rocsolver6v33100L17syevj_diag_rotateILb1E19rocblas_complex_numIdEdPS3_EEvbiiT2_iilPT0_Pii.uses_vcc, or(1, .L__assert_fail.uses_vcc)
	.set _ZN9rocsolver6v33100L17syevj_diag_rotateILb1E19rocblas_complex_numIdEdPS3_EEvbiiT2_iilPT0_Pii.uses_flat_scratch, or(1, .L__assert_fail.uses_flat_scratch)
	.set _ZN9rocsolver6v33100L17syevj_diag_rotateILb1E19rocblas_complex_numIdEdPS3_EEvbiiT2_iilPT0_Pii.has_dyn_sized_stack, or(0, .L__assert_fail.has_dyn_sized_stack)
	.set _ZN9rocsolver6v33100L17syevj_diag_rotateILb1E19rocblas_complex_numIdEdPS3_EEvbiiT2_iilPT0_Pii.has_recursion, or(0, .L__assert_fail.has_recursion)
	.set _ZN9rocsolver6v33100L17syevj_diag_rotateILb1E19rocblas_complex_numIdEdPS3_EEvbiiT2_iilPT0_Pii.has_indirect_call, or(0, .L__assert_fail.has_indirect_call)
	.section	.AMDGPU.csdata,"",@progbits
; Kernel info:
; codeLenInByte = 1452
; TotalNumSgprs: 82
; NumVgprs: 43
; ScratchSize: 64
; MemoryBound: 0
; FloatMode: 240
; IeeeMode: 1
; LDSByteSize: 0 bytes/workgroup (compile time only)
; SGPRBlocks: 10
; VGPRBlocks: 10
; NumSGPRsForWavesPerEU: 82
; NumVGPRsForWavesPerEU: 43
; Occupancy: 5
; WaveLimiterHint : 1
; COMPUTE_PGM_RSRC2:SCRATCH_EN: 1
; COMPUTE_PGM_RSRC2:USER_SGPR: 8
; COMPUTE_PGM_RSRC2:TRAP_HANDLER: 0
; COMPUTE_PGM_RSRC2:TGID_X_EN: 1
; COMPUTE_PGM_RSRC2:TGID_Y_EN: 1
; COMPUTE_PGM_RSRC2:TGID_Z_EN: 1
; COMPUTE_PGM_RSRC2:TIDIG_COMP_CNT: 1
	.section	.text._ZN9rocsolver6v33100L21syevj_offd_kernel_orgI19rocblas_complex_numIdEdPS3_EEviiT1_iilT0_PT_PiS9_S9_,"axG",@progbits,_ZN9rocsolver6v33100L21syevj_offd_kernel_orgI19rocblas_complex_numIdEdPS3_EEviiT1_iilT0_PT_PiS9_S9_,comdat
	.globl	_ZN9rocsolver6v33100L21syevj_offd_kernel_orgI19rocblas_complex_numIdEdPS3_EEviiT1_iilT0_PT_PiS9_S9_ ; -- Begin function _ZN9rocsolver6v33100L21syevj_offd_kernel_orgI19rocblas_complex_numIdEdPS3_EEviiT1_iilT0_PT_PiS9_S9_
	.p2align	8
	.type	_ZN9rocsolver6v33100L21syevj_offd_kernel_orgI19rocblas_complex_numIdEdPS3_EEviiT1_iilT0_PT_PiS9_S9_,@function
_ZN9rocsolver6v33100L21syevj_offd_kernel_orgI19rocblas_complex_numIdEdPS3_EEviiT1_iilT0_PT_PiS9_S9_: ; @_ZN9rocsolver6v33100L21syevj_offd_kernel_orgI19rocblas_complex_numIdEdPS3_EEviiT1_iilT0_PT_PiS9_S9_
; %bb.0:
	s_load_dwordx4 s[0:3], s[4:5], 0x38
	s_mov_b32 s26, s7
	s_ashr_i32 s27, s7, 31
	s_lshl_b64 s[8:9], s[26:27], 2
	s_mov_b32 s7, 0
	s_waitcnt lgkmcnt(0)
	s_add_u32 s2, s2, s8
	s_addc_u32 s3, s3, s9
	s_load_dword s2, s[2:3], 0x4
	s_waitcnt lgkmcnt(0)
	s_cmp_lg_u32 s2, 0
	s_cbranch_scc1 .LBB133_49
; %bb.1:
	s_load_dwordx8 s[8:15], s[4:5], 0x18
	s_lshl_b64 s[16:17], s[6:7], 2
	s_waitcnt lgkmcnt(0)
	s_add_u32 s2, s14, s16
	s_addc_u32 s3, s15, s17
	s_add_u32 s0, s0, s16
	s_load_dword s2, s[2:3], 0x0
	s_addc_u32 s1, s1, s17
	s_load_dword s3, s[0:1], 0x0
	s_load_dwordx2 s[20:21], s[4:5], 0x0
	s_waitcnt lgkmcnt(0)
	s_max_i32 s33, s2, s3
	s_cmp_ge_i32 s33, s20
	s_cbranch_scc1 .LBB133_49
; %bb.2:
	s_load_dword s7, s[4:5], 0x54
	s_add_u32 s0, s4, 0x48
	s_addc_u32 s1, s5, 0
	s_min_i32 s3, s2, s3
	s_waitcnt lgkmcnt(0)
	s_and_b32 s20, s7, 0xffff
	s_mul_i32 s3, s3, s20
	v_add_u32_e32 v41, s3, v1
	v_cmp_gt_i32_e32 vcc, s21, v41
	s_and_saveexec_b64 s[14:15], vcc
	s_cbranch_execz .LBB133_49
; %bb.3:
	s_cmp_eq_u64 s[12:13], 0
	s_mov_b64 s[22:23], 0
	s_cbranch_scc1 .LBB133_5
; %bb.4:
	s_load_dword s0, s[0:1], 0x0
	s_waitcnt lgkmcnt(0)
	s_mul_i32 s0, s0, s26
	s_add_i32 s0, s0, s6
	s_mul_i32 s0, s0, s20
	s_mul_i32 s0, s0, s20
	s_lshl_b32 s0, s0, 2
	s_ashr_i32 s1, s0, 31
	s_lshl_b64 s[0:1], s[0:1], 4
	s_add_u32 s22, s12, s0
	s_addc_u32 s23, s13, s1
.LBB133_5:
	s_lshl_b32 s6, s20, 1
	v_add_u32_e32 v27, s20, v1
	s_cmp_lg_u64 s[22:23], 0
	s_cselect_b64 s[24:25], -1, 0
	s_cmp_eq_u64 s[22:23], 0
	v_mad_u32_u24 v8, s6, v1, v0
	v_mad_u32_u24 v2, v27, s6, v0
	s_cbranch_scc1 .LBB133_7
; %bb.6:
	v_mov_b32_e32 v3, 0x3ff00000
	v_cmp_eq_u32_e32 vcc, v0, v1
	v_mov_b32_e32 v9, 0
	v_cndmask_b32_e32 v5, 0, v3, vcc
	v_lshlrev_b64 v[3:4], 4, v[8:9]
	v_mov_b32_e32 v17, s23
	v_add_co_u32_e32 v10, vcc, s22, v3
	v_addc_co_u32_e32 v11, vcc, v17, v4, vcc
	v_mov_b32_e32 v4, v9
	v_mov_b32_e32 v6, v9
	v_mov_b32_e32 v7, v9
	v_mov_b32_e32 v3, v9
	global_store_dwordx4 v[10:11], v[4:7], off
	v_lshlrev_b64 v[10:11], 4, v[2:3]
	s_mov_b32 s12, 0
	v_add_co_u32_e32 v14, vcc, s22, v10
	v_addc_co_u32_e32 v15, vcc, v17, v11, vcc
	s_mov_b32 s13, s12
	s_mov_b32 s14, s12
	s_mov_b32 s15, s12
	v_mov_b32_e32 v10, s12
	v_add_u32_e32 v16, s20, v0
	v_mov_b32_e32 v11, s13
	v_mov_b32_e32 v12, s14
	;; [unrolled: 1-line block ×3, first 2 shown]
	global_store_dwordx4 v[14:15], v[10:13], off
	v_mad_u32_u24 v14, s6, v1, v16
	v_mov_b32_e32 v15, v9
	v_lshlrev_b64 v[14:15], 4, v[14:15]
	v_add_co_u32_e32 v14, vcc, s22, v14
	v_addc_co_u32_e32 v15, vcc, v17, v15, vcc
	global_store_dwordx4 v[14:15], v[10:13], off
	s_nop 0
	v_mad_u32_u24 v10, v27, s6, v16
	v_mov_b32_e32 v11, v9
	v_lshlrev_b64 v[9:10], 4, v[10:11]
	v_add_co_u32_e32 v9, vcc, s22, v9
	v_addc_co_u32_e32 v10, vcc, v17, v10, vcc
	global_store_dwordx4 v[9:10], v[4:7], off
.LBB133_7:
	s_cmp_eq_u32 s20, 0
	s_mov_b32 s12, 0
	s_cbranch_scc1 .LBB133_49
; %bb.8:
	v_mov_b32_e32 v4, 0
	v_mov_b32_e32 v5, 0x100000
	v_div_scale_f64 v[6:7], s[0:1], s[10:11], s[10:11], v[4:5]
	s_mov_b32 s0, 0
	v_mov_b32_e32 v12, s11
	s_mov_b32 s1, 0x100000
	v_mov_b32_e32 v11, s10
	v_mov_b32_e32 v9, 0
	s_load_dwordx4 s[16:19], s[4:5], 0x8
	s_mul_i32 s4, s8, s27
	s_mul_hi_u32 s5, s8, s26
	v_div_scale_f64 v[17:18], vcc, s[0:1], v[11:12], s[0:1]
	v_lshlrev_b64 v[11:12], 4, v[8:9]
	s_mul_i32 s9, s9, s26
	s_add_i32 s0, s5, s4
	v_mov_b32_e32 v3, v9
	v_rcp_f64_e32 v[15:16], v[6:7]
	v_add_u32_e32 v10, s3, v0
	v_mov_b32_e32 v14, s23
	s_add_i32 s3, s0, s9
	v_lshlrev_b64 v[2:3], 4, v[2:3]
	v_add_co_u32_e64 v11, s[0:1], s22, v11
	v_addc_co_u32_e64 v12, s[0:1], v14, v12, s[0:1]
	v_add_co_u32_e64 v13, s[0:1], s22, v2
	v_addc_co_u32_e64 v14, s[0:1], v14, v3, s[0:1]
	s_waitcnt lgkmcnt(0)
	v_mul_lo_u32 v43, v10, s19
	s_lshl_b32 s7, s20, 3
	s_mul_i32 s2, s8, s26
	v_fma_f64 v[19:20], -v[6:7], v[15:16], 1.0
	v_cvt_f32_u32_e32 v21, s20
	s_add_i32 s7, s7, 0
	s_lshl_b64 s[2:3], s[2:3], 4
	s_ashr_i32 s1, s18, 31
	s_mov_b32 s0, s18
	s_add_u32 s2, s16, s2
	s_addc_u32 s3, s17, s3
	v_fma_f64 v[2:3], v[15:16], v[19:20], v[15:16]
	v_add_u32_e32 v19, v43, v10
	s_lshl_b64 s[0:1], s[0:1], 4
	v_ashrrev_i32_e32 v20, 31, v19
	s_mul_i32 s33, s33, s20
	v_rcp_iflag_f32_e32 v8, v21
	s_add_u32 s18, s2, s0
	v_add_u32_e32 v21, v43, v41
	v_fma_f64 v[15:16], -v[6:7], v[2:3], 1.0
	v_add_u32_e32 v42, s33, v1
	v_mul_lo_u32 v44, v41, s19
	s_addc_u32 s34, s3, s1
	v_ashrrev_i32_e32 v22, 31, v21
	v_add_u32_e32 v23, v43, v42
	v_mov_b32_e32 v30, s34
	v_ashrrev_i32_e32 v24, 31, v23
	v_fma_f64 v[2:3], v[2:3], v[15:16], v[2:3]
	v_lshlrev_b64 v[15:16], 4, v[19:20]
	v_lshlrev_b64 v[19:20], 4, v[21:22]
	v_add_co_u32_e64 v15, s[0:1], s18, v15
	v_addc_co_u32_e64 v16, s[0:1], v30, v16, s[0:1]
	v_mov_b32_e32 v31, s34
	v_mul_f64 v[28:29], v[17:18], v[2:3]
	v_lshlrev_b64 v[21:22], 4, v[23:24]
	v_add_u32_e32 v25, v44, v10
	v_mov_b32_e32 v32, s34
	v_ashrrev_i32_e32 v26, 31, v25
	v_lshlrev_b64 v[23:24], 4, v[25:26]
	v_mul_lo_u32 v45, v42, s19
	v_mov_b32_e32 v33, s34
	v_fma_f64 v[6:7], -v[6:7], v[28:29], v[17:18]
	v_add_co_u32_e64 v17, s[0:1], s18, v19
	v_addc_co_u32_e64 v18, s[0:1], v31, v20, s[0:1]
	v_add_co_u32_e64 v19, s[0:1], s18, v21
	v_addc_co_u32_e64 v20, s[0:1], v32, v22, s[0:1]
	v_div_fmas_f64 v[2:3], v[6:7], v[2:3], v[28:29]
	v_mul_f32_e32 v6, 0x4f7ffffe, v8
	v_cvt_u32_f32_e32 v8, v6
	s_sub_i32 s0, 0, s20
	v_add_co_u32_e32 v21, vcc, s18, v23
	v_mul_lo_u32 v23, s0, v8
	v_add_u32_e32 v6, v45, v10
	v_ashrrev_i32_e32 v7, 31, v6
	v_lshlrev_b64 v[6:7], 4, v[6:7]
	v_mul_hi_u32 v28, v8, v23
	v_mul_u32_u24_e32 v47, s6, v1
	v_mul_u32_u24_e32 v48, s6, v27
	v_lshl_add_u32 v50, v0, 4, s7
	v_add_u32_e32 v46, v8, v28
	v_mad_u64_u32 v[27:28], s[6:7], v0, v46, 0
	v_div_fixup_f64 v[25:26], v[2:3], s[10:11], v[4:5]
	v_addc_co_u32_e32 v22, vcc, v33, v24, vcc
	v_mov_b32_e32 v24, s34
	v_add_co_u32_e32 v23, vcc, s18, v6
	v_cmp_eq_u32_e64 s[0:1], 0, v1
	v_cmp_gt_i32_e64 s[2:3], s21, v10
	s_mov_b32 s16, 0
	v_addc_co_u32_e32 v24, vcc, v24, v7, vcc
	v_cmp_gt_i32_e64 s[4:5], s21, v42
	s_and_b64 s[10:11], s[0:1], s[2:3]
	s_brev_b32 s17, 8
	s_movk_i32 s35, 0x204
	s_mov_b32 s36, s20
	v_lshl_add_u32 v49, v0, 3, 0
	v_mov_b32_e32 v51, 0x260
	v_mov_b32_e32 v52, 0x100
	;; [unrolled: 1-line block ×5, first 2 shown]
                                        ; implicit-def: $vgpr29_vgpr30
                                        ; implicit-def: $vgpr31_vgpr32
                                        ; implicit-def: $vgpr33_vgpr34
                                        ; implicit-def: $vgpr3_vgpr4
	s_branch .LBB133_10
.LBB133_9:                              ;   in Loop: Header=BB133_10 Depth=1
	s_or_b64 exec, exec, s[6:7]
	s_add_i32 s36, s36, -1
	v_add_co_u32_e32 v27, vcc, v27, v46
	v_add_u32_e32 v0, 1, v0
	s_cmp_lg_u32 s36, 0
	v_addc_co_u32_e32 v28, vcc, 0, v28, vcc
	s_cbranch_scc0 .LBB133_49
.LBB133_10:                             ; =>This Inner Loop Header: Depth=1
	v_mul_lo_u32 v7, s20, v28
	v_not_b32_e32 v5, v28
	v_mad_u64_u32 v[5:6], s[6:7], s20, v5, v[0:1]
	v_sub_u32_e32 v6, v0, v7
	v_cmp_le_u32_e32 vcc, s20, v6
	v_cndmask_b32_e32 v5, v6, v5, vcc
	v_subrev_u32_e32 v6, s20, v5
	v_cmp_le_u32_e32 vcc, s20, v5
	v_cndmask_b32_e32 v58, v5, v6, vcc
	v_add_u32_e32 v56, s33, v58
	v_mul_lo_u32 v57, v56, s19
	v_cmp_gt_i32_e64 s[6:7], s21, v56
	s_and_b64 s[8:9], s[10:11], s[6:7]
	s_and_saveexec_b64 s[14:15], s[8:9]
	s_cbranch_execz .LBB133_36
; %bb.11:                               ;   in Loop: Header=BB133_10 Depth=1
	v_add_u32_e32 v1, v57, v10
	v_ashrrev_i32_e32 v2, 31, v1
	v_lshlrev_b64 v[1:2], 4, v[1:2]
	v_mov_b32_e32 v3, s34
	v_add_co_u32_e32 v1, vcc, s18, v1
	v_addc_co_u32_e32 v2, vcc, v3, v2, vcc
	global_load_dwordx4 v[5:8], v[1:2], off
                                        ; implicit-def: $vgpr35_vgpr36
	s_waitcnt vmcnt(0)
	v_cmp_gt_f64_e32 vcc, 0, v[5:6]
	v_xor_b32_e32 v2, 0x80000000, v6
	v_xor_b32_e32 v3, 0x80000000, v8
	v_mov_b32_e32 v1, v5
	v_cndmask_b32_e32 v2, v6, v2, vcc
	v_cmp_gt_f64_e32 vcc, 0, v[7:8]
	v_cndmask_b32_e32 v4, v8, v3, vcc
	v_mov_b32_e32 v3, v7
	v_cmp_ngt_f64_e32 vcc, v[1:2], v[3:4]
	s_and_saveexec_b64 s[8:9], vcc
	s_xor_b64 s[8:9], exec, s[8:9]
	s_cbranch_execz .LBB133_15
; %bb.12:                               ;   in Loop: Header=BB133_10 Depth=1
	v_cmp_neq_f64_e32 vcc, 0, v[7:8]
	v_mov_b32_e32 v35, 0
	v_mov_b32_e32 v36, 0
	s_and_saveexec_b64 s[26:27], vcc
	s_cbranch_execz .LBB133_14
; %bb.13:                               ;   in Loop: Header=BB133_10 Depth=1
	v_div_scale_f64 v[29:30], s[28:29], v[3:4], v[3:4], v[1:2]
	v_rcp_f64_e32 v[35:36], v[29:30]
	v_fma_f64 v[37:38], -v[29:30], v[35:36], 1.0
	v_fma_f64 v[35:36], v[35:36], v[37:38], v[35:36]
	v_div_scale_f64 v[37:38], vcc, v[1:2], v[3:4], v[1:2]
	v_fma_f64 v[39:40], -v[29:30], v[35:36], 1.0
	v_fma_f64 v[35:36], v[35:36], v[39:40], v[35:36]
	v_mul_f64 v[39:40], v[37:38], v[35:36]
	v_fma_f64 v[29:30], -v[29:30], v[39:40], v[37:38]
	v_div_fmas_f64 v[29:30], v[29:30], v[35:36], v[39:40]
	v_div_fixup_f64 v[1:2], v[29:30], v[3:4], v[1:2]
	v_fma_f64 v[1:2], v[1:2], v[1:2], 1.0
	v_cmp_gt_f64_e32 vcc, s[16:17], v[1:2]
	v_cndmask_b32_e32 v29, 0, v52, vcc
	v_ldexp_f64 v[1:2], v[1:2], v29
	v_rsq_f64_e32 v[29:30], v[1:2]
	v_mul_f64 v[35:36], v[1:2], v[29:30]
	v_mul_f64 v[29:30], v[29:30], 0.5
	v_fma_f64 v[37:38], -v[29:30], v[35:36], 0.5
	v_fma_f64 v[35:36], v[35:36], v[37:38], v[35:36]
	v_fma_f64 v[29:30], v[29:30], v[37:38], v[29:30]
	v_fma_f64 v[37:38], -v[35:36], v[35:36], v[1:2]
	v_fma_f64 v[35:36], v[37:38], v[29:30], v[35:36]
	v_fma_f64 v[37:38], -v[35:36], v[35:36], v[1:2]
	v_fma_f64 v[29:30], v[37:38], v[29:30], v[35:36]
	v_cndmask_b32_e32 v35, 0, v53, vcc
	v_cmp_class_f64_e32 vcc, v[1:2], v51
	v_ldexp_f64 v[29:30], v[29:30], v35
	v_cndmask_b32_e32 v2, v30, v2, vcc
	v_cndmask_b32_e32 v1, v29, v1, vcc
	v_mul_f64 v[35:36], v[3:4], v[1:2]
.LBB133_14:                             ;   in Loop: Header=BB133_10 Depth=1
	s_or_b64 exec, exec, s[26:27]
                                        ; implicit-def: $vgpr1_vgpr2
                                        ; implicit-def: $vgpr3_vgpr4
.LBB133_15:                             ;   in Loop: Header=BB133_10 Depth=1
	s_andn2_saveexec_b64 s[8:9], s[8:9]
	s_cbranch_execz .LBB133_17
; %bb.16:                               ;   in Loop: Header=BB133_10 Depth=1
	v_div_scale_f64 v[29:30], s[26:27], v[1:2], v[1:2], v[3:4]
	v_rcp_f64_e32 v[35:36], v[29:30]
	v_fma_f64 v[37:38], -v[29:30], v[35:36], 1.0
	v_fma_f64 v[35:36], v[35:36], v[37:38], v[35:36]
	v_div_scale_f64 v[37:38], vcc, v[3:4], v[1:2], v[3:4]
	v_fma_f64 v[39:40], -v[29:30], v[35:36], 1.0
	v_fma_f64 v[35:36], v[35:36], v[39:40], v[35:36]
	v_mul_f64 v[39:40], v[37:38], v[35:36]
	v_fma_f64 v[29:30], -v[29:30], v[39:40], v[37:38]
	v_div_fmas_f64 v[29:30], v[29:30], v[35:36], v[39:40]
	v_div_fixup_f64 v[3:4], v[29:30], v[1:2], v[3:4]
	v_fma_f64 v[3:4], v[3:4], v[3:4], 1.0
	v_cmp_gt_f64_e32 vcc, s[16:17], v[3:4]
	v_cndmask_b32_e32 v29, 0, v52, vcc
	v_ldexp_f64 v[3:4], v[3:4], v29
	v_rsq_f64_e32 v[29:30], v[3:4]
	v_mul_f64 v[35:36], v[3:4], v[29:30]
	v_mul_f64 v[29:30], v[29:30], 0.5
	v_fma_f64 v[37:38], -v[29:30], v[35:36], 0.5
	v_fma_f64 v[35:36], v[35:36], v[37:38], v[35:36]
	v_fma_f64 v[29:30], v[29:30], v[37:38], v[29:30]
	v_fma_f64 v[37:38], -v[35:36], v[35:36], v[3:4]
	v_fma_f64 v[35:36], v[37:38], v[29:30], v[35:36]
	v_fma_f64 v[37:38], -v[35:36], v[35:36], v[3:4]
	v_fma_f64 v[29:30], v[37:38], v[29:30], v[35:36]
	v_cndmask_b32_e32 v35, 0, v53, vcc
	v_cmp_class_f64_e32 vcc, v[3:4], v51
	v_ldexp_f64 v[29:30], v[29:30], v35
	v_cndmask_b32_e32 v4, v30, v4, vcc
	v_cndmask_b32_e32 v3, v29, v3, vcc
	v_mul_f64 v[35:36], v[1:2], v[3:4]
.LBB133_17:                             ;   in Loop: Header=BB133_10 Depth=1
	s_or_b64 exec, exec, s[8:9]
	v_mul_f64 v[1:2], v[35:36], v[35:36]
	v_mov_b32_e32 v3, 0
	v_mov_b32_e32 v29, 0
	;; [unrolled: 1-line block ×4, first 2 shown]
	v_cmp_nlt_f64_e32 vcc, v[1:2], v[25:26]
	v_mov_b32_e32 v1, 0
	v_mov_b32_e32 v2, 0
	s_and_saveexec_b64 s[26:27], vcc
	s_cbranch_execz .LBB133_35
; %bb.18:                               ;   in Loop: Header=BB133_10 Depth=1
	v_add_u32_e32 v3, v57, v56
	v_ashrrev_i32_e32 v4, 31, v3
	v_lshlrev_b64 v[3:4], 4, v[3:4]
	v_mov_b32_e32 v29, s34
	v_add_co_u32_e32 v3, vcc, s18, v3
	v_addc_co_u32_e32 v4, vcc, v29, v4, vcc
	global_load_dwordx2 v[29:30], v[15:16], off
	s_nop 0
	global_load_dwordx2 v[3:4], v[3:4], off
	v_add_f64 v[1:2], v[35:36], v[35:36]
	v_cmp_class_f64_e64 s[28:29], v[1:2], s35
	s_waitcnt vmcnt(0)
	v_add_f64 v[3:4], v[3:4], -v[29:30]
	v_max_f64 v[29:30], |v[3:4]|, |v[1:2]|
	v_cmp_ngt_f64_e32 vcc, 0, v[3:4]
	v_frexp_exp_i32_f64_e32 v37, v[29:30]
	v_sub_u32_e32 v38, 0, v37
	v_ldexp_f64 v[29:30], |v[3:4]|, v38
	v_ldexp_f64 v[38:39], |v[1:2]|, v38
	v_mul_f64 v[38:39], v[38:39], v[38:39]
	v_fma_f64 v[29:30], v[29:30], v[29:30], v[38:39]
	v_rsq_f64_e32 v[38:39], v[29:30]
	v_cmp_eq_f64_e64 s[8:9], 0, v[29:30]
	v_mul_f64 v[59:60], v[29:30], v[38:39]
	v_mul_f64 v[38:39], v[38:39], 0.5
	v_fma_f64 v[61:62], -v[38:39], v[59:60], 0.5
	v_fma_f64 v[59:60], v[59:60], v[61:62], v[59:60]
	v_fma_f64 v[38:39], v[38:39], v[61:62], v[38:39]
	v_fma_f64 v[61:62], -v[59:60], v[59:60], v[29:30]
	v_fma_f64 v[38:39], v[61:62], v[38:39], v[59:60]
	v_cndmask_b32_e64 v30, v39, v30, s[8:9]
	v_cndmask_b32_e64 v29, v38, v29, s[8:9]
	v_cmp_class_f64_e64 s[8:9], v[3:4], s35
                                        ; implicit-def: $vgpr39_vgpr40
	s_and_saveexec_b64 s[30:31], vcc
	s_xor_b64 s[30:31], exec, s[30:31]
	s_cbranch_execz .LBB133_20
; %bb.19:                               ;   in Loop: Header=BB133_10 Depth=1
	v_ldexp_f64 v[29:30], v[29:30], v37
	v_cmp_o_f64_e32 vcc, v[3:4], v[1:2]
	v_mov_b32_e32 v37, 0x7ff80000
	v_mov_b32_e32 v38, 0x7ff00000
	v_cndmask_b32_e32 v29, 0, v29, vcc
	v_cndmask_b32_e32 v30, v37, v30, vcc
	s_or_b64 vcc, s[28:29], s[8:9]
	v_cndmask_b32_e32 v40, v30, v38, vcc
	v_cndmask_b32_e64 v39, v29, 0, vcc
                                        ; implicit-def: $vgpr29_vgpr30
                                        ; implicit-def: $vgpr37
.LBB133_20:                             ;   in Loop: Header=BB133_10 Depth=1
	s_andn2_saveexec_b64 s[30:31], s[30:31]
	s_cbranch_execz .LBB133_22
; %bb.21:                               ;   in Loop: Header=BB133_10 Depth=1
	v_ldexp_f64 v[29:30], -v[29:30], v37
	v_cmp_o_f64_e32 vcc, v[1:2], v[1:2]
	v_cndmask_b32_e32 v29, 0, v29, vcc
	v_cndmask_b32_e32 v30, v54, v30, vcc
	s_or_b64 vcc, s[28:29], s[8:9]
	v_cndmask_b32_e32 v40, v30, v55, vcc
	v_cndmask_b32_e64 v39, v29, 0, vcc
.LBB133_22:                             ;   in Loop: Header=BB133_10 Depth=1
	s_or_b64 exec, exec, s[30:31]
	v_cmp_neq_f64_e32 vcc, 0, v[1:2]
	v_mov_b32_e32 v37, 0
	v_mov_b32_e32 v29, 0
	;; [unrolled: 1-line block ×4, first 2 shown]
	s_and_saveexec_b64 s[8:9], vcc
	s_cbranch_execz .LBB133_30
; %bb.23:                               ;   in Loop: Header=BB133_10 Depth=1
	v_add_f64 v[3:4], v[3:4], v[39:40]
	v_mov_b32_e32 v29, 0
	v_mov_b32_e32 v37, 0
	;; [unrolled: 1-line block ×4, first 2 shown]
	v_cmp_neq_f64_e32 vcc, 0, v[3:4]
	s_and_saveexec_b64 s[28:29], vcc
	s_cbranch_execz .LBB133_29
; %bb.24:                               ;   in Loop: Header=BB133_10 Depth=1
	v_cmp_ngt_f64_e64 s[30:31], |v[1:2]|, |v[3:4]|
                                        ; implicit-def: $vgpr29_vgpr30
                                        ; implicit-def: $vgpr37_vgpr38
	s_and_saveexec_b64 s[38:39], s[30:31]
	s_xor_b64 s[30:31], exec, s[38:39]
	s_cbranch_execz .LBB133_26
; %bb.25:                               ;   in Loop: Header=BB133_10 Depth=1
	v_div_scale_f64 v[29:30], s[38:39], v[3:4], v[3:4], -v[1:2]
	v_rcp_f64_e32 v[37:38], v[29:30]
	v_fma_f64 v[39:40], -v[29:30], v[37:38], 1.0
	v_fma_f64 v[37:38], v[37:38], v[39:40], v[37:38]
	v_div_scale_f64 v[39:40], vcc, -v[1:2], v[3:4], -v[1:2]
	v_fma_f64 v[59:60], -v[29:30], v[37:38], 1.0
	v_fma_f64 v[37:38], v[37:38], v[59:60], v[37:38]
	v_mul_f64 v[59:60], v[39:40], v[37:38]
	v_fma_f64 v[29:30], -v[29:30], v[59:60], v[39:40]
	v_div_fmas_f64 v[29:30], v[29:30], v[37:38], v[59:60]
	v_div_fixup_f64 v[1:2], v[29:30], v[3:4], -v[1:2]
	v_fma_f64 v[3:4], v[1:2], v[1:2], 1.0
	v_cmp_gt_f64_e32 vcc, s[16:17], v[3:4]
	v_cndmask_b32_e32 v29, 0, v52, vcc
	v_ldexp_f64 v[3:4], v[3:4], v29
	v_rsq_f64_e32 v[29:30], v[3:4]
	v_mul_f64 v[37:38], v[3:4], v[29:30]
	v_mul_f64 v[29:30], v[29:30], 0.5
	v_fma_f64 v[39:40], -v[29:30], v[37:38], 0.5
	v_fma_f64 v[37:38], v[37:38], v[39:40], v[37:38]
	v_fma_f64 v[29:30], v[29:30], v[39:40], v[29:30]
	v_fma_f64 v[39:40], -v[37:38], v[37:38], v[3:4]
	v_fma_f64 v[37:38], v[39:40], v[29:30], v[37:38]
	v_fma_f64 v[39:40], -v[37:38], v[37:38], v[3:4]
	v_fma_f64 v[29:30], v[39:40], v[29:30], v[37:38]
	v_cndmask_b32_e32 v37, 0, v53, vcc
	v_cmp_class_f64_e32 vcc, v[3:4], v51
	v_ldexp_f64 v[29:30], v[29:30], v37
	v_cndmask_b32_e32 v4, v30, v4, vcc
	v_cndmask_b32_e32 v3, v29, v3, vcc
	v_div_scale_f64 v[29:30], s[38:39], v[3:4], v[3:4], 1.0
	v_div_scale_f64 v[59:60], vcc, 1.0, v[3:4], 1.0
	v_rcp_f64_e32 v[37:38], v[29:30]
	v_fma_f64 v[39:40], -v[29:30], v[37:38], 1.0
	v_fma_f64 v[37:38], v[37:38], v[39:40], v[37:38]
	v_fma_f64 v[39:40], -v[29:30], v[37:38], 1.0
	v_fma_f64 v[37:38], v[37:38], v[39:40], v[37:38]
	v_mul_f64 v[39:40], v[59:60], v[37:38]
	v_fma_f64 v[29:30], -v[29:30], v[39:40], v[59:60]
	v_div_fmas_f64 v[29:30], v[29:30], v[37:38], v[39:40]
	v_div_fixup_f64 v[29:30], v[29:30], v[3:4], 1.0
                                        ; implicit-def: $vgpr3_vgpr4
	v_mul_f64 v[37:38], v[1:2], v[29:30]
                                        ; implicit-def: $vgpr1_vgpr2
.LBB133_26:                             ;   in Loop: Header=BB133_10 Depth=1
	s_andn2_saveexec_b64 s[30:31], s[30:31]
	s_cbranch_execz .LBB133_28
; %bb.27:                               ;   in Loop: Header=BB133_10 Depth=1
	v_div_scale_f64 v[29:30], s[38:39], v[1:2], v[1:2], -v[3:4]
	v_rcp_f64_e32 v[37:38], v[29:30]
	v_fma_f64 v[39:40], -v[29:30], v[37:38], 1.0
	v_fma_f64 v[37:38], v[37:38], v[39:40], v[37:38]
	v_div_scale_f64 v[39:40], vcc, -v[3:4], v[1:2], -v[3:4]
	v_fma_f64 v[59:60], -v[29:30], v[37:38], 1.0
	v_fma_f64 v[37:38], v[37:38], v[59:60], v[37:38]
	v_mul_f64 v[59:60], v[39:40], v[37:38]
	v_fma_f64 v[29:30], -v[29:30], v[59:60], v[39:40]
	v_div_fmas_f64 v[29:30], v[29:30], v[37:38], v[59:60]
	v_div_fixup_f64 v[1:2], v[29:30], v[1:2], -v[3:4]
	v_fma_f64 v[3:4], v[1:2], v[1:2], 1.0
	v_cmp_gt_f64_e32 vcc, s[16:17], v[3:4]
	v_cndmask_b32_e32 v29, 0, v52, vcc
	v_ldexp_f64 v[3:4], v[3:4], v29
	v_rsq_f64_e32 v[29:30], v[3:4]
	v_mul_f64 v[37:38], v[3:4], v[29:30]
	v_mul_f64 v[29:30], v[29:30], 0.5
	v_fma_f64 v[39:40], -v[29:30], v[37:38], 0.5
	v_fma_f64 v[37:38], v[37:38], v[39:40], v[37:38]
	v_fma_f64 v[29:30], v[29:30], v[39:40], v[29:30]
	v_fma_f64 v[39:40], -v[37:38], v[37:38], v[3:4]
	v_fma_f64 v[37:38], v[39:40], v[29:30], v[37:38]
	v_fma_f64 v[39:40], -v[37:38], v[37:38], v[3:4]
	v_fma_f64 v[29:30], v[39:40], v[29:30], v[37:38]
	v_cndmask_b32_e32 v37, 0, v53, vcc
	v_cmp_class_f64_e32 vcc, v[3:4], v51
	v_ldexp_f64 v[29:30], v[29:30], v37
	v_cndmask_b32_e32 v4, v30, v4, vcc
	v_cndmask_b32_e32 v3, v29, v3, vcc
	v_div_scale_f64 v[29:30], s[38:39], v[3:4], v[3:4], 1.0
	v_div_scale_f64 v[59:60], vcc, 1.0, v[3:4], 1.0
	v_rcp_f64_e32 v[37:38], v[29:30]
	v_fma_f64 v[39:40], -v[29:30], v[37:38], 1.0
	v_fma_f64 v[37:38], v[37:38], v[39:40], v[37:38]
	v_fma_f64 v[39:40], -v[29:30], v[37:38], 1.0
	v_fma_f64 v[37:38], v[37:38], v[39:40], v[37:38]
	v_mul_f64 v[39:40], v[59:60], v[37:38]
	v_fma_f64 v[29:30], -v[29:30], v[39:40], v[59:60]
	v_div_fmas_f64 v[29:30], v[29:30], v[37:38], v[39:40]
	v_div_fixup_f64 v[37:38], v[29:30], v[3:4], 1.0
	v_mul_f64 v[29:30], v[1:2], v[37:38]
.LBB133_28:                             ;   in Loop: Header=BB133_10 Depth=1
	s_or_b64 exec, exec, s[30:31]
.LBB133_29:                             ;   in Loop: Header=BB133_10 Depth=1
	s_or_b64 exec, exec, s[28:29]
.LBB133_30:                             ;   in Loop: Header=BB133_10 Depth=1
	s_or_b64 exec, exec, s[8:9]
	v_mul_f64 v[5:6], v[5:6], v[37:38]
	v_mul_f64 v[7:8], v[7:8], v[37:38]
	v_cmp_lg_f64_e32 vcc, 0, v[35:36]
                                        ; implicit-def: $vgpr3_vgpr4
	s_and_saveexec_b64 s[8:9], vcc
	s_xor_b64 s[8:9], exec, s[8:9]
	s_cbranch_execz .LBB133_32
; %bb.31:                               ;   in Loop: Header=BB133_10 Depth=1
	v_div_scale_f64 v[1:2], s[28:29], v[35:36], v[35:36], 0
	v_rcp_f64_e32 v[3:4], v[1:2]
	v_fma_f64 v[37:38], -v[1:2], v[3:4], 1.0
	v_fma_f64 v[3:4], v[3:4], v[37:38], v[3:4]
	v_div_scale_f64 v[37:38], vcc, 0, v[35:36], 0
	v_fma_f64 v[39:40], -v[1:2], v[3:4], 1.0
	v_fma_f64 v[3:4], v[3:4], v[39:40], v[3:4]
	v_mul_f64 v[39:40], v[37:38], v[3:4]
	v_fma_f64 v[1:2], -v[1:2], v[39:40], v[37:38]
	v_div_fmas_f64 v[1:2], v[1:2], v[3:4], v[39:40]
	v_div_fixup_f64 v[1:2], v[1:2], v[35:36], 0
	v_fma_f64 v[3:4], v[1:2], 0, v[35:36]
	v_div_scale_f64 v[35:36], s[28:29], v[3:4], v[3:4], 1.0
	v_rcp_f64_e32 v[37:38], v[35:36]
	v_fma_f64 v[39:40], -v[35:36], v[37:38], 1.0
	v_fma_f64 v[37:38], v[37:38], v[39:40], v[37:38]
	v_div_scale_f64 v[39:40], vcc, 1.0, v[3:4], 1.0
	v_fma_f64 v[59:60], -v[35:36], v[37:38], 1.0
	v_fma_f64 v[37:38], v[37:38], v[59:60], v[37:38]
	v_mul_f64 v[59:60], v[39:40], v[37:38]
	v_fma_f64 v[35:36], -v[35:36], v[59:60], v[39:40]
	v_div_fmas_f64 v[35:36], v[35:36], v[37:38], v[59:60]
	v_fma_f64 v[37:38], v[1:2], v[7:8], v[5:6]
	v_fma_f64 v[5:6], -v[1:2], v[5:6], v[7:8]
                                        ; implicit-def: $vgpr7_vgpr8
	v_div_fixup_f64 v[3:4], v[35:36], v[3:4], 1.0
                                        ; implicit-def: $vgpr35_vgpr36
	v_mul_f64 v[1:2], v[3:4], v[37:38]
	v_mul_f64 v[3:4], v[3:4], v[5:6]
                                        ; implicit-def: $vgpr5_vgpr6
.LBB133_32:                             ;   in Loop: Header=BB133_10 Depth=1
	s_andn2_saveexec_b64 s[8:9], s[8:9]
	s_cbranch_execz .LBB133_34
; %bb.33:                               ;   in Loop: Header=BB133_10 Depth=1
	v_div_scale_f64 v[1:2], s[28:29], 0, 0, v[35:36]
	v_rcp_f64_e32 v[3:4], v[1:2]
	v_fma_f64 v[37:38], -v[1:2], v[3:4], 1.0
	v_fma_f64 v[3:4], v[3:4], v[37:38], v[3:4]
	v_div_scale_f64 v[37:38], vcc, v[35:36], 0, v[35:36]
	v_fma_f64 v[39:40], -v[1:2], v[3:4], 1.0
	v_fma_f64 v[3:4], v[3:4], v[39:40], v[3:4]
	v_mul_f64 v[39:40], v[37:38], v[3:4]
	v_fma_f64 v[1:2], -v[1:2], v[39:40], v[37:38]
	v_div_fmas_f64 v[1:2], v[1:2], v[3:4], v[39:40]
	v_div_fixup_f64 v[1:2], v[1:2], 0, v[35:36]
	v_fma_f64 v[3:4], v[35:36], v[1:2], 0
	v_div_scale_f64 v[35:36], s[28:29], v[3:4], v[3:4], 1.0
	v_rcp_f64_e32 v[37:38], v[35:36]
	v_fma_f64 v[39:40], -v[35:36], v[37:38], 1.0
	v_fma_f64 v[37:38], v[37:38], v[39:40], v[37:38]
	v_div_scale_f64 v[39:40], vcc, 1.0, v[3:4], 1.0
	v_fma_f64 v[59:60], -v[35:36], v[37:38], 1.0
	v_fma_f64 v[37:38], v[37:38], v[59:60], v[37:38]
	v_mul_f64 v[59:60], v[39:40], v[37:38]
	v_fma_f64 v[35:36], -v[35:36], v[59:60], v[39:40]
	v_div_fmas_f64 v[35:36], v[35:36], v[37:38], v[59:60]
	v_fma_f64 v[37:38], v[1:2], v[5:6], v[7:8]
	v_fma_f64 v[5:6], v[1:2], v[7:8], -v[5:6]
	v_div_fixup_f64 v[3:4], v[35:36], v[3:4], 1.0
	v_mul_f64 v[1:2], v[3:4], v[37:38]
	v_mul_f64 v[3:4], v[3:4], v[5:6]
.LBB133_34:                             ;   in Loop: Header=BB133_10 Depth=1
	s_or_b64 exec, exec, s[8:9]
.LBB133_35:                             ;   in Loop: Header=BB133_10 Depth=1
	s_or_b64 exec, exec, s[26:27]
	ds_write_b64 v49, v[29:30]
	ds_write2_b64 v50, v[1:2], v[3:4] offset1:1
.LBB133_36:                             ;   in Loop: Header=BB133_10 Depth=1
	s_or_b64 exec, exec, s[14:15]
	s_and_b64 s[8:9], s[2:3], s[6:7]
	s_waitcnt vmcnt(0) lgkmcnt(0)
	s_barrier
	s_and_saveexec_b64 s[14:15], s[8:9]
	s_cbranch_execz .LBB133_44
; %bb.37:                               ;   in Loop: Header=BB133_10 Depth=1
	ds_read_b64 v[29:30], v49
	ds_read2_b64 v[1:4], v50 offset1:1
	s_andn2_b64 vcc, exec, s[24:25]
	s_cbranch_vccnz .LBB133_41
; %bb.38:                               ;   in Loop: Header=BB133_10 Depth=1
	v_add_u32_e32 v5, s20, v58
	v_add_u32_e32 v8, v5, v47
	v_lshlrev_b64 v[6:7], 4, v[8:9]
	v_mov_b32_e32 v8, s23
	v_add_co_u32_e32 v6, vcc, s22, v6
	v_addc_co_u32_e32 v7, vcc, v8, v7, vcc
	global_load_dwordx4 v[31:34], v[11:12], off
	global_load_dwordx4 v[35:38], v[6:7], off
	s_waitcnt vmcnt(0) lgkmcnt(0)
	v_mul_f64 v[39:40], v[3:4], v[37:38]
	v_mul_f64 v[58:59], v[3:4], v[35:36]
	v_fma_f64 v[39:40], v[1:2], v[35:36], v[39:40]
	v_fma_f64 v[60:61], v[1:2], v[37:38], -v[58:59]
	v_fma_f64 v[58:59], v[29:30], v[31:32], v[39:40]
	v_mul_f64 v[39:40], v[1:2], v[31:32]
	v_fma_f64 v[60:61], v[29:30], v[33:34], v[60:61]
	v_fma_f64 v[39:40], v[3:4], v[33:34], -v[39:40]
	v_mul_f64 v[33:34], v[1:2], v[33:34]
	global_store_dwordx4 v[11:12], v[58:61], off
	v_fma_f64 v[33:34], v[31:32], -v[3:4], -v[33:34]
	v_fma_f64 v[31:32], v[29:30], v[35:36], v[39:40]
	v_fma_f64 v[33:34], v[29:30], v[37:38], v[33:34]
	global_store_dwordx4 v[6:7], v[31:34], off
	s_and_saveexec_b64 s[26:27], s[4:5]
	s_cbranch_execz .LBB133_40
; %bb.39:                               ;   in Loop: Header=BB133_10 Depth=1
	v_add_u32_e32 v8, v5, v48
	v_lshlrev_b64 v[5:6], 4, v[8:9]
	global_load_dwordx4 v[31:34], v[13:14], off
	v_add_co_u32_e32 v39, vcc, s22, v5
	v_mov_b32_e32 v5, s23
	v_addc_co_u32_e32 v40, vcc, v5, v6, vcc
	global_load_dwordx4 v[5:8], v[39:40], off
	s_waitcnt vmcnt(0)
	v_mul_f64 v[35:36], v[3:4], v[7:8]
	v_mul_f64 v[37:38], v[3:4], v[5:6]
	v_fma_f64 v[35:36], v[1:2], v[5:6], v[35:36]
	v_fma_f64 v[37:38], v[1:2], v[7:8], -v[37:38]
	v_fma_f64 v[35:36], v[29:30], v[31:32], v[35:36]
	v_fma_f64 v[37:38], v[29:30], v[33:34], v[37:38]
	global_store_dwordx4 v[13:14], v[35:38], off
	s_nop 0
	v_mul_f64 v[35:36], v[1:2], v[31:32]
	v_fma_f64 v[35:36], v[3:4], v[33:34], -v[35:36]
	v_mul_f64 v[33:34], v[1:2], v[33:34]
	v_fma_f64 v[5:6], v[29:30], v[5:6], v[35:36]
	v_fma_f64 v[31:32], v[31:32], -v[3:4], -v[33:34]
	v_fma_f64 v[7:8], v[29:30], v[7:8], v[31:32]
	global_store_dwordx4 v[39:40], v[5:8], off
.LBB133_40:                             ;   in Loop: Header=BB133_10 Depth=1
	s_or_b64 exec, exec, s[26:27]
.LBB133_41:                             ;   in Loop: Header=BB133_10 Depth=1
	v_add_u32_e32 v31, v57, v41
	v_ashrrev_i32_e32 v32, 31, v31
	v_lshlrev_b64 v[31:32], 4, v[31:32]
	global_load_dwordx4 v[5:8], v[17:18], off
	v_add_co_u32_e32 v39, vcc, s18, v31
	v_mov_b32_e32 v31, s34
	v_addc_co_u32_e32 v40, vcc, v31, v32, vcc
	global_load_dwordx4 v[31:34], v[39:40], off
	s_waitcnt vmcnt(0) lgkmcnt(0)
	v_mul_f64 v[35:36], v[3:4], v[33:34]
	v_mul_f64 v[37:38], v[3:4], v[31:32]
	v_fma_f64 v[35:36], v[1:2], v[31:32], v[35:36]
	v_fma_f64 v[37:38], v[1:2], v[33:34], -v[37:38]
	v_fma_f64 v[35:36], v[29:30], v[5:6], v[35:36]
	v_fma_f64 v[37:38], v[29:30], v[7:8], v[37:38]
	global_store_dwordx4 v[17:18], v[35:38], off
	s_nop 0
	v_mul_f64 v[35:36], v[1:2], v[5:6]
	v_fma_f64 v[35:36], v[3:4], v[7:8], -v[35:36]
	v_mul_f64 v[7:8], v[1:2], v[7:8]
	v_fma_f64 v[7:8], v[5:6], -v[3:4], -v[7:8]
	v_fma_f64 v[5:6], v[29:30], v[31:32], v[35:36]
	v_fma_f64 v[7:8], v[29:30], v[33:34], v[7:8]
	global_store_dwordx4 v[39:40], v[5:8], off
	s_and_saveexec_b64 s[26:27], s[4:5]
	s_cbranch_execz .LBB133_43
; %bb.42:                               ;   in Loop: Header=BB133_10 Depth=1
	v_add_u32_e32 v31, v57, v42
	v_ashrrev_i32_e32 v32, 31, v31
	v_lshlrev_b64 v[31:32], 4, v[31:32]
	global_load_dwordx4 v[5:8], v[19:20], off
	v_add_co_u32_e32 v39, vcc, s18, v31
	v_mov_b32_e32 v31, s34
	v_addc_co_u32_e32 v40, vcc, v31, v32, vcc
	global_load_dwordx4 v[31:34], v[39:40], off
	s_waitcnt vmcnt(0)
	v_mul_f64 v[35:36], v[3:4], v[33:34]
	v_mul_f64 v[37:38], v[3:4], v[31:32]
	v_fma_f64 v[35:36], v[1:2], v[31:32], v[35:36]
	v_fma_f64 v[37:38], v[1:2], v[33:34], -v[37:38]
	v_fma_f64 v[35:36], v[29:30], v[5:6], v[35:36]
	v_fma_f64 v[37:38], v[29:30], v[7:8], v[37:38]
	global_store_dwordx4 v[19:20], v[35:38], off
	s_nop 0
	v_mul_f64 v[35:36], v[1:2], v[5:6]
	v_fma_f64 v[35:36], v[3:4], v[7:8], -v[35:36]
	v_mul_f64 v[7:8], v[1:2], v[7:8]
	v_fma_f64 v[7:8], v[5:6], -v[3:4], -v[7:8]
	v_fma_f64 v[5:6], v[29:30], v[31:32], v[35:36]
	v_fma_f64 v[7:8], v[29:30], v[33:34], v[7:8]
	global_store_dwordx4 v[39:40], v[5:8], off
.LBB133_43:                             ;   in Loop: Header=BB133_10 Depth=1
	s_or_b64 exec, exec, s[26:27]
	v_mov_b32_e32 v34, v2
	v_xor_b32_e32 v32, 0x80000000, v4
	v_mov_b32_e32 v31, v3
	v_mov_b32_e32 v33, v1
.LBB133_44:                             ;   in Loop: Header=BB133_10 Depth=1
	s_or_b64 exec, exec, s[14:15]
	s_waitcnt vmcnt(0)
	s_barrier
	s_and_saveexec_b64 s[14:15], s[8:9]
	s_cbranch_execz .LBB133_47
; %bb.45:                               ;   in Loop: Header=BB133_10 Depth=1
	v_add_u32_e32 v35, v56, v44
	v_ashrrev_i32_e32 v36, 31, v35
	v_lshlrev_b64 v[35:36], 4, v[35:36]
	global_load_dwordx4 v[5:8], v[21:22], off
	v_add_co_u32_e32 v39, vcc, s18, v35
	v_mov_b32_e32 v35, s34
	v_addc_co_u32_e32 v40, vcc, v35, v36, vcc
	global_load_dwordx4 v[35:38], v[39:40], off
	s_waitcnt vmcnt(0)
	v_mul_f64 v[57:58], v[3:4], v[37:38]
	v_mul_f64 v[59:60], v[1:2], v[37:38]
	v_fma_f64 v[57:58], v[1:2], v[35:36], -v[57:58]
	v_fma_f64 v[59:60], v[3:4], v[35:36], v[59:60]
	v_fma_f64 v[57:58], v[29:30], v[5:6], v[57:58]
	;; [unrolled: 1-line block ×3, first 2 shown]
	global_store_dwordx4 v[21:22], v[57:60], off
	s_nop 0
	v_mul_f64 v[57:58], v[33:34], v[5:6]
	v_fma_f64 v[57:58], v[31:32], v[7:8], -v[57:58]
	v_mul_f64 v[7:8], v[33:34], v[7:8]
	v_fma_f64 v[7:8], v[5:6], -v[31:32], -v[7:8]
	v_fma_f64 v[5:6], v[29:30], v[35:36], v[57:58]
	v_fma_f64 v[7:8], v[29:30], v[37:38], v[7:8]
	global_store_dwordx4 v[39:40], v[5:8], off
	s_and_b64 exec, exec, s[4:5]
	s_cbranch_execz .LBB133_47
; %bb.46:                               ;   in Loop: Header=BB133_10 Depth=1
	v_add_u32_e32 v35, v56, v45
	v_ashrrev_i32_e32 v36, 31, v35
	v_lshlrev_b64 v[35:36], 4, v[35:36]
	global_load_dwordx4 v[5:8], v[23:24], off
	v_add_co_u32_e32 v39, vcc, s18, v35
	v_mov_b32_e32 v35, s34
	v_addc_co_u32_e32 v40, vcc, v35, v36, vcc
	global_load_dwordx4 v[35:38], v[39:40], off
	s_waitcnt vmcnt(0)
	v_mul_f64 v[57:58], v[3:4], v[37:38]
	v_mul_f64 v[59:60], v[1:2], v[37:38]
	v_fma_f64 v[57:58], v[1:2], v[35:36], -v[57:58]
	v_fma_f64 v[59:60], v[3:4], v[35:36], v[59:60]
	v_fma_f64 v[57:58], v[29:30], v[5:6], v[57:58]
	;; [unrolled: 1-line block ×3, first 2 shown]
	global_store_dwordx4 v[23:24], v[57:60], off
	s_nop 0
	v_mul_f64 v[57:58], v[33:34], v[5:6]
	v_fma_f64 v[57:58], v[31:32], v[7:8], -v[57:58]
	v_mul_f64 v[7:8], v[33:34], v[7:8]
	v_fma_f64 v[7:8], v[5:6], -v[31:32], -v[7:8]
	v_fma_f64 v[5:6], v[29:30], v[35:36], v[57:58]
	v_fma_f64 v[7:8], v[29:30], v[37:38], v[7:8]
	global_store_dwordx4 v[39:40], v[5:8], off
.LBB133_47:                             ;   in Loop: Header=BB133_10 Depth=1
	s_or_b64 exec, exec, s[14:15]
	s_and_b64 s[8:9], s[0:1], s[6:7]
	s_waitcnt vmcnt(0)
	s_barrier
	s_and_saveexec_b64 s[6:7], s[8:9]
	s_cbranch_execz .LBB133_9
; %bb.48:                               ;   in Loop: Header=BB133_10 Depth=1
	v_mad_u64_u32 v[5:6], s[8:9], v56, s19, v[10:11]
	v_mov_b32_e32 v37, s34
	s_mov_b32 s13, s12
	v_ashrrev_i32_e32 v6, 31, v5
	v_lshlrev_b64 v[5:6], 4, v[5:6]
	s_mov_b32 s14, s12
	v_add_co_u32_e32 v35, vcc, s18, v5
	v_addc_co_u32_e32 v36, vcc, v37, v6, vcc
	s_mov_b32 s15, s12
	v_mov_b32_e32 v5, s12
	v_mov_b32_e32 v6, s13
	;; [unrolled: 1-line block ×4, first 2 shown]
	global_store_dwordx4 v[35:36], v[5:8], off
	v_add_u32_e32 v35, v56, v43
	v_ashrrev_i32_e32 v36, 31, v35
	v_lshlrev_b64 v[35:36], 4, v[35:36]
	v_add_co_u32_e32 v35, vcc, s18, v35
	v_addc_co_u32_e32 v36, vcc, v37, v36, vcc
	global_store_dwordx4 v[35:36], v[5:8], off
	s_branch .LBB133_9
.LBB133_49:
	s_endpgm
	.section	.rodata,"a",@progbits
	.p2align	6, 0x0
	.amdhsa_kernel _ZN9rocsolver6v33100L21syevj_offd_kernel_orgI19rocblas_complex_numIdEdPS3_EEviiT1_iilT0_PT_PiS9_S9_
		.amdhsa_group_segment_fixed_size 0
		.amdhsa_private_segment_fixed_size 0
		.amdhsa_kernarg_size 328
		.amdhsa_user_sgpr_count 6
		.amdhsa_user_sgpr_private_segment_buffer 1
		.amdhsa_user_sgpr_dispatch_ptr 0
		.amdhsa_user_sgpr_queue_ptr 0
		.amdhsa_user_sgpr_kernarg_segment_ptr 1
		.amdhsa_user_sgpr_dispatch_id 0
		.amdhsa_user_sgpr_flat_scratch_init 0
		.amdhsa_user_sgpr_private_segment_size 0
		.amdhsa_uses_dynamic_stack 0
		.amdhsa_system_sgpr_private_segment_wavefront_offset 0
		.amdhsa_system_sgpr_workgroup_id_x 1
		.amdhsa_system_sgpr_workgroup_id_y 0
		.amdhsa_system_sgpr_workgroup_id_z 1
		.amdhsa_system_sgpr_workgroup_info 0
		.amdhsa_system_vgpr_workitem_id 1
		.amdhsa_next_free_vgpr 63
		.amdhsa_next_free_sgpr 40
		.amdhsa_reserve_vcc 1
		.amdhsa_reserve_flat_scratch 0
		.amdhsa_float_round_mode_32 0
		.amdhsa_float_round_mode_16_64 0
		.amdhsa_float_denorm_mode_32 3
		.amdhsa_float_denorm_mode_16_64 3
		.amdhsa_dx10_clamp 1
		.amdhsa_ieee_mode 1
		.amdhsa_fp16_overflow 0
		.amdhsa_exception_fp_ieee_invalid_op 0
		.amdhsa_exception_fp_denorm_src 0
		.amdhsa_exception_fp_ieee_div_zero 0
		.amdhsa_exception_fp_ieee_overflow 0
		.amdhsa_exception_fp_ieee_underflow 0
		.amdhsa_exception_fp_ieee_inexact 0
		.amdhsa_exception_int_div_zero 0
	.end_amdhsa_kernel
	.section	.text._ZN9rocsolver6v33100L21syevj_offd_kernel_orgI19rocblas_complex_numIdEdPS3_EEviiT1_iilT0_PT_PiS9_S9_,"axG",@progbits,_ZN9rocsolver6v33100L21syevj_offd_kernel_orgI19rocblas_complex_numIdEdPS3_EEviiT1_iilT0_PT_PiS9_S9_,comdat
.Lfunc_end133:
	.size	_ZN9rocsolver6v33100L21syevj_offd_kernel_orgI19rocblas_complex_numIdEdPS3_EEviiT1_iilT0_PT_PiS9_S9_, .Lfunc_end133-_ZN9rocsolver6v33100L21syevj_offd_kernel_orgI19rocblas_complex_numIdEdPS3_EEviiT1_iilT0_PT_PiS9_S9_
                                        ; -- End function
	.set _ZN9rocsolver6v33100L21syevj_offd_kernel_orgI19rocblas_complex_numIdEdPS3_EEviiT1_iilT0_PT_PiS9_S9_.num_vgpr, 63
	.set _ZN9rocsolver6v33100L21syevj_offd_kernel_orgI19rocblas_complex_numIdEdPS3_EEviiT1_iilT0_PT_PiS9_S9_.num_agpr, 0
	.set _ZN9rocsolver6v33100L21syevj_offd_kernel_orgI19rocblas_complex_numIdEdPS3_EEviiT1_iilT0_PT_PiS9_S9_.numbered_sgpr, 40
	.set _ZN9rocsolver6v33100L21syevj_offd_kernel_orgI19rocblas_complex_numIdEdPS3_EEviiT1_iilT0_PT_PiS9_S9_.num_named_barrier, 0
	.set _ZN9rocsolver6v33100L21syevj_offd_kernel_orgI19rocblas_complex_numIdEdPS3_EEviiT1_iilT0_PT_PiS9_S9_.private_seg_size, 0
	.set _ZN9rocsolver6v33100L21syevj_offd_kernel_orgI19rocblas_complex_numIdEdPS3_EEviiT1_iilT0_PT_PiS9_S9_.uses_vcc, 1
	.set _ZN9rocsolver6v33100L21syevj_offd_kernel_orgI19rocblas_complex_numIdEdPS3_EEviiT1_iilT0_PT_PiS9_S9_.uses_flat_scratch, 0
	.set _ZN9rocsolver6v33100L21syevj_offd_kernel_orgI19rocblas_complex_numIdEdPS3_EEviiT1_iilT0_PT_PiS9_S9_.has_dyn_sized_stack, 0
	.set _ZN9rocsolver6v33100L21syevj_offd_kernel_orgI19rocblas_complex_numIdEdPS3_EEviiT1_iilT0_PT_PiS9_S9_.has_recursion, 0
	.set _ZN9rocsolver6v33100L21syevj_offd_kernel_orgI19rocblas_complex_numIdEdPS3_EEviiT1_iilT0_PT_PiS9_S9_.has_indirect_call, 0
	.section	.AMDGPU.csdata,"",@progbits
; Kernel info:
; codeLenInByte = 4580
; TotalNumSgprs: 44
; NumVgprs: 63
; ScratchSize: 0
; MemoryBound: 0
; FloatMode: 240
; IeeeMode: 1
; LDSByteSize: 0 bytes/workgroup (compile time only)
; SGPRBlocks: 5
; VGPRBlocks: 15
; NumSGPRsForWavesPerEU: 44
; NumVGPRsForWavesPerEU: 63
; Occupancy: 4
; WaveLimiterHint : 0
; COMPUTE_PGM_RSRC2:SCRATCH_EN: 0
; COMPUTE_PGM_RSRC2:USER_SGPR: 6
; COMPUTE_PGM_RSRC2:TRAP_HANDLER: 0
; COMPUTE_PGM_RSRC2:TGID_X_EN: 1
; COMPUTE_PGM_RSRC2:TGID_Y_EN: 0
; COMPUTE_PGM_RSRC2:TGID_Z_EN: 1
; COMPUTE_PGM_RSRC2:TIDIG_COMP_CNT: 1
	.section	.text._ZN9rocsolver6v33100L17syevj_offd_kernelI19rocblas_complex_numIdEdPS3_EEviiT1_iilT0_PT_PiS9_S9_i,"axG",@progbits,_ZN9rocsolver6v33100L17syevj_offd_kernelI19rocblas_complex_numIdEdPS3_EEviiT1_iilT0_PT_PiS9_S9_i,comdat
	.globl	_ZN9rocsolver6v33100L17syevj_offd_kernelI19rocblas_complex_numIdEdPS3_EEviiT1_iilT0_PT_PiS9_S9_i ; -- Begin function _ZN9rocsolver6v33100L17syevj_offd_kernelI19rocblas_complex_numIdEdPS3_EEviiT1_iilT0_PT_PiS9_S9_i
	.p2align	8
	.type	_ZN9rocsolver6v33100L17syevj_offd_kernelI19rocblas_complex_numIdEdPS3_EEviiT1_iilT0_PT_PiS9_S9_i,@function
_ZN9rocsolver6v33100L17syevj_offd_kernelI19rocblas_complex_numIdEdPS3_EEviiT1_iilT0_PT_PiS9_S9_i: ; @_ZN9rocsolver6v33100L17syevj_offd_kernelI19rocblas_complex_numIdEdPS3_EEviiT1_iilT0_PT_PiS9_S9_i
; %bb.0:
	s_mov_b32 s28, s7
	s_load_dwordx2 s[30:31], s[4:5], 0x0
	s_load_dword s7, s[4:5], 0x48
	s_waitcnt lgkmcnt(0)
	s_abs_i32 s2, s30
	v_cvt_f32_u32_e32 v2, s2
	s_cmp_ge_u32 s28, s7
	v_rcp_iflag_f32_e32 v2, v2
	v_mul_f32_e32 v2, 0x4f7ffffe, v2
	v_cvt_u32_f32_e32 v2, v2
	v_readfirstlane_b32 s3, v2
	s_cbranch_scc1 .LBB134_92
; %bb.1:
	s_load_dwordx8 s[12:19], s[4:5], 0x18
	v_mov_b32_e32 v2, 0
	v_mov_b32_e32 v3, 0x100000
	v_cvt_f32_u32_e32 v10, s30
	s_load_dwordx4 s[8:11], s[4:5], 0x8
	s_load_dwordx4 s[24:27], s[4:5], 0x38
	s_load_dword s33, s[4:5], 0x50
	s_load_dwordx2 s[34:35], s[4:5], 0x58
	s_waitcnt lgkmcnt(0)
	v_div_scale_f64 v[4:5], s[0:1], s[14:15], s[14:15], v[2:3]
	s_mov_b32 s4, 0
	v_rcp_iflag_f32_e32 v14, v10
	v_mov_b32_e32 v10, s14
	s_mov_b32 s5, 0x100000
	v_mov_b32_e32 v11, s15
	v_div_scale_f64 v[10:11], vcc, s[4:5], v[10:11], s[4:5]
	s_sub_i32 s29, 0, s2
	s_add_i32 s22, s31, -1
	s_mul_i32 s29, s29, s3
	s_ashr_i32 s39, s22, 31
	s_abs_i32 s40, s22
	s_mul_hi_u32 s22, s3, s29
	s_add_i32 s3, s3, s22
	v_rcp_f64_e32 v[8:9], v[4:5]
	s_mul_hi_u32 s3, s40, s3
	s_mul_i32 s29, s3, s2
	s_ashr_i32 s23, s30, 31
	s_sub_i32 s29, s40, s29
	s_xor_b32 s23, s39, s23
	s_add_i32 s39, s3, 1
	s_sub_i32 s4, s29, s2
	s_cmp_ge_u32 s29, s2
	s_cselect_b32 s3, s39, s3
	s_cselect_b32 s4, s4, s29
	s_add_i32 s5, s3, 1
	s_cmp_ge_u32 s4, s2
	s_cselect_b32 s2, s5, s3
	s_lshl_b32 s3, s30, 3
	s_xor_b32 s5, s2, s23
	v_fma_f64 v[12:13], -v[4:5], v[8:9], 1.0
	s_lshl_b32 s4, s30, 4
	s_add_i32 s29, s3, 0
	s_sub_i32 s64, s5, s23
	s_add_i32 s65, s29, s4
	s_add_i32 s4, s64, 1
	s_lshr_b32 s5, s4, 31
	s_add_i32 s5, s4, s5
	v_fma_f64 v[8:9], v[8:9], v[12:13], v[8:9]
	s_and_b32 s5, s5, -2
	s_sub_i32 s5, s4, s5
	s_add_i32 s4, s5, s4
	s_lshl_b32 s63, s30, 1
	s_lshr_b32 s5, s4, 31
	s_mul_hi_i32 s3, s63, s63
	s_mul_i32 s2, s63, s63
	v_fma_f64 v[12:13], -v[4:5], v[8:9], 1.0
	s_add_i32 s4, s4, s5
	s_mul_i32 s37, s30, 24
	s_lshr_b32 s62, s35, 16
	s_and_b32 s35, s35, 0xffff
	s_lshl_b64 s[2:3], s[2:3], 4
	s_ashr_i32 s66, s4, 1
	s_mul_hi_i32 s36, s30, 24
	v_fma_f64 v[8:9], v[8:9], v[12:13], v[8:9]
	s_mul_i32 s38, s30, s30
	s_add_u32 s4, s2, s37
	s_addc_u32 s5, s3, s36
	s_ashr_i32 s23, s10, 31
	s_lshl_b32 s67, s38, 2
	s_mul_i32 s39, s64, s30
	s_cmp_lt_u32 s6, s66
	v_mul_f64 v[12:13], v[10:11], v[8:9]
	s_cselect_b64 s[36:37], -1, 0
	s_sub_i32 s68, s31, s39
	v_mul_f32_e32 v14, 0x4f7ffffe, v14
	s_cmp_lg_u64 s[16:17], 0
	s_mov_b32 s22, s10
	v_cvt_u32_f32_e32 v14, v14
	s_cselect_b64 s[38:39], -1, 0
	v_fma_f64 v[4:5], -v[4:5], v[12:13], v[10:11]
	s_cmp_gt_i32 s30, 0
	s_cselect_b64 s[40:41], -1, 0
	s_ashr_i32 s69, s11, 31
	s_lshl_b64 s[2:3], s[22:23], 4
	s_add_u32 s70, s8, s2
	s_addc_u32 s71, s9, s3
	s_sub_i32 s72, 0, s30
	v_div_fmas_f64 v[4:5], v[4:5], v[8:9], v[12:13]
	v_mul_lo_u32 v8, s72, v14
	v_mul_lo_u32 v9, v1, s30
	v_mov_b32_e32 v6, 0x10001
	v_mov_b32_e32 v7, 0
	v_mul_hi_u32 v8, v14, v8
	s_mov_b64 s[20:21], src_shared_base
	v_cmp_lt_u64_e64 s[4:5], s[4:5], v[6:7]
	s_mul_i32 s8, s30, s62
	v_add_u32_e32 v23, v14, v8
	s_mov_b32 s20, 0
	v_cmp_gt_u32_e64 s[0:1], s30, v1
	v_cmp_gt_u32_e64 s[2:3], s30, v0
	s_mov_b32 s73, s21
	v_lshlrev_b32_e32 v22, 1, v9
	s_mov_b32 s74, s11
	v_div_fixup_f64 v[14:15], v[4:5], s[14:15], v[2:3]
	v_add_u32_e32 v2, s30, v1
	v_mul_lo_u32 v2, s30, v2
	s_mov_b32 s14, 0
	s_lshl_b32 s75, s8, 1
	v_lshl_add_u32 v24, v0, 3, 0
	s_lshl_b32 s76, s35, 3
	v_lshl_add_u32 v25, v0, 4, s29
	;; [unrolled: 2-line block ×3, first 2 shown]
	s_brev_b32 s15, 8
	v_mov_b32_e32 v27, 0x260
	s_movk_i32 s78, 0x204
	v_mov_b32_e32 v28, 0x3ff00000
	v_mov_b32_e32 v29, 0x100
	;; [unrolled: 1-line block ×8, first 2 shown]
	s_branch .LBB134_3
.LBB134_2:                              ;   in Loop: Header=BB134_3 Depth=1
	s_add_i32 s28, s28, s34
	s_cmp_ge_u32 s28, s7
	s_cbranch_scc1 .LBB134_92
.LBB134_3:                              ; =>This Loop Header: Depth=1
                                        ;     Child Loop BB134_8 Depth 2
                                        ;       Child Loop BB134_16 Depth 3
                                        ;         Child Loop BB134_18 Depth 4
                                        ;       Child Loop BB134_23 Depth 3
                                        ;         Child Loop BB134_26 Depth 4
                                        ;           Child Loop BB134_31 Depth 5
                                        ;         Child Loop BB134_58 Depth 4
                                        ;           Child Loop BB134_61 Depth 5
	;; [unrolled: 2-line block ×4, first 2 shown]
                                        ;       Child Loop BB134_89 Depth 3
                                        ;         Child Loop BB134_91 Depth 4
	s_mov_b32 s29, s20
	s_lshl_b64 s[8:9], s[28:29], 2
	s_add_u32 s8, s26, s8
	s_addc_u32 s9, s27, s9
	global_load_dword v2, v5, s[8:9] offset:4
	s_waitcnt vmcnt(0)
	v_cmp_ne_u32_e32 vcc, 0, v2
	s_cbranch_vccnz .LBB134_2
; %bb.4:                                ;   in Loop: Header=BB134_3 Depth=1
	s_andn2_b64 vcc, exec, s[36:37]
	s_cbranch_vccnz .LBB134_2
; %bb.5:                                ;   in Loop: Header=BB134_3 Depth=1
	s_mul_i32 s8, s13, s28
	s_mul_hi_u32 s9, s12, s28
	s_add_i32 s9, s9, s8
	s_mul_i32 s8, s12, s28
	s_lshl_b64 s[8:9], s[8:9], 4
	s_add_u32 s29, s70, s8
	s_addc_u32 s79, s71, s9
	s_mul_i32 s80, s28, s66
	s_mov_b32 s42, s6
	s_branch .LBB134_8
.LBB134_6:                              ;   in Loop: Header=BB134_8 Depth=2
	s_or_b64 exec, exec, s[10:11]
	s_waitcnt vmcnt(0)
	s_barrier
.LBB134_7:                              ;   in Loop: Header=BB134_8 Depth=2
	s_add_i32 s42, s42, s33
	s_cmp_lt_u32 s42, s66
	s_cbranch_scc0 .LBB134_2
.LBB134_8:                              ;   Parent Loop BB134_3 Depth=1
                                        ; =>  This Loop Header: Depth=2
                                        ;       Child Loop BB134_16 Depth 3
                                        ;         Child Loop BB134_18 Depth 4
                                        ;       Child Loop BB134_23 Depth 3
                                        ;         Child Loop BB134_26 Depth 4
                                        ;           Child Loop BB134_31 Depth 5
                                        ;         Child Loop BB134_58 Depth 4
                                        ;           Child Loop BB134_61 Depth 5
	;; [unrolled: 2-line block ×4, first 2 shown]
                                        ;       Child Loop BB134_89 Depth 3
                                        ;         Child Loop BB134_91 Depth 4
	s_mov_b32 s43, s20
	s_lshl_b64 s[8:9], s[42:43], 2
	s_add_u32 s10, s18, s8
	s_addc_u32 s11, s19, s9
	s_add_u32 s8, s24, s8
	s_addc_u32 s9, s25, s9
	global_load_dword v2, v5, s[10:11]
	global_load_dword v3, v5, s[8:9]
	s_waitcnt vmcnt(1)
	v_readfirstlane_b32 s8, v2
	s_waitcnt vmcnt(0)
	v_readfirstlane_b32 s9, v3
	s_max_i32 s82, s8, s9
	s_cmp_gt_i32 s82, s64
	s_cbranch_scc1 .LBB134_7
; %bb.9:                                ;   in Loop: Header=BB134_8 Depth=2
	s_andn2_b64 vcc, exec, s[38:39]
	s_cbranch_vccnz .LBB134_11
; %bb.10:                               ;   in Loop: Header=BB134_8 Depth=2
	s_add_i32 s8, s42, s80
	s_mul_i32 s8, s67, s8
	s_mov_b32 s9, s20
	s_lshl_b64 s[8:9], s[8:9], 4
	s_add_u32 s44, s16, s8
	s_addc_u32 s45, s17, s9
	s_branch .LBB134_12
.LBB134_11:                             ;   in Loop: Header=BB134_8 Depth=2
	s_mov_b64 s[44:45], 0
.LBB134_12:                             ;   in Loop: Header=BB134_8 Depth=2
	v_min_i32_e32 v6, v3, v2
	v_mov_b32_e32 v2, s30
	v_mov_b32_e32 v3, s68
	v_cmp_eq_u32_e32 vcc, s64, v6
	s_cmp_eq_u32 s82, s64
	v_cndmask_b32_e32 v2, v2, v3, vcc
	s_cselect_b32 s8, s68, s30
	v_add_u32_e32 v35, s8, v2
	s_and_b64 s[8:9], s[4:5], exec
	s_cselect_b32 s43, s73, s45
	s_cselect_b32 s81, s65, s44
	s_cmp_lg_u64 s[44:45], 0
	s_cselect_b64 s[46:47], -1, 0
	s_cmp_eq_u64 s[44:45], 0
	v_cmp_lt_u32_e32 vcc, v1, v35
	s_cbranch_scc1 .LBB134_20
; %bb.13:                               ;   in Loop: Header=BB134_8 Depth=2
	s_barrier
	s_and_saveexec_b64 s[10:11], vcc
	s_cbranch_execz .LBB134_19
; %bb.14:                               ;   in Loop: Header=BB134_8 Depth=2
	v_cmp_lt_u32_e32 vcc, v0, v35
	s_mov_b64 s[22:23], 0
	v_mov_b32_e32 v7, v22
	v_mov_b32_e32 v8, v1
	s_branch .LBB134_16
.LBB134_15:                             ;   in Loop: Header=BB134_16 Depth=3
	s_or_b64 exec, exec, s[48:49]
	v_add_u32_e32 v8, s62, v8
	v_cmp_ge_u32_e64 s[8:9], v8, v35
	s_or_b64 s[22:23], s[8:9], s[22:23]
	v_add_u32_e32 v7, s75, v7
	s_andn2_b64 exec, exec, s[22:23]
	s_cbranch_execz .LBB134_19
.LBB134_16:                             ;   Parent Loop BB134_3 Depth=1
                                        ;     Parent Loop BB134_8 Depth=2
                                        ; =>    This Loop Header: Depth=3
                                        ;         Child Loop BB134_18 Depth 4
	s_and_saveexec_b64 s[48:49], vcc
	s_cbranch_execz .LBB134_15
; %bb.17:                               ;   in Loop: Header=BB134_16 Depth=3
	s_mov_b64 s[50:51], 0
	v_mov_b32_e32 v9, v0
.LBB134_18:                             ;   Parent Loop BB134_3 Depth=1
                                        ;     Parent Loop BB134_8 Depth=2
                                        ;       Parent Loop BB134_16 Depth=3
                                        ; =>      This Inner Loop Header: Depth=4
	v_add_u32_e32 v4, v7, v9
	v_cmp_eq_u32_e64 s[8:9], v8, v9
	v_add_u32_e32 v9, s35, v9
	v_lshlrev_b64 v[10:11], 4, v[4:5]
	v_cndmask_b32_e64 v3, 0, v28, s[8:9]
	v_cmp_ge_u32_e64 s[8:9], v9, v35
	v_mov_b32_e32 v12, s43
	s_or_b64 s[50:51], s[8:9], s[50:51]
	v_add_co_u32_e64 v10, s[8:9], s81, v10
	v_mov_b32_e32 v2, v5
	v_mov_b32_e32 v4, v5
	v_addc_co_u32_e64 v11, s[8:9], v12, v11, s[8:9]
	flat_store_dwordx4 v[10:11], v[2:5]
	s_andn2_b64 exec, exec, s[50:51]
	s_cbranch_execnz .LBB134_18
	s_branch .LBB134_15
.LBB134_19:                             ;   in Loop: Header=BB134_8 Depth=2
	s_or_b64 exec, exec, s[10:11]
	s_waitcnt vmcnt(0) lgkmcnt(0)
	s_barrier
.LBB134_20:                             ;   in Loop: Header=BB134_8 Depth=2
	s_andn2_b64 vcc, exec, s[40:41]
	s_cbranch_vccnz .LBB134_85
; %bb.21:                               ;   in Loop: Header=BB134_8 Depth=2
	v_mul_lo_u32 v36, v6, s30
	s_mul_i32 s82, s82, s30
	s_mov_b32 s83, 0
	v_mov_b32_e32 v38, v0
	v_add_u32_e32 v37, v0, v36
	s_branch .LBB134_23
.LBB134_22:                             ;   in Loop: Header=BB134_23 Depth=3
	s_or_b64 exec, exec, s[10:11]
	s_add_i32 s83, s83, 1
	s_cmp_eq_u32 s83, s30
	v_add_u32_e32 v38, 1, v38
	s_cbranch_scc1 .LBB134_85
.LBB134_23:                             ;   Parent Loop BB134_3 Depth=1
                                        ;     Parent Loop BB134_8 Depth=2
                                        ; =>    This Loop Header: Depth=3
                                        ;         Child Loop BB134_26 Depth 4
                                        ;           Child Loop BB134_31 Depth 5
                                        ;         Child Loop BB134_58 Depth 4
                                        ;           Child Loop BB134_61 Depth 5
	;; [unrolled: 2-line block ×4, first 2 shown]
	s_and_saveexec_b64 s[22:23], s[0:1]
	s_cbranch_execz .LBB134_55
; %bb.24:                               ;   in Loop: Header=BB134_23 Depth=3
	s_mov_b64 s[48:49], 0
	v_mov_b32_e32 v39, v1
	s_branch .LBB134_26
.LBB134_25:                             ;   in Loop: Header=BB134_26 Depth=4
	s_or_b64 exec, exec, s[50:51]
	v_add_u32_e32 v39, s62, v39
	v_cmp_le_u32_e32 vcc, s30, v39
	s_or_b64 s[48:49], vcc, s[48:49]
	s_andn2_b64 exec, exec, s[48:49]
	s_cbranch_execz .LBB134_55
.LBB134_26:                             ;   Parent Loop BB134_3 Depth=1
                                        ;     Parent Loop BB134_8 Depth=2
                                        ;       Parent Loop BB134_23 Depth=3
                                        ; =>      This Loop Header: Depth=4
                                        ;           Child Loop BB134_31 Depth 5
	s_and_saveexec_b64 s[50:51], s[2:3]
	s_cbranch_execz .LBB134_25
; %bb.27:                               ;   in Loop: Header=BB134_26 Depth=4
	v_cmp_eq_u32_e64 s[8:9], 0, v39
	s_mov_b64 s[52:53], 0
	v_mov_b32_e32 v40, v25
	v_mov_b32_e32 v41, v24
	;; [unrolled: 1-line block ×4, first 2 shown]
	s_branch .LBB134_31
.LBB134_28:                             ;   in Loop: Header=BB134_31 Depth=5
	s_or_b64 exec, exec, s[10:11]
.LBB134_29:                             ;   in Loop: Header=BB134_31 Depth=5
	s_or_b64 exec, exec, s[56:57]
	ds_write_b64 v41, v[10:11]
	ds_write2_b64 v40, v[20:21], v[18:19] offset1:1
.LBB134_30:                             ;   in Loop: Header=BB134_31 Depth=5
	s_or_b64 exec, exec, s[54:55]
	v_add_u32_e32 v43, s35, v43
	v_cmp_le_u32_e32 vcc, s30, v43
	v_add_u32_e32 v42, s35, v42
	v_add_u32_e32 v41, s76, v41
	s_or_b64 s[52:53], vcc, s[52:53]
	v_add_u32_e32 v40, s77, v40
	s_andn2_b64 exec, exec, s[52:53]
	s_cbranch_execz .LBB134_25
.LBB134_31:                             ;   Parent Loop BB134_3 Depth=1
                                        ;     Parent Loop BB134_8 Depth=2
                                        ;       Parent Loop BB134_23 Depth=3
                                        ;         Parent Loop BB134_26 Depth=4
                                        ; =>        This Inner Loop Header: Depth=5
	v_mul_hi_u32 v3, v23, v42
	v_add_u32_e32 v2, s83, v43
	v_not_b32_e32 v6, v3
	v_mad_u64_u32 v[3:4], s[10:11], s72, v3, v[2:3]
	v_add_u32_e32 v4, v36, v43
	v_mad_u64_u32 v[6:7], s[10:11], s30, v6, v[2:3]
	v_cmp_le_u32_e32 vcc, s30, v3
	v_cndmask_b32_e32 v2, v3, v6, vcc
	v_subrev_u32_e32 v3, s30, v2
	v_cmp_le_u32_e32 vcc, s30, v2
	v_cndmask_b32_e32 v2, v2, v3, vcc
	v_add_u32_e32 v12, s82, v2
	v_cmp_gt_u32_e32 vcc, s31, v4
	s_and_b64 s[10:11], s[8:9], vcc
	v_cmp_gt_u32_e32 vcc, s31, v12
	s_and_b64 s[10:11], s[10:11], vcc
	s_and_saveexec_b64 s[54:55], s[10:11]
	s_cbranch_execz .LBB134_30
; %bb.32:                               ;   in Loop: Header=BB134_31 Depth=5
	v_mad_u64_u32 v[2:3], s[10:11], v12, s74, 0
	v_lshlrev_b64 v[16:17], 4, v[4:5]
	v_mad_u64_u32 v[6:7], s[10:11], v12, s69, v[3:4]
	v_mov_b32_e32 v7, s79
	v_mov_b32_e32 v3, v6
	v_lshlrev_b64 v[2:3], 4, v[2:3]
	v_add_co_u32_e32 v44, vcc, s29, v2
	v_addc_co_u32_e32 v45, vcc, v7, v3, vcc
	v_add_co_u32_e32 v2, vcc, v44, v16
	v_addc_co_u32_e32 v3, vcc, v45, v17, vcc
	global_load_dwordx4 v[6:9], v[2:3], off
	s_waitcnt vmcnt(0)
	v_cmp_gt_f64_e32 vcc, 0, v[6:7]
	v_xor_b32_e32 v2, 0x80000000, v7
	v_xor_b32_e32 v3, 0x80000000, v9
	v_mov_b32_e32 v10, v6
	v_mov_b32_e32 v18, v8
	v_cndmask_b32_e32 v11, v7, v2, vcc
	v_cmp_gt_f64_e32 vcc, 0, v[8:9]
	v_cndmask_b32_e32 v19, v9, v3, vcc
	v_cmp_ngt_f64_e32 vcc, v[10:11], v[18:19]
                                        ; implicit-def: $vgpr2_vgpr3
	s_and_saveexec_b64 s[10:11], vcc
	s_xor_b64 s[10:11], exec, s[10:11]
	s_cbranch_execz .LBB134_36
; %bb.33:                               ;   in Loop: Header=BB134_31 Depth=5
	v_cmp_neq_f64_e32 vcc, 0, v[8:9]
	v_mov_b32_e32 v2, 0
	v_mov_b32_e32 v3, 0
	s_and_saveexec_b64 s[56:57], vcc
	s_cbranch_execz .LBB134_35
; %bb.34:                               ;   in Loop: Header=BB134_31 Depth=5
	v_div_scale_f64 v[2:3], s[58:59], v[18:19], v[18:19], v[10:11]
	v_rcp_f64_e32 v[20:21], v[2:3]
	v_fma_f64 v[46:47], -v[2:3], v[20:21], 1.0
	v_fma_f64 v[20:21], v[20:21], v[46:47], v[20:21]
	v_div_scale_f64 v[46:47], vcc, v[10:11], v[18:19], v[10:11]
	v_fma_f64 v[48:49], -v[2:3], v[20:21], 1.0
	v_fma_f64 v[20:21], v[20:21], v[48:49], v[20:21]
	v_mul_f64 v[48:49], v[46:47], v[20:21]
	v_fma_f64 v[2:3], -v[2:3], v[48:49], v[46:47]
	v_div_fmas_f64 v[2:3], v[2:3], v[20:21], v[48:49]
	v_div_fixup_f64 v[2:3], v[2:3], v[18:19], v[10:11]
	v_fma_f64 v[2:3], v[2:3], v[2:3], 1.0
	v_cmp_gt_f64_e32 vcc, s[14:15], v[2:3]
	v_cndmask_b32_e32 v10, 0, v29, vcc
	v_ldexp_f64 v[2:3], v[2:3], v10
	v_cndmask_b32_e32 v13, 0, v30, vcc
	v_rsq_f64_e32 v[10:11], v[2:3]
	v_cmp_class_f64_e32 vcc, v[2:3], v27
	v_mul_f64 v[20:21], v[2:3], v[10:11]
	v_mul_f64 v[10:11], v[10:11], 0.5
	v_fma_f64 v[46:47], -v[10:11], v[20:21], 0.5
	v_fma_f64 v[20:21], v[20:21], v[46:47], v[20:21]
	v_fma_f64 v[10:11], v[10:11], v[46:47], v[10:11]
	v_fma_f64 v[46:47], -v[20:21], v[20:21], v[2:3]
	v_fma_f64 v[20:21], v[46:47], v[10:11], v[20:21]
	v_fma_f64 v[46:47], -v[20:21], v[20:21], v[2:3]
	v_fma_f64 v[10:11], v[46:47], v[10:11], v[20:21]
	v_ldexp_f64 v[10:11], v[10:11], v13
	v_cndmask_b32_e32 v3, v11, v3, vcc
	v_cndmask_b32_e32 v2, v10, v2, vcc
	v_mul_f64 v[2:3], v[18:19], v[2:3]
.LBB134_35:                             ;   in Loop: Header=BB134_31 Depth=5
	s_or_b64 exec, exec, s[56:57]
                                        ; implicit-def: $vgpr10_vgpr11
                                        ; implicit-def: $vgpr18_vgpr19
.LBB134_36:                             ;   in Loop: Header=BB134_31 Depth=5
	s_andn2_saveexec_b64 s[10:11], s[10:11]
	s_cbranch_execz .LBB134_38
; %bb.37:                               ;   in Loop: Header=BB134_31 Depth=5
	v_div_scale_f64 v[2:3], s[56:57], v[10:11], v[10:11], v[18:19]
	v_rcp_f64_e32 v[20:21], v[2:3]
	v_fma_f64 v[46:47], -v[2:3], v[20:21], 1.0
	v_fma_f64 v[20:21], v[20:21], v[46:47], v[20:21]
	v_div_scale_f64 v[46:47], vcc, v[18:19], v[10:11], v[18:19]
	v_fma_f64 v[48:49], -v[2:3], v[20:21], 1.0
	v_fma_f64 v[20:21], v[20:21], v[48:49], v[20:21]
	v_mul_f64 v[48:49], v[46:47], v[20:21]
	v_fma_f64 v[2:3], -v[2:3], v[48:49], v[46:47]
	v_div_fmas_f64 v[2:3], v[2:3], v[20:21], v[48:49]
	v_div_fixup_f64 v[2:3], v[2:3], v[10:11], v[18:19]
	v_fma_f64 v[2:3], v[2:3], v[2:3], 1.0
	v_cmp_gt_f64_e32 vcc, s[14:15], v[2:3]
	v_cndmask_b32_e32 v13, 0, v29, vcc
	v_ldexp_f64 v[2:3], v[2:3], v13
	v_cndmask_b32_e32 v13, 0, v30, vcc
	v_rsq_f64_e32 v[18:19], v[2:3]
	v_cmp_class_f64_e32 vcc, v[2:3], v27
	v_mul_f64 v[20:21], v[2:3], v[18:19]
	v_mul_f64 v[18:19], v[18:19], 0.5
	v_fma_f64 v[46:47], -v[18:19], v[20:21], 0.5
	v_fma_f64 v[20:21], v[20:21], v[46:47], v[20:21]
	v_fma_f64 v[18:19], v[18:19], v[46:47], v[18:19]
	v_fma_f64 v[46:47], -v[20:21], v[20:21], v[2:3]
	v_fma_f64 v[20:21], v[46:47], v[18:19], v[20:21]
	v_fma_f64 v[46:47], -v[20:21], v[20:21], v[2:3]
	v_fma_f64 v[18:19], v[46:47], v[18:19], v[20:21]
	v_ldexp_f64 v[18:19], v[18:19], v13
	v_cndmask_b32_e32 v3, v19, v3, vcc
	v_cndmask_b32_e32 v2, v18, v2, vcc
	v_mul_f64 v[2:3], v[10:11], v[2:3]
.LBB134_38:                             ;   in Loop: Header=BB134_31 Depth=5
	s_or_b64 exec, exec, s[10:11]
	v_mul_f64 v[10:11], v[2:3], v[2:3]
	v_mov_b32_e32 v18, 0
	v_mov_b32_e32 v20, 0
	;; [unrolled: 1-line block ×4, first 2 shown]
	v_cmp_nlt_f64_e32 vcc, v[10:11], v[14:15]
	v_mov_b32_e32 v10, 0
	v_mov_b32_e32 v11, 0x3ff00000
	s_and_saveexec_b64 s[56:57], vcc
	s_cbranch_execz .LBB134_29
; %bb.39:                               ;   in Loop: Header=BB134_31 Depth=5
	v_mad_u64_u32 v[10:11], s[10:11], v4, s74, 0
	v_mov_b32_e32 v13, v5
	v_lshlrev_b64 v[12:13], 4, v[12:13]
	v_mad_u64_u32 v[18:19], s[10:11], v4, s69, v[11:12]
	v_add_co_u32_e32 v12, vcc, v44, v12
	v_mov_b32_e32 v11, v18
	v_lshlrev_b64 v[10:11], 4, v[10:11]
	v_addc_co_u32_e32 v13, vcc, v45, v13, vcc
	v_mov_b32_e32 v4, s79
	v_add_co_u32_e32 v10, vcc, s29, v10
	v_addc_co_u32_e32 v4, vcc, v4, v11, vcc
	v_add_co_u32_e32 v10, vcc, v10, v16
	v_addc_co_u32_e32 v11, vcc, v4, v17, vcc
	global_load_dwordx2 v[10:11], v[10:11], off
	s_nop 0
	global_load_dwordx2 v[16:17], v[12:13], off
	v_add_f64 v[12:13], v[2:3], v[2:3]
	v_cmp_class_f64_e64 s[58:59], v[12:13], s78
	s_waitcnt vmcnt(0)
	v_add_f64 v[16:17], v[16:17], -v[10:11]
	v_max_f64 v[10:11], |v[16:17]|, |v[12:13]|
	v_cmp_ngt_f64_e32 vcc, 0, v[16:17]
	v_cmp_class_f64_e64 s[60:61], v[16:17], s78
	v_frexp_exp_i32_f64_e32 v4, v[10:11]
	v_sub_u32_e32 v18, 0, v4
	v_ldexp_f64 v[10:11], |v[12:13]|, v18
	v_ldexp_f64 v[18:19], |v[16:17]|, v18
	v_mul_f64 v[10:11], v[10:11], v[10:11]
	v_fma_f64 v[10:11], v[18:19], v[18:19], v[10:11]
	v_rsq_f64_e32 v[18:19], v[10:11]
	v_cmp_eq_f64_e64 s[10:11], 0, v[10:11]
	v_mul_f64 v[20:21], v[10:11], v[18:19]
	v_mul_f64 v[18:19], v[18:19], 0.5
	v_fma_f64 v[44:45], -v[18:19], v[20:21], 0.5
	v_fma_f64 v[20:21], v[20:21], v[44:45], v[20:21]
	v_fma_f64 v[18:19], v[18:19], v[44:45], v[18:19]
	v_fma_f64 v[44:45], -v[20:21], v[20:21], v[10:11]
	v_fma_f64 v[18:19], v[44:45], v[18:19], v[20:21]
                                        ; implicit-def: $vgpr20_vgpr21
	v_cndmask_b32_e64 v11, v19, v11, s[10:11]
	v_cndmask_b32_e64 v10, v18, v10, s[10:11]
	s_and_saveexec_b64 s[10:11], vcc
	s_xor_b64 s[10:11], exec, s[10:11]
	s_cbranch_execz .LBB134_41
; %bb.40:                               ;   in Loop: Header=BB134_31 Depth=5
	v_ldexp_f64 v[10:11], v[10:11], v4
	v_cmp_o_f64_e32 vcc, v[16:17], v[12:13]
	v_cndmask_b32_e32 v4, 0, v10, vcc
	v_cndmask_b32_e32 v10, v31, v11, vcc
	s_or_b64 vcc, s[58:59], s[60:61]
	v_cndmask_b32_e32 v21, v10, v32, vcc
	v_cndmask_b32_e64 v20, v4, 0, vcc
                                        ; implicit-def: $vgpr10_vgpr11
                                        ; implicit-def: $vgpr4
.LBB134_41:                             ;   in Loop: Header=BB134_31 Depth=5
	s_andn2_saveexec_b64 s[10:11], s[10:11]
	s_cbranch_execz .LBB134_43
; %bb.42:                               ;   in Loop: Header=BB134_31 Depth=5
	v_ldexp_f64 v[10:11], -v[10:11], v4
	v_cmp_o_f64_e32 vcc, v[12:13], v[12:13]
	v_cndmask_b32_e32 v4, 0, v10, vcc
	v_cndmask_b32_e32 v10, v33, v11, vcc
	s_or_b64 vcc, s[58:59], s[60:61]
	v_cndmask_b32_e32 v21, v10, v34, vcc
	v_cndmask_b32_e64 v20, v4, 0, vcc
.LBB134_43:                             ;   in Loop: Header=BB134_31 Depth=5
	s_or_b64 exec, exec, s[10:11]
	v_cmp_neq_f64_e32 vcc, 0, v[12:13]
	v_mov_b32_e32 v18, 0
	v_mov_b32_e32 v10, 0
	;; [unrolled: 1-line block ×4, first 2 shown]
	s_and_saveexec_b64 s[10:11], vcc
	s_cbranch_execz .LBB134_51
; %bb.44:                               ;   in Loop: Header=BB134_31 Depth=5
	v_add_f64 v[16:17], v[16:17], v[20:21]
	v_mov_b32_e32 v10, 0
	v_mov_b32_e32 v18, 0
	;; [unrolled: 1-line block ×4, first 2 shown]
	v_cmp_neq_f64_e32 vcc, 0, v[16:17]
	s_and_saveexec_b64 s[58:59], vcc
	s_cbranch_execz .LBB134_50
; %bb.45:                               ;   in Loop: Header=BB134_31 Depth=5
	v_cmp_ngt_f64_e64 s[60:61], |v[12:13]|, |v[16:17]|
                                        ; implicit-def: $vgpr10_vgpr11
                                        ; implicit-def: $vgpr18_vgpr19
	s_and_saveexec_b64 s[84:85], s[60:61]
	s_xor_b64 s[60:61], exec, s[84:85]
	s_cbranch_execz .LBB134_47
; %bb.46:                               ;   in Loop: Header=BB134_31 Depth=5
	v_div_scale_f64 v[10:11], s[84:85], v[16:17], v[16:17], -v[12:13]
	v_rcp_f64_e32 v[18:19], v[10:11]
	v_fma_f64 v[20:21], -v[10:11], v[18:19], 1.0
	v_fma_f64 v[18:19], v[18:19], v[20:21], v[18:19]
	v_div_scale_f64 v[20:21], vcc, -v[12:13], v[16:17], -v[12:13]
	v_fma_f64 v[44:45], -v[10:11], v[18:19], 1.0
	v_fma_f64 v[18:19], v[18:19], v[44:45], v[18:19]
	v_mul_f64 v[44:45], v[20:21], v[18:19]
	v_fma_f64 v[10:11], -v[10:11], v[44:45], v[20:21]
	v_div_fmas_f64 v[10:11], v[10:11], v[18:19], v[44:45]
	v_div_fixup_f64 v[12:13], v[10:11], v[16:17], -v[12:13]
	v_fma_f64 v[10:11], v[12:13], v[12:13], 1.0
	v_cmp_gt_f64_e32 vcc, s[14:15], v[10:11]
	v_cndmask_b32_e32 v4, 0, v29, vcc
	v_ldexp_f64 v[10:11], v[10:11], v4
	v_cndmask_b32_e32 v4, 0, v30, vcc
	v_rsq_f64_e32 v[16:17], v[10:11]
	v_cmp_class_f64_e32 vcc, v[10:11], v27
	v_mul_f64 v[18:19], v[10:11], v[16:17]
	v_mul_f64 v[16:17], v[16:17], 0.5
	v_fma_f64 v[20:21], -v[16:17], v[18:19], 0.5
	v_fma_f64 v[18:19], v[18:19], v[20:21], v[18:19]
	v_fma_f64 v[16:17], v[16:17], v[20:21], v[16:17]
	v_fma_f64 v[20:21], -v[18:19], v[18:19], v[10:11]
	v_fma_f64 v[18:19], v[20:21], v[16:17], v[18:19]
	v_fma_f64 v[20:21], -v[18:19], v[18:19], v[10:11]
	v_fma_f64 v[16:17], v[20:21], v[16:17], v[18:19]
	v_ldexp_f64 v[16:17], v[16:17], v4
	v_cndmask_b32_e32 v11, v17, v11, vcc
	v_cndmask_b32_e32 v10, v16, v10, vcc
	v_div_scale_f64 v[16:17], s[84:85], v[10:11], v[10:11], 1.0
	v_div_scale_f64 v[44:45], vcc, 1.0, v[10:11], 1.0
	v_rcp_f64_e32 v[18:19], v[16:17]
	v_fma_f64 v[20:21], -v[16:17], v[18:19], 1.0
	v_fma_f64 v[18:19], v[18:19], v[20:21], v[18:19]
	v_fma_f64 v[20:21], -v[16:17], v[18:19], 1.0
	v_fma_f64 v[18:19], v[18:19], v[20:21], v[18:19]
	v_mul_f64 v[20:21], v[44:45], v[18:19]
	v_fma_f64 v[16:17], -v[16:17], v[20:21], v[44:45]
	v_div_fmas_f64 v[16:17], v[16:17], v[18:19], v[20:21]
	v_div_fixup_f64 v[10:11], v[16:17], v[10:11], 1.0
                                        ; implicit-def: $vgpr16_vgpr17
	v_mul_f64 v[18:19], v[12:13], v[10:11]
                                        ; implicit-def: $vgpr12_vgpr13
.LBB134_47:                             ;   in Loop: Header=BB134_31 Depth=5
	s_andn2_saveexec_b64 s[60:61], s[60:61]
	s_cbranch_execz .LBB134_49
; %bb.48:                               ;   in Loop: Header=BB134_31 Depth=5
	v_div_scale_f64 v[10:11], s[84:85], v[12:13], v[12:13], -v[16:17]
	v_rcp_f64_e32 v[18:19], v[10:11]
	v_fma_f64 v[20:21], -v[10:11], v[18:19], 1.0
	v_fma_f64 v[18:19], v[18:19], v[20:21], v[18:19]
	v_div_scale_f64 v[20:21], vcc, -v[16:17], v[12:13], -v[16:17]
	v_fma_f64 v[44:45], -v[10:11], v[18:19], 1.0
	v_fma_f64 v[18:19], v[18:19], v[44:45], v[18:19]
	v_mul_f64 v[44:45], v[20:21], v[18:19]
	v_fma_f64 v[10:11], -v[10:11], v[44:45], v[20:21]
	v_div_fmas_f64 v[10:11], v[10:11], v[18:19], v[44:45]
	v_div_fixup_f64 v[10:11], v[10:11], v[12:13], -v[16:17]
	v_fma_f64 v[12:13], v[10:11], v[10:11], 1.0
	v_cmp_gt_f64_e32 vcc, s[14:15], v[12:13]
	v_cndmask_b32_e32 v4, 0, v29, vcc
	v_ldexp_f64 v[12:13], v[12:13], v4
	v_cndmask_b32_e32 v4, 0, v30, vcc
	v_rsq_f64_e32 v[16:17], v[12:13]
	v_cmp_class_f64_e32 vcc, v[12:13], v27
	v_mul_f64 v[18:19], v[12:13], v[16:17]
	v_mul_f64 v[16:17], v[16:17], 0.5
	v_fma_f64 v[20:21], -v[16:17], v[18:19], 0.5
	v_fma_f64 v[18:19], v[18:19], v[20:21], v[18:19]
	v_fma_f64 v[16:17], v[16:17], v[20:21], v[16:17]
	v_fma_f64 v[20:21], -v[18:19], v[18:19], v[12:13]
	v_fma_f64 v[18:19], v[20:21], v[16:17], v[18:19]
	v_fma_f64 v[20:21], -v[18:19], v[18:19], v[12:13]
	v_fma_f64 v[16:17], v[20:21], v[16:17], v[18:19]
	v_ldexp_f64 v[16:17], v[16:17], v4
	v_cndmask_b32_e32 v13, v17, v13, vcc
	v_cndmask_b32_e32 v12, v16, v12, vcc
	v_div_scale_f64 v[16:17], s[84:85], v[12:13], v[12:13], 1.0
	v_div_scale_f64 v[44:45], vcc, 1.0, v[12:13], 1.0
	v_rcp_f64_e32 v[18:19], v[16:17]
	v_fma_f64 v[20:21], -v[16:17], v[18:19], 1.0
	v_fma_f64 v[18:19], v[18:19], v[20:21], v[18:19]
	v_fma_f64 v[20:21], -v[16:17], v[18:19], 1.0
	v_fma_f64 v[18:19], v[18:19], v[20:21], v[18:19]
	v_mul_f64 v[20:21], v[44:45], v[18:19]
	v_fma_f64 v[16:17], -v[16:17], v[20:21], v[44:45]
	v_div_fmas_f64 v[16:17], v[16:17], v[18:19], v[20:21]
	v_div_fixup_f64 v[18:19], v[16:17], v[12:13], 1.0
	v_mul_f64 v[10:11], v[10:11], v[18:19]
.LBB134_49:                             ;   in Loop: Header=BB134_31 Depth=5
	s_or_b64 exec, exec, s[60:61]
.LBB134_50:                             ;   in Loop: Header=BB134_31 Depth=5
	s_or_b64 exec, exec, s[58:59]
.LBB134_51:                             ;   in Loop: Header=BB134_31 Depth=5
	s_or_b64 exec, exec, s[10:11]
	v_mul_f64 v[6:7], v[6:7], v[18:19]
	v_mul_f64 v[8:9], v[8:9], v[18:19]
	v_cmp_lg_f64_e32 vcc, 0, v[2:3]
                                        ; implicit-def: $vgpr18_vgpr19
	s_and_saveexec_b64 s[10:11], vcc
	s_xor_b64 s[10:11], exec, s[10:11]
                                        ; implicit-def: $vgpr20_vgpr21
	s_cbranch_execz .LBB134_53
; %bb.52:                               ;   in Loop: Header=BB134_31 Depth=5
	v_div_scale_f64 v[12:13], s[58:59], v[2:3], v[2:3], 0
	v_rcp_f64_e32 v[16:17], v[12:13]
	v_fma_f64 v[18:19], -v[12:13], v[16:17], 1.0
	v_fma_f64 v[16:17], v[16:17], v[18:19], v[16:17]
	v_div_scale_f64 v[18:19], vcc, 0, v[2:3], 0
	v_fma_f64 v[20:21], -v[12:13], v[16:17], 1.0
	v_fma_f64 v[16:17], v[16:17], v[20:21], v[16:17]
	v_mul_f64 v[20:21], v[18:19], v[16:17]
	v_fma_f64 v[12:13], -v[12:13], v[20:21], v[18:19]
	v_div_fmas_f64 v[12:13], v[12:13], v[16:17], v[20:21]
	v_div_fixup_f64 v[12:13], v[12:13], v[2:3], 0
	v_fma_f64 v[2:3], v[12:13], 0, v[2:3]
	v_div_scale_f64 v[16:17], s[58:59], v[2:3], v[2:3], 1.0
	v_rcp_f64_e32 v[18:19], v[16:17]
	v_fma_f64 v[20:21], -v[16:17], v[18:19], 1.0
	v_fma_f64 v[18:19], v[18:19], v[20:21], v[18:19]
	v_div_scale_f64 v[20:21], vcc, 1.0, v[2:3], 1.0
	v_fma_f64 v[44:45], -v[16:17], v[18:19], 1.0
	v_fma_f64 v[18:19], v[18:19], v[44:45], v[18:19]
	v_mul_f64 v[44:45], v[20:21], v[18:19]
	v_fma_f64 v[16:17], -v[16:17], v[44:45], v[20:21]
	v_div_fmas_f64 v[16:17], v[16:17], v[18:19], v[44:45]
	v_fma_f64 v[18:19], v[12:13], v[8:9], v[6:7]
	v_fma_f64 v[6:7], -v[12:13], v[6:7], v[8:9]
                                        ; implicit-def: $vgpr8_vgpr9
	v_div_fixup_f64 v[2:3], v[16:17], v[2:3], 1.0
	v_mul_f64 v[20:21], v[2:3], v[18:19]
	v_mul_f64 v[18:19], v[2:3], v[6:7]
                                        ; implicit-def: $vgpr2_vgpr3
                                        ; implicit-def: $vgpr6_vgpr7
.LBB134_53:                             ;   in Loop: Header=BB134_31 Depth=5
	s_andn2_saveexec_b64 s[10:11], s[10:11]
	s_cbranch_execz .LBB134_28
; %bb.54:                               ;   in Loop: Header=BB134_31 Depth=5
	v_div_scale_f64 v[12:13], s[58:59], 0, 0, v[2:3]
	v_rcp_f64_e32 v[16:17], v[12:13]
	v_fma_f64 v[18:19], -v[12:13], v[16:17], 1.0
	v_fma_f64 v[16:17], v[16:17], v[18:19], v[16:17]
	v_div_scale_f64 v[18:19], vcc, v[2:3], 0, v[2:3]
	v_fma_f64 v[20:21], -v[12:13], v[16:17], 1.0
	v_fma_f64 v[16:17], v[16:17], v[20:21], v[16:17]
	v_mul_f64 v[20:21], v[18:19], v[16:17]
	v_fma_f64 v[12:13], -v[12:13], v[20:21], v[18:19]
	v_div_fmas_f64 v[12:13], v[12:13], v[16:17], v[20:21]
	v_div_fixup_f64 v[12:13], v[12:13], 0, v[2:3]
	v_fma_f64 v[2:3], v[2:3], v[12:13], 0
	v_div_scale_f64 v[16:17], s[58:59], v[2:3], v[2:3], 1.0
	v_rcp_f64_e32 v[18:19], v[16:17]
	v_fma_f64 v[20:21], -v[16:17], v[18:19], 1.0
	v_fma_f64 v[18:19], v[18:19], v[20:21], v[18:19]
	v_div_scale_f64 v[20:21], vcc, 1.0, v[2:3], 1.0
	v_fma_f64 v[44:45], -v[16:17], v[18:19], 1.0
	v_fma_f64 v[18:19], v[18:19], v[44:45], v[18:19]
	v_mul_f64 v[44:45], v[20:21], v[18:19]
	v_fma_f64 v[16:17], -v[16:17], v[44:45], v[20:21]
	v_div_fmas_f64 v[16:17], v[16:17], v[18:19], v[44:45]
	v_fma_f64 v[18:19], v[12:13], v[6:7], v[8:9]
	v_fma_f64 v[6:7], v[12:13], v[8:9], -v[6:7]
	v_div_fixup_f64 v[2:3], v[16:17], v[2:3], 1.0
	v_mul_f64 v[20:21], v[2:3], v[18:19]
	v_mul_f64 v[18:19], v[2:3], v[6:7]
	s_branch .LBB134_28
.LBB134_55:                             ;   in Loop: Header=BB134_23 Depth=3
	s_or_b64 exec, exec, s[22:23]
	s_waitcnt vmcnt(0) lgkmcnt(0)
	s_barrier
	s_and_saveexec_b64 s[10:11], s[0:1]
	s_cbranch_execz .LBB134_68
; %bb.56:                               ;   in Loop: Header=BB134_23 Depth=3
	s_mov_b64 s[22:23], 0
	v_mov_b32_e32 v20, v26
	v_add_u32_e32 v21, v0, v22
	v_mov_b32_e32 v39, v1
	s_branch .LBB134_58
.LBB134_57:                             ;   in Loop: Header=BB134_58 Depth=4
	s_or_b64 exec, exec, s[48:49]
	v_add_u32_e32 v39, s62, v39
	v_cmp_le_u32_e32 vcc, s30, v39
	v_add_u32_e32 v21, s75, v21
	s_or_b64 s[22:23], vcc, s[22:23]
	v_add_u32_e32 v20, s75, v20
	s_andn2_b64 exec, exec, s[22:23]
	s_cbranch_execz .LBB134_68
.LBB134_58:                             ;   Parent Loop BB134_3 Depth=1
                                        ;     Parent Loop BB134_8 Depth=2
                                        ;       Parent Loop BB134_23 Depth=3
                                        ; =>      This Loop Header: Depth=4
                                        ;           Child Loop BB134_61 Depth 5
	s_and_saveexec_b64 s[48:49], s[2:3]
	s_cbranch_execz .LBB134_57
; %bb.59:                               ;   in Loop: Header=BB134_58 Depth=4
	v_add_u32_e32 v2, s30, v39
	v_mul_lo_u32 v40, v39, s63
	v_mul_lo_u32 v41, v2, s63
	v_add_u32_e32 v4, v39, v36
	v_add_u32_e32 v6, s82, v39
	v_mov_b32_e32 v7, v5
	v_lshlrev_b64 v[2:3], 4, v[4:5]
	v_lshlrev_b64 v[16:17], 4, v[6:7]
	v_cmp_gt_u32_e64 s[8:9], s31, v6
	s_mov_b32 s21, 0
	s_mov_b64 s[50:51], 0
	v_mov_b32_e32 v42, v25
	v_mov_b32_e32 v43, v24
	v_mov_b32_e32 v44, v38
	s_branch .LBB134_61
.LBB134_60:                             ;   in Loop: Header=BB134_61 Depth=5
	s_or_b64 exec, exec, s[52:53]
	s_add_i32 s21, s21, s35
	v_add_u32_e32 v4, s21, v0
	v_cmp_le_u32_e32 vcc, s30, v4
	v_add_u32_e32 v44, s35, v44
	v_add_u32_e32 v43, s76, v43
	s_or_b64 s[50:51], vcc, s[50:51]
	v_add_u32_e32 v42, s77, v42
	s_andn2_b64 exec, exec, s[50:51]
	s_cbranch_execz .LBB134_57
.LBB134_61:                             ;   Parent Loop BB134_3 Depth=1
                                        ;     Parent Loop BB134_8 Depth=2
                                        ;       Parent Loop BB134_23 Depth=3
                                        ;         Parent Loop BB134_58 Depth=4
                                        ; =>        This Inner Loop Header: Depth=5
	v_mul_hi_u32 v4, v23, v44
	v_add_u32_e32 v7, s21, v0
	v_add_u32_e32 v10, s21, v37
	v_mul_lo_u32 v6, s30, v4
	v_not_b32_e32 v4, v4
	v_mul_lo_u32 v4, s30, v4
	v_sub_u32_e32 v6, s83, v6
	v_add_u32_e32 v6, v7, v6
	v_add3_u32 v4, s83, v4, v7
	v_cmp_le_u32_e32 vcc, s30, v6
	v_cndmask_b32_e32 v4, v6, v4, vcc
	v_subrev_u32_e32 v6, s30, v4
	v_cmp_le_u32_e32 vcc, s30, v4
	v_cndmask_b32_e32 v4, v4, v6, vcc
	v_add_u32_e32 v45, s82, v4
	v_max_u32_e32 v6, v10, v45
	v_cmp_gt_u32_e32 vcc, s31, v6
	s_and_saveexec_b64 s[52:53], vcc
	s_cbranch_execz .LBB134_60
; %bb.62:                               ;   in Loop: Header=BB134_61 Depth=5
	ds_read_b64 v[18:19], v43
	ds_read2_b64 v[6:9], v42 offset1:1
	s_andn2_b64 vcc, exec, s[46:47]
	s_cbranch_vccnz .LBB134_66
; %bb.63:                               ;   in Loop: Header=BB134_61 Depth=5
	v_add_u32_e32 v11, s30, v4
	v_add_u32_e32 v4, s21, v21
	v_lshlrev_b64 v[12:13], 4, v[4:5]
	v_mov_b32_e32 v4, s43
	v_add_co_u32_e32 v12, vcc, s81, v12
	v_addc_co_u32_e32 v13, vcc, v4, v13, vcc
	v_add_u32_e32 v4, v11, v40
	v_lshlrev_b64 v[50:51], 4, v[4:5]
	v_mov_b32_e32 v4, s43
	v_add_co_u32_e32 v58, vcc, s81, v50
	v_addc_co_u32_e32 v59, vcc, v4, v51, vcc
	flat_load_dwordx4 v[46:49], v[12:13]
	flat_load_dwordx4 v[50:53], v[58:59]
	s_waitcnt vmcnt(0) lgkmcnt(0)
	v_mul_f64 v[54:55], v[8:9], v[52:53]
	v_mul_f64 v[56:57], v[8:9], v[50:51]
	v_fma_f64 v[54:55], v[6:7], v[50:51], v[54:55]
	v_fma_f64 v[56:57], v[6:7], v[52:53], -v[56:57]
	v_fma_f64 v[54:55], v[18:19], v[46:47], v[54:55]
	v_fma_f64 v[56:57], v[18:19], v[48:49], v[56:57]
	flat_store_dwordx4 v[12:13], v[54:57]
	v_mul_f64 v[12:13], v[6:7], v[46:47]
	v_fma_f64 v[12:13], v[8:9], v[48:49], -v[12:13]
	v_mul_f64 v[48:49], v[6:7], v[48:49]
	v_fma_f64 v[48:49], v[46:47], -v[8:9], -v[48:49]
	v_fma_f64 v[46:47], v[18:19], v[50:51], v[12:13]
	v_fma_f64 v[48:49], v[18:19], v[52:53], v[48:49]
	flat_store_dwordx4 v[58:59], v[46:49]
	s_and_saveexec_b64 s[54:55], s[8:9]
	s_cbranch_execz .LBB134_65
; %bb.64:                               ;   in Loop: Header=BB134_61 Depth=5
	v_add_u32_e32 v4, s21, v20
	v_lshlrev_b64 v[12:13], 4, v[4:5]
	v_mov_b32_e32 v4, s43
	v_add_co_u32_e32 v12, vcc, s81, v12
	v_addc_co_u32_e32 v13, vcc, v4, v13, vcc
	v_add_u32_e32 v4, v11, v41
	v_lshlrev_b64 v[50:51], 4, v[4:5]
	v_mov_b32_e32 v4, s43
	v_add_co_u32_e32 v58, vcc, s81, v50
	v_addc_co_u32_e32 v59, vcc, v4, v51, vcc
	flat_load_dwordx4 v[46:49], v[12:13]
	flat_load_dwordx4 v[50:53], v[58:59]
	s_waitcnt vmcnt(0) lgkmcnt(0)
	v_mul_f64 v[54:55], v[8:9], v[52:53]
	v_mul_f64 v[56:57], v[8:9], v[50:51]
	v_fma_f64 v[54:55], v[6:7], v[50:51], v[54:55]
	v_fma_f64 v[56:57], v[6:7], v[52:53], -v[56:57]
	v_fma_f64 v[54:55], v[18:19], v[46:47], v[54:55]
	v_fma_f64 v[56:57], v[18:19], v[48:49], v[56:57]
	flat_store_dwordx4 v[12:13], v[54:57]
	v_mul_f64 v[11:12], v[6:7], v[46:47]
	v_fma_f64 v[11:12], v[8:9], v[48:49], -v[11:12]
	v_mul_f64 v[48:49], v[6:7], v[48:49]
	v_fma_f64 v[48:49], v[46:47], -v[8:9], -v[48:49]
	v_fma_f64 v[46:47], v[18:19], v[50:51], v[11:12]
	v_fma_f64 v[48:49], v[18:19], v[52:53], v[48:49]
	flat_store_dwordx4 v[58:59], v[46:49]
.LBB134_65:                             ;   in Loop: Header=BB134_61 Depth=5
	s_or_b64 exec, exec, s[54:55]
.LBB134_66:                             ;   in Loop: Header=BB134_61 Depth=5
	v_mad_u64_u32 v[11:12], s[54:55], v10, s74, 0
	v_mad_u64_u32 v[47:48], s[54:55], v45, s74, 0
	v_mov_b32_e32 v4, v12
	v_mad_u64_u32 v[12:13], s[54:55], v10, s69, v[4:5]
	v_mad_u64_u32 v[48:49], s[54:55], v45, s69, v[48:49]
	v_lshlrev_b64 v[10:11], 4, v[11:12]
	v_lshlrev_b64 v[47:48], 4, v[47:48]
	v_add_co_u32_e32 v4, vcc, s29, v10
	v_mov_b32_e32 v10, s79
	v_addc_co_u32_e32 v46, vcc, v10, v11, vcc
	v_add_co_u32_e32 v56, vcc, v4, v2
	v_addc_co_u32_e32 v57, vcc, v46, v3, vcc
	v_add_co_u32_e32 v45, vcc, s29, v47
	v_mov_b32_e32 v47, s79
	v_addc_co_u32_e32 v47, vcc, v47, v48, vcc
	v_add_co_u32_e32 v58, vcc, v45, v2
	v_addc_co_u32_e32 v59, vcc, v47, v3, vcc
	global_load_dwordx4 v[10:13], v[56:57], off
	global_load_dwordx4 v[48:51], v[58:59], off
	s_waitcnt vmcnt(0) lgkmcnt(0)
	v_mul_f64 v[52:53], v[8:9], v[50:51]
	v_mul_f64 v[54:55], v[8:9], v[48:49]
	v_fma_f64 v[52:53], v[6:7], v[48:49], v[52:53]
	v_fma_f64 v[54:55], v[6:7], v[50:51], -v[54:55]
	v_fma_f64 v[52:53], v[18:19], v[10:11], v[52:53]
	v_fma_f64 v[54:55], v[18:19], v[12:13], v[54:55]
	global_store_dwordx4 v[56:57], v[52:55], off
	s_nop 0
	v_mul_f64 v[52:53], v[6:7], v[10:11]
	v_fma_f64 v[52:53], v[8:9], v[12:13], -v[52:53]
	v_mul_f64 v[12:13], v[6:7], v[12:13]
	v_fma_f64 v[12:13], v[10:11], -v[8:9], -v[12:13]
	v_fma_f64 v[10:11], v[18:19], v[48:49], v[52:53]
	v_fma_f64 v[12:13], v[18:19], v[50:51], v[12:13]
	global_store_dwordx4 v[58:59], v[10:13], off
	s_and_b64 exec, exec, s[8:9]
	s_cbranch_execz .LBB134_60
; %bb.67:                               ;   in Loop: Header=BB134_61 Depth=5
	v_add_co_u32_e32 v53, vcc, v4, v16
	v_addc_co_u32_e32 v54, vcc, v46, v17, vcc
	v_add_co_u32_e32 v55, vcc, v45, v16
	v_addc_co_u32_e32 v56, vcc, v47, v17, vcc
	global_load_dwordx4 v[10:13], v[53:54], off
	global_load_dwordx4 v[45:48], v[55:56], off
	s_waitcnt vmcnt(0)
	v_mul_f64 v[49:50], v[8:9], v[47:48]
	v_mul_f64 v[51:52], v[8:9], v[45:46]
	v_fma_f64 v[49:50], v[6:7], v[45:46], v[49:50]
	v_fma_f64 v[51:52], v[6:7], v[47:48], -v[51:52]
	v_fma_f64 v[49:50], v[18:19], v[10:11], v[49:50]
	v_fma_f64 v[51:52], v[18:19], v[12:13], v[51:52]
	global_store_dwordx4 v[53:54], v[49:52], off
	s_nop 0
	v_mul_f64 v[49:50], v[6:7], v[10:11]
	v_mul_f64 v[6:7], v[6:7], v[12:13]
	v_fma_f64 v[49:50], v[8:9], v[12:13], -v[49:50]
	v_fma_f64 v[8:9], v[10:11], -v[8:9], -v[6:7]
	v_fma_f64 v[6:7], v[18:19], v[45:46], v[49:50]
	v_fma_f64 v[8:9], v[18:19], v[47:48], v[8:9]
	global_store_dwordx4 v[55:56], v[6:9], off
	s_branch .LBB134_60
.LBB134_68:                             ;   in Loop: Header=BB134_23 Depth=3
	s_or_b64 exec, exec, s[10:11]
	s_waitcnt vmcnt(0)
	s_barrier
	s_and_saveexec_b64 s[10:11], s[0:1]
	s_cbranch_execz .LBB134_77
; %bb.69:                               ;   in Loop: Header=BB134_23 Depth=3
	s_mov_b64 s[22:23], 0
	v_mov_b32_e32 v16, v1
	s_branch .LBB134_71
.LBB134_70:                             ;   in Loop: Header=BB134_71 Depth=4
	s_or_b64 exec, exec, s[48:49]
	v_add_u32_e32 v16, s62, v16
	v_cmp_le_u32_e32 vcc, s30, v16
	s_or_b64 s[22:23], vcc, s[22:23]
	s_andn2_b64 exec, exec, s[22:23]
	s_cbranch_execz .LBB134_77
.LBB134_71:                             ;   Parent Loop BB134_3 Depth=1
                                        ;     Parent Loop BB134_8 Depth=2
                                        ;       Parent Loop BB134_23 Depth=3
                                        ; =>      This Loop Header: Depth=4
                                        ;           Child Loop BB134_74 Depth 5
	s_and_saveexec_b64 s[48:49], s[2:3]
	s_cbranch_execz .LBB134_70
; %bb.72:                               ;   in Loop: Header=BB134_71 Depth=4
	v_add_u32_e32 v4, v16, v36
	v_mad_u64_u32 v[2:3], s[8:9], v4, s74, 0
	v_add_u32_e32 v9, s82, v16
	v_mad_u64_u32 v[6:7], s[8:9], v9, s74, 0
	v_mad_u64_u32 v[3:4], s[8:9], v4, s69, v[3:4]
	v_mov_b32_e32 v4, v7
	v_mad_u64_u32 v[7:8], s[8:9], v9, s69, v[4:5]
	v_lshlrev_b64 v[2:3], 4, v[2:3]
	v_mov_b32_e32 v10, s79
	v_add_co_u32_e32 v17, vcc, s29, v2
	v_addc_co_u32_e32 v18, vcc, v10, v3, vcc
	v_lshlrev_b64 v[2:3], 4, v[6:7]
	v_mov_b32_e32 v4, s79
	v_add_co_u32_e64 v19, s[8:9], s29, v2
	v_cmp_gt_u32_e32 vcc, s31, v9
	v_addc_co_u32_e64 v20, s[8:9], v4, v3, s[8:9]
	s_mov_b64 s[50:51], 0
	v_mov_b32_e32 v21, v25
	v_mov_b32_e32 v39, v24
	v_mov_b32_e32 v40, v38
	v_mov_b32_e32 v41, v0
	s_branch .LBB134_74
.LBB134_73:                             ;   in Loop: Header=BB134_74 Depth=5
	s_or_b64 exec, exec, s[52:53]
	v_add_u32_e32 v41, s35, v41
	v_cmp_le_u32_e64 s[8:9], s30, v41
	v_add_u32_e32 v40, s35, v40
	v_add_u32_e32 v39, s76, v39
	s_or_b64 s[50:51], s[8:9], s[50:51]
	v_add_u32_e32 v21, s77, v21
	s_andn2_b64 exec, exec, s[50:51]
	s_cbranch_execz .LBB134_70
.LBB134_74:                             ;   Parent Loop BB134_3 Depth=1
                                        ;     Parent Loop BB134_8 Depth=2
                                        ;       Parent Loop BB134_23 Depth=3
                                        ;         Parent Loop BB134_71 Depth=4
                                        ; =>        This Inner Loop Header: Depth=5
	v_mul_hi_u32 v3, v23, v40
	v_add_u32_e32 v2, s83, v41
	v_not_b32_e32 v6, v3
	v_mad_u64_u32 v[3:4], s[8:9], s72, v3, v[2:3]
	v_add_u32_e32 v4, v36, v41
	v_mad_u64_u32 v[6:7], s[8:9], s30, v6, v[2:3]
	v_cmp_le_u32_e64 s[8:9], s30, v3
	v_cndmask_b32_e64 v2, v3, v6, s[8:9]
	v_subrev_u32_e32 v3, s30, v2
	v_cmp_le_u32_e64 s[8:9], s30, v2
	v_cndmask_b32_e64 v2, v2, v3, s[8:9]
	v_add_u32_e32 v12, s82, v2
	v_max_u32_e32 v2, v4, v12
	v_cmp_gt_u32_e64 s[8:9], s31, v2
	s_and_saveexec_b64 s[52:53], s[8:9]
	s_cbranch_execz .LBB134_73
; %bb.75:                               ;   in Loop: Header=BB134_74 Depth=5
	v_lshlrev_b64 v[10:11], 4, v[4:5]
	v_mov_b32_e32 v13, v5
	v_add_co_u32_e64 v54, s[8:9], v17, v10
	v_lshlrev_b64 v[12:13], 4, v[12:13]
	v_addc_co_u32_e64 v55, s[8:9], v18, v11, s[8:9]
	v_add_co_u32_e64 v56, s[8:9], v17, v12
	v_addc_co_u32_e64 v57, s[8:9], v18, v13, s[8:9]
	ds_read_b64 v[2:3], v39
	ds_read2_b64 v[6:9], v21 offset1:1
	global_load_dwordx4 v[42:45], v[54:55], off
	global_load_dwordx4 v[46:49], v[56:57], off
	s_waitcnt vmcnt(0) lgkmcnt(0)
	v_mul_f64 v[50:51], v[8:9], v[48:49]
	v_mul_f64 v[52:53], v[6:7], v[48:49]
	v_fma_f64 v[50:51], v[6:7], v[46:47], -v[50:51]
	v_fma_f64 v[52:53], v[8:9], v[46:47], v[52:53]
	v_fma_f64 v[50:51], v[2:3], v[42:43], v[50:51]
	;; [unrolled: 1-line block ×3, first 2 shown]
	global_store_dwordx4 v[54:55], v[50:53], off
	s_nop 0
	v_mul_f64 v[50:51], v[8:9], v[44:45]
	v_mul_f64 v[44:45], v[6:7], v[44:45]
	v_fma_f64 v[50:51], v[42:43], -v[6:7], -v[50:51]
	v_fma_f64 v[44:45], v[8:9], v[42:43], -v[44:45]
	v_fma_f64 v[42:43], v[2:3], v[46:47], v[50:51]
	v_fma_f64 v[44:45], v[2:3], v[48:49], v[44:45]
	global_store_dwordx4 v[56:57], v[42:45], off
	s_and_b64 exec, exec, vcc
	s_cbranch_execz .LBB134_73
; %bb.76:                               ;   in Loop: Header=BB134_74 Depth=5
	v_add_co_u32_e64 v46, s[8:9], v19, v12
	v_addc_co_u32_e64 v47, s[8:9], v20, v13, s[8:9]
	v_add_co_u32_e64 v48, s[8:9], v19, v10
	global_load_dwordx4 v[42:45], v[46:47], off
	v_addc_co_u32_e64 v49, s[8:9], v20, v11, s[8:9]
	global_load_dwordx4 v[10:13], v[48:49], off
	s_waitcnt vmcnt(1)
	v_mul_f64 v[50:51], v[8:9], v[44:45]
	v_mul_f64 v[52:53], v[6:7], v[44:45]
	s_waitcnt vmcnt(0)
	v_mul_f64 v[54:55], v[8:9], v[12:13]
	v_mul_f64 v[56:57], v[6:7], v[12:13]
	v_fma_f64 v[50:51], v[6:7], v[42:43], -v[50:51]
	v_fma_f64 v[52:53], v[8:9], v[42:43], v[52:53]
	v_fma_f64 v[54:55], v[10:11], -v[6:7], -v[54:55]
	v_fma_f64 v[56:57], v[8:9], v[10:11], -v[56:57]
	v_fma_f64 v[6:7], v[2:3], v[10:11], v[50:51]
	v_fma_f64 v[8:9], v[2:3], v[12:13], v[52:53]
	v_fma_f64 v[10:11], v[2:3], v[42:43], v[54:55]
	v_fma_f64 v[12:13], v[2:3], v[44:45], v[56:57]
	global_store_dwordx4 v[48:49], v[6:9], off
	global_store_dwordx4 v[46:47], v[10:13], off
	s_branch .LBB134_73
.LBB134_77:                             ;   in Loop: Header=BB134_23 Depth=3
	s_or_b64 exec, exec, s[10:11]
	s_waitcnt vmcnt(0)
	s_barrier
	s_and_saveexec_b64 s[10:11], s[0:1]
	s_cbranch_execz .LBB134_22
; %bb.78:                               ;   in Loop: Header=BB134_23 Depth=3
	s_mov_b64 s[48:49], 0
	v_mov_b32_e32 v6, v1
	s_branch .LBB134_80
.LBB134_79:                             ;   in Loop: Header=BB134_80 Depth=4
	s_or_b64 exec, exec, s[50:51]
	v_add_u32_e32 v6, s62, v6
	v_cmp_le_u32_e32 vcc, s30, v6
	s_or_b64 s[48:49], vcc, s[48:49]
	s_andn2_b64 exec, exec, s[48:49]
	s_cbranch_execz .LBB134_22
.LBB134_80:                             ;   Parent Loop BB134_3 Depth=1
                                        ;     Parent Loop BB134_8 Depth=2
                                        ;       Parent Loop BB134_23 Depth=3
                                        ; =>      This Loop Header: Depth=4
                                        ;           Child Loop BB134_83 Depth 5
	s_and_saveexec_b64 s[50:51], s[2:3]
	s_cbranch_execz .LBB134_79
; %bb.81:                               ;   in Loop: Header=BB134_80 Depth=4
	v_cmp_eq_u32_e32 vcc, 0, v6
	s_mov_b64 s[52:53], 0
	v_mov_b32_e32 v7, v38
	v_mov_b32_e32 v8, v0
	s_branch .LBB134_83
.LBB134_82:                             ;   in Loop: Header=BB134_83 Depth=5
	s_or_b64 exec, exec, s[54:55]
	v_add_u32_e32 v8, s35, v8
	v_cmp_le_u32_e64 s[8:9], s30, v8
	s_or_b64 s[52:53], s[8:9], s[52:53]
	v_add_u32_e32 v7, s35, v7
	s_andn2_b64 exec, exec, s[52:53]
	s_cbranch_execz .LBB134_79
.LBB134_83:                             ;   Parent Loop BB134_3 Depth=1
                                        ;     Parent Loop BB134_8 Depth=2
                                        ;       Parent Loop BB134_23 Depth=3
                                        ;         Parent Loop BB134_80 Depth=4
                                        ; =>        This Inner Loop Header: Depth=5
	v_mul_hi_u32 v3, v23, v7
	v_add_u32_e32 v2, s83, v8
	v_not_b32_e32 v9, v3
	v_mad_u64_u32 v[3:4], s[8:9], s72, v3, v[2:3]
	v_mad_u64_u32 v[9:10], s[8:9], s30, v9, v[2:3]
	v_cmp_le_u32_e64 s[8:9], s30, v3
	v_cndmask_b32_e64 v2, v3, v9, s[8:9]
	v_subrev_u32_e32 v3, s30, v2
	v_cmp_le_u32_e64 s[8:9], s30, v2
	v_cndmask_b32_e64 v2, v2, v3, s[8:9]
	v_add_u32_e32 v2, s82, v2
	v_cmp_gt_u32_e64 s[8:9], s31, v2
	s_and_b64 s[8:9], vcc, s[8:9]
	s_and_saveexec_b64 s[54:55], s[8:9]
	s_cbranch_execz .LBB134_82
; %bb.84:                               ;   in Loop: Header=BB134_83 Depth=5
	v_mad_u64_u32 v[9:10], s[8:9], v2, s74, 0
	s_mov_b32 s21, s20
	s_mov_b32 s22, s20
	v_mov_b32_e32 v3, v10
	v_mad_u64_u32 v[10:11], s[8:9], v2, s69, v[3:4]
	v_add_u32_e32 v4, v36, v8
	v_mov_b32_e32 v11, s79
	v_lshlrev_b64 v[9:10], 4, v[9:10]
	v_mov_b32_e32 v3, v5
	v_add_co_u32_e64 v12, s[8:9], s29, v9
	v_addc_co_u32_e64 v11, s[8:9], v11, v10, s[8:9]
	v_mad_u64_u32 v[16:17], s[8:9], v4, s74, 0
	v_lshlrev_b64 v[9:10], 4, v[4:5]
	v_lshlrev_b64 v[2:3], 4, v[2:3]
	v_add_co_u32_e64 v18, s[8:9], v12, v9
	v_mov_b32_e32 v9, v17
	v_addc_co_u32_e64 v19, s[8:9], v11, v10, s[8:9]
	v_mad_u64_u32 v[20:21], s[8:9], v4, s69, v[9:10]
	v_mov_b32_e32 v4, s79
	s_mov_b32 s23, s20
	v_mov_b32_e32 v17, v20
	v_lshlrev_b64 v[16:17], 4, v[16:17]
	v_mov_b32_e32 v9, s20
	v_add_co_u32_e64 v13, s[8:9], s29, v16
	v_addc_co_u32_e64 v4, s[8:9], v4, v17, s[8:9]
	v_add_co_u32_e64 v2, s[8:9], v13, v2
	v_mov_b32_e32 v10, s21
	v_mov_b32_e32 v11, s22
	;; [unrolled: 1-line block ×3, first 2 shown]
	v_addc_co_u32_e64 v3, s[8:9], v4, v3, s[8:9]
	global_store_dwordx4 v[18:19], v[9:12], off
	global_store_dwordx4 v[2:3], v[9:12], off
	s_branch .LBB134_82
.LBB134_85:                             ;   in Loop: Header=BB134_8 Depth=2
	s_and_b64 s[8:9], s[46:47], s[4:5]
	s_and_b64 vcc, exec, s[8:9]
	s_cbranch_vccz .LBB134_7
; %bb.86:                               ;   in Loop: Header=BB134_8 Depth=2
	v_cmp_lt_u32_e32 vcc, v1, v35
	s_waitcnt vmcnt(0)
	s_barrier
	s_and_saveexec_b64 s[10:11], vcc
	s_cbranch_execz .LBB134_6
; %bb.87:                               ;   in Loop: Header=BB134_8 Depth=2
	v_cmp_lt_u32_e32 vcc, v0, v35
	s_mov_b64 s[22:23], 0
	v_mov_b32_e32 v2, v22
	v_mov_b32_e32 v3, v1
	s_branch .LBB134_89
.LBB134_88:                             ;   in Loop: Header=BB134_89 Depth=3
	s_or_b64 exec, exec, s[46:47]
	v_add_u32_e32 v3, s62, v3
	v_cmp_ge_u32_e64 s[8:9], v3, v35
	s_or_b64 s[22:23], s[8:9], s[22:23]
	v_add_u32_e32 v2, s75, v2
	s_andn2_b64 exec, exec, s[22:23]
	s_cbranch_execz .LBB134_6
.LBB134_89:                             ;   Parent Loop BB134_3 Depth=1
                                        ;     Parent Loop BB134_8 Depth=2
                                        ; =>    This Loop Header: Depth=3
                                        ;         Child Loop BB134_91 Depth 4
	s_and_saveexec_b64 s[46:47], vcc
	s_cbranch_execz .LBB134_88
; %bb.90:                               ;   in Loop: Header=BB134_89 Depth=3
	s_mov_b64 s[48:49], 0
	v_mov_b32_e32 v6, v0
.LBB134_91:                             ;   Parent Loop BB134_3 Depth=1
                                        ;     Parent Loop BB134_8 Depth=2
                                        ;       Parent Loop BB134_89 Depth=3
                                        ; =>      This Inner Loop Header: Depth=4
	v_add_u32_e32 v4, v2, v6
	v_lshlrev_b64 v[11:12], 4, v[4:5]
	v_mov_b32_e32 v8, s43
	v_add_co_u32_e64 v7, s[8:9], s81, v11
	v_addc_co_u32_e64 v8, s[8:9], v8, v12, s[8:9]
	flat_load_dwordx4 v[7:10], v[7:8]
	v_add_u32_e32 v6, s35, v6
	v_cmp_ge_u32_e64 s[8:9], v6, v35
	v_mov_b32_e32 v4, s45
	s_or_b64 s[48:49], s[8:9], s[48:49]
	v_add_co_u32_e64 v11, s[8:9], s44, v11
	v_addc_co_u32_e64 v12, s[8:9], v4, v12, s[8:9]
	s_waitcnt vmcnt(0) lgkmcnt(0)
	global_store_dwordx4 v[11:12], v[7:10], off
	s_andn2_b64 exec, exec, s[48:49]
	s_cbranch_execnz .LBB134_91
	s_branch .LBB134_88
.LBB134_92:
	s_endpgm
	.section	.rodata,"a",@progbits
	.p2align	6, 0x0
	.amdhsa_kernel _ZN9rocsolver6v33100L17syevj_offd_kernelI19rocblas_complex_numIdEdPS3_EEviiT1_iilT0_PT_PiS9_S9_i
		.amdhsa_group_segment_fixed_size 0
		.amdhsa_private_segment_fixed_size 0
		.amdhsa_kernarg_size 336
		.amdhsa_user_sgpr_count 6
		.amdhsa_user_sgpr_private_segment_buffer 1
		.amdhsa_user_sgpr_dispatch_ptr 0
		.amdhsa_user_sgpr_queue_ptr 0
		.amdhsa_user_sgpr_kernarg_segment_ptr 1
		.amdhsa_user_sgpr_dispatch_id 0
		.amdhsa_user_sgpr_flat_scratch_init 0
		.amdhsa_user_sgpr_private_segment_size 0
		.amdhsa_uses_dynamic_stack 0
		.amdhsa_system_sgpr_private_segment_wavefront_offset 0
		.amdhsa_system_sgpr_workgroup_id_x 1
		.amdhsa_system_sgpr_workgroup_id_y 0
		.amdhsa_system_sgpr_workgroup_id_z 1
		.amdhsa_system_sgpr_workgroup_info 0
		.amdhsa_system_vgpr_workitem_id 1
		.amdhsa_next_free_vgpr 60
		.amdhsa_next_free_sgpr 86
		.amdhsa_reserve_vcc 1
		.amdhsa_reserve_flat_scratch 0
		.amdhsa_float_round_mode_32 0
		.amdhsa_float_round_mode_16_64 0
		.amdhsa_float_denorm_mode_32 3
		.amdhsa_float_denorm_mode_16_64 3
		.amdhsa_dx10_clamp 1
		.amdhsa_ieee_mode 1
		.amdhsa_fp16_overflow 0
		.amdhsa_exception_fp_ieee_invalid_op 0
		.amdhsa_exception_fp_denorm_src 0
		.amdhsa_exception_fp_ieee_div_zero 0
		.amdhsa_exception_fp_ieee_overflow 0
		.amdhsa_exception_fp_ieee_underflow 0
		.amdhsa_exception_fp_ieee_inexact 0
		.amdhsa_exception_int_div_zero 0
	.end_amdhsa_kernel
	.section	.text._ZN9rocsolver6v33100L17syevj_offd_kernelI19rocblas_complex_numIdEdPS3_EEviiT1_iilT0_PT_PiS9_S9_i,"axG",@progbits,_ZN9rocsolver6v33100L17syevj_offd_kernelI19rocblas_complex_numIdEdPS3_EEviiT1_iilT0_PT_PiS9_S9_i,comdat
.Lfunc_end134:
	.size	_ZN9rocsolver6v33100L17syevj_offd_kernelI19rocblas_complex_numIdEdPS3_EEviiT1_iilT0_PT_PiS9_S9_i, .Lfunc_end134-_ZN9rocsolver6v33100L17syevj_offd_kernelI19rocblas_complex_numIdEdPS3_EEviiT1_iilT0_PT_PiS9_S9_i
                                        ; -- End function
	.set _ZN9rocsolver6v33100L17syevj_offd_kernelI19rocblas_complex_numIdEdPS3_EEviiT1_iilT0_PT_PiS9_S9_i.num_vgpr, 60
	.set _ZN9rocsolver6v33100L17syevj_offd_kernelI19rocblas_complex_numIdEdPS3_EEviiT1_iilT0_PT_PiS9_S9_i.num_agpr, 0
	.set _ZN9rocsolver6v33100L17syevj_offd_kernelI19rocblas_complex_numIdEdPS3_EEviiT1_iilT0_PT_PiS9_S9_i.numbered_sgpr, 86
	.set _ZN9rocsolver6v33100L17syevj_offd_kernelI19rocblas_complex_numIdEdPS3_EEviiT1_iilT0_PT_PiS9_S9_i.num_named_barrier, 0
	.set _ZN9rocsolver6v33100L17syevj_offd_kernelI19rocblas_complex_numIdEdPS3_EEviiT1_iilT0_PT_PiS9_S9_i.private_seg_size, 0
	.set _ZN9rocsolver6v33100L17syevj_offd_kernelI19rocblas_complex_numIdEdPS3_EEviiT1_iilT0_PT_PiS9_S9_i.uses_vcc, 1
	.set _ZN9rocsolver6v33100L17syevj_offd_kernelI19rocblas_complex_numIdEdPS3_EEviiT1_iilT0_PT_PiS9_S9_i.uses_flat_scratch, 0
	.set _ZN9rocsolver6v33100L17syevj_offd_kernelI19rocblas_complex_numIdEdPS3_EEviiT1_iilT0_PT_PiS9_S9_i.has_dyn_sized_stack, 0
	.set _ZN9rocsolver6v33100L17syevj_offd_kernelI19rocblas_complex_numIdEdPS3_EEviiT1_iilT0_PT_PiS9_S9_i.has_recursion, 0
	.set _ZN9rocsolver6v33100L17syevj_offd_kernelI19rocblas_complex_numIdEdPS3_EEviiT1_iilT0_PT_PiS9_S9_i.has_indirect_call, 0
	.section	.AMDGPU.csdata,"",@progbits
; Kernel info:
; codeLenInByte = 6044
; TotalNumSgprs: 90
; NumVgprs: 60
; ScratchSize: 0
; MemoryBound: 0
; FloatMode: 240
; IeeeMode: 1
; LDSByteSize: 0 bytes/workgroup (compile time only)
; SGPRBlocks: 11
; VGPRBlocks: 14
; NumSGPRsForWavesPerEU: 90
; NumVGPRsForWavesPerEU: 60
; Occupancy: 4
; WaveLimiterHint : 1
; COMPUTE_PGM_RSRC2:SCRATCH_EN: 0
; COMPUTE_PGM_RSRC2:USER_SGPR: 6
; COMPUTE_PGM_RSRC2:TRAP_HANDLER: 0
; COMPUTE_PGM_RSRC2:TGID_X_EN: 1
; COMPUTE_PGM_RSRC2:TGID_Y_EN: 0
; COMPUTE_PGM_RSRC2:TGID_Z_EN: 1
; COMPUTE_PGM_RSRC2:TIDIG_COMP_CNT: 1
	.section	.text._ZN9rocsolver6v33100L21syevj_offd_rotate_orgILb0E19rocblas_complex_numIdEdPS3_EEvbiiT2_iilPT0_PiS8_S8_,"axG",@progbits,_ZN9rocsolver6v33100L21syevj_offd_rotate_orgILb0E19rocblas_complex_numIdEdPS3_EEvbiiT2_iilPT0_PiS8_S8_,comdat
	.globl	_ZN9rocsolver6v33100L21syevj_offd_rotate_orgILb0E19rocblas_complex_numIdEdPS3_EEvbiiT2_iilPT0_PiS8_S8_ ; -- Begin function _ZN9rocsolver6v33100L21syevj_offd_rotate_orgILb0E19rocblas_complex_numIdEdPS3_EEvbiiT2_iilPT0_PiS8_S8_
	.p2align	8
	.type	_ZN9rocsolver6v33100L21syevj_offd_rotate_orgILb0E19rocblas_complex_numIdEdPS3_EEvbiiT2_iilPT0_PiS8_S8_,@function
_ZN9rocsolver6v33100L21syevj_offd_rotate_orgILb0E19rocblas_complex_numIdEdPS3_EEvbiiT2_iilPT0_PiS8_S8_: ; @_ZN9rocsolver6v33100L21syevj_offd_rotate_orgILb0E19rocblas_complex_numIdEdPS3_EEvbiiT2_iilPT0_PiS8_S8_
; %bb.0:
	s_load_dwordx2 s[0:1], s[4:5], 0x40
	s_ashr_i32 s9, s8, 31
	s_lshl_b64 s[2:3], s[8:9], 2
	s_waitcnt lgkmcnt(0)
	s_add_u32 s0, s0, s2
	s_addc_u32 s1, s1, s3
	s_load_dword s0, s[0:1], 0x4
	s_waitcnt lgkmcnt(0)
	s_cmp_lg_u32 s0, 0
	s_cbranch_scc0 .LBB135_2
.LBB135_1:
	s_endpgm
.LBB135_2:
	s_load_dwordx8 s[12:19], s[4:5], 0x20
	s_mov_b32 s10, s7
	s_ashr_i32 s7, s6, 31
	s_lshl_b64 s[0:1], s[6:7], 2
	s_waitcnt lgkmcnt(0)
	s_add_u32 s2, s16, s0
	s_addc_u32 s3, s17, s1
	s_add_u32 s0, s18, s0
	s_load_dword s11, s[2:3], 0x0
	s_addc_u32 s1, s19, s1
	s_load_dword s20, s[0:1], 0x0
	s_load_dwordx4 s[16:19], s[4:5], 0x0
	s_waitcnt lgkmcnt(0)
	s_max_i32 s7, s11, s20
	s_cmp_ge_i32 s7, s17
	s_cbranch_scc1 .LBB135_1
; %bb.3:
	s_add_u32 s0, s4, 0x48
	s_addc_u32 s1, s5, 0
	s_bitcmp1_b32 s16, 0
	s_cselect_b64 s[2:3], -1, 0
	s_xor_b64 s[2:3], s[2:3], -1
	s_min_i32 s17, s11, s20
	s_and_b64 vcc, exec, s[2:3]
	s_mov_b32 s16, s10
	s_cbranch_vccnz .LBB135_5
; %bb.4:
	s_lshr_b32 s2, s16, 31
	s_add_i32 s2, s16, s2
	s_ashr_i32 s10, s2, 1
	s_cmp_lg_u32 s10, s17
	s_cselect_b64 s[2:3], -1, 0
	s_cmp_lg_u32 s10, s7
	s_cselect_b64 s[10:11], -1, 0
	s_and_b64 s[2:3], s[2:3], s[10:11]
.LBB135_5:
	s_andn2_b64 vcc, exec, s[2:3]
	s_cbranch_vccnz .LBB135_1
; %bb.6:
	s_load_dword s19, s[0:1], 0xc
	s_waitcnt lgkmcnt(0)
	s_bfe_u32 s10, s19, 0xf0001
	s_mul_i32 s11, s7, s10
	s_mul_i32 s1, s17, s10
	s_sub_i32 s2, s11, s10
	s_lshr_b32 s0, s19, 16
	v_mov_b32_e32 v2, s1
	v_mov_b32_e32 v3, s2
	v_cmp_gt_u32_e32 vcc, s10, v0
	v_cndmask_b32_e32 v2, v3, v2, vcc
	s_mul_i32 s16, s16, s0
	v_add_u32_e32 v11, v2, v0
	v_add_u32_e32 v6, s16, v1
	v_max_i32_e32 v2, v11, v6
	v_cmp_gt_i32_e32 vcc, s18, v2
	s_and_saveexec_b64 s[0:1], vcc
	s_cbranch_execz .LBB135_1
; %bb.7:
	s_load_dword s20, s[4:5], 0x48
	s_load_dwordx4 s[0:3], s[4:5], 0x10
	s_lshl_b32 s4, s10, 1
	v_mov_b32_e32 v4, 0
	v_mov_b32_e32 v2, 0
	s_waitcnt lgkmcnt(0)
	s_mul_i32 s5, s20, s8
	s_ashr_i32 s21, s2, 31
	s_mov_b32 s20, s2
	s_add_i32 s2, s5, s6
	s_mul_i32 s5, s12, s9
	s_mul_hi_u32 s6, s12, s8
	s_add_i32 s5, s6, s5
	s_mul_i32 s6, s13, s8
	s_add_i32 s9, s5, s6
	s_mul_i32 s8, s12, s8
	s_lshl_b64 s[8:9], s[8:9], 4
	s_add_u32 s5, s0, s8
	s_addc_u32 s6, s1, s9
	s_lshl_b64 s[0:1], s[20:21], 4
	s_mul_i32 s2, s2, s10
	s_add_u32 s0, s5, s0
	s_mul_i32 s2, s2, s10
	s_addc_u32 s1, s6, s1
	s_lshl_b32 s8, s2, 2
	s_ashr_i32 s9, s8, 31
	s_lshl_b64 s[8:9], s[8:9], 4
	s_add_u32 s2, s14, s8
	s_addc_u32 s5, s15, s9
	s_and_b32 s6, 0xffff, s19
	v_mov_b32_e32 v5, 0
	s_cmp_lt_u32 s6, 2
	v_mov_b32_e32 v3, 0
	s_cbranch_scc1 .LBB135_10
; %bb.8:
	s_mul_i32 s6, s3, s17
	s_mul_i32 s6, s6, s10
	s_add_i32 s6, s16, s6
	v_mov_b32_e32 v4, 0
	v_mov_b32_e32 v2, 0
	v_add_u32_e32 v7, s6, v1
	v_mov_b32_e32 v5, 0
	v_mov_b32_e32 v10, 0
	v_mov_b32_e32 v12, s5
	v_mov_b32_e32 v13, s1
	v_mov_b32_e32 v9, v0
	v_mov_b32_e32 v3, 0
	s_mov_b32 s6, s10
.LBB135_9:                              ; =>This Inner Loop Header: Depth=1
	v_lshlrev_b64 v[14:15], 4, v[9:10]
	v_ashrrev_i32_e32 v8, 31, v7
	v_lshlrev_b64 v[16:17], 4, v[7:8]
	v_add_co_u32_e32 v22, vcc, s2, v14
	v_addc_co_u32_e32 v23, vcc, v12, v15, vcc
	v_add_co_u32_e32 v24, vcc, s0, v16
	v_addc_co_u32_e32 v25, vcc, v13, v17, vcc
	global_load_dwordx4 v[14:17], v[22:23], off
	global_load_dwordx4 v[18:21], v[24:25], off
	s_add_i32 s6, s6, -1
	v_add_u32_e32 v9, s4, v9
	s_cmp_eq_u32 s6, 0
	v_add_u32_e32 v7, s3, v7
	s_waitcnt vmcnt(0)
	v_mul_f64 v[22:23], v[20:21], v[16:17]
	v_mul_f64 v[16:17], v[18:19], v[16:17]
	v_fma_f64 v[18:19], v[18:19], v[14:15], -v[22:23]
	v_fma_f64 v[14:15], v[20:21], v[14:15], v[16:17]
	v_add_f64 v[2:3], v[2:3], v[18:19]
	v_add_f64 v[4:5], v[4:5], v[14:15]
	s_cbranch_scc0 .LBB135_9
.LBB135_10:
	s_sub_i32 s6, s18, s11
	s_min_i32 s6, s6, s10
	s_cmp_lt_i32 s6, 1
	s_cbranch_scc1 .LBB135_13
; %bb.11:
	s_mul_i32 s7, s3, s7
	s_mul_i32 s7, s7, s10
	s_add_i32 s16, s16, s7
	s_mul_i32 s10, s10, s10
	v_add_u32_e32 v7, s16, v1
	v_lshl_add_u32 v0, s10, 1, v0
	v_mov_b32_e32 v1, 0
	v_mov_b32_e32 v9, s5
	;; [unrolled: 1-line block ×3, first 2 shown]
.LBB135_12:                             ; =>This Inner Loop Header: Depth=1
	v_lshlrev_b64 v[12:13], 4, v[0:1]
	v_ashrrev_i32_e32 v8, 31, v7
	v_lshlrev_b64 v[14:15], 4, v[7:8]
	v_add_co_u32_e32 v20, vcc, s2, v12
	v_addc_co_u32_e32 v21, vcc, v9, v13, vcc
	v_add_co_u32_e32 v22, vcc, s0, v14
	v_addc_co_u32_e32 v23, vcc, v10, v15, vcc
	global_load_dwordx4 v[12:15], v[20:21], off
	global_load_dwordx4 v[16:19], v[22:23], off
	s_add_i32 s6, s6, -1
	v_add_u32_e32 v0, s4, v0
	s_cmp_lg_u32 s6, 0
	v_add_u32_e32 v7, s3, v7
	s_waitcnt vmcnt(0)
	v_mul_f64 v[20:21], v[18:19], v[14:15]
	v_mul_f64 v[14:15], v[16:17], v[14:15]
	v_fma_f64 v[16:17], v[16:17], v[12:13], -v[20:21]
	v_fma_f64 v[12:13], v[18:19], v[12:13], v[14:15]
	v_add_f64 v[2:3], v[2:3], v[16:17]
	v_add_f64 v[4:5], v[4:5], v[12:13]
	s_cbranch_scc1 .LBB135_12
.LBB135_13:
	v_mad_u64_u32 v[0:1], s[2:3], v11, s3, v[6:7]
	v_mov_b32_e32 v6, s1
	v_ashrrev_i32_e32 v1, 31, v0
	v_lshlrev_b64 v[0:1], 4, v[0:1]
	s_barrier
	v_add_co_u32_e32 v0, vcc, s0, v0
	v_addc_co_u32_e32 v1, vcc, v6, v1, vcc
	global_store_dwordx4 v[0:1], v[2:5], off
	s_endpgm
	.section	.rodata,"a",@progbits
	.p2align	6, 0x0
	.amdhsa_kernel _ZN9rocsolver6v33100L21syevj_offd_rotate_orgILb0E19rocblas_complex_numIdEdPS3_EEvbiiT2_iilPT0_PiS8_S8_
		.amdhsa_group_segment_fixed_size 0
		.amdhsa_private_segment_fixed_size 0
		.amdhsa_kernarg_size 328
		.amdhsa_user_sgpr_count 6
		.amdhsa_user_sgpr_private_segment_buffer 1
		.amdhsa_user_sgpr_dispatch_ptr 0
		.amdhsa_user_sgpr_queue_ptr 0
		.amdhsa_user_sgpr_kernarg_segment_ptr 1
		.amdhsa_user_sgpr_dispatch_id 0
		.amdhsa_user_sgpr_flat_scratch_init 0
		.amdhsa_user_sgpr_private_segment_size 0
		.amdhsa_uses_dynamic_stack 0
		.amdhsa_system_sgpr_private_segment_wavefront_offset 0
		.amdhsa_system_sgpr_workgroup_id_x 1
		.amdhsa_system_sgpr_workgroup_id_y 1
		.amdhsa_system_sgpr_workgroup_id_z 1
		.amdhsa_system_sgpr_workgroup_info 0
		.amdhsa_system_vgpr_workitem_id 1
		.amdhsa_next_free_vgpr 26
		.amdhsa_next_free_sgpr 22
		.amdhsa_reserve_vcc 1
		.amdhsa_reserve_flat_scratch 0
		.amdhsa_float_round_mode_32 0
		.amdhsa_float_round_mode_16_64 0
		.amdhsa_float_denorm_mode_32 3
		.amdhsa_float_denorm_mode_16_64 3
		.amdhsa_dx10_clamp 1
		.amdhsa_ieee_mode 1
		.amdhsa_fp16_overflow 0
		.amdhsa_exception_fp_ieee_invalid_op 0
		.amdhsa_exception_fp_denorm_src 0
		.amdhsa_exception_fp_ieee_div_zero 0
		.amdhsa_exception_fp_ieee_overflow 0
		.amdhsa_exception_fp_ieee_underflow 0
		.amdhsa_exception_fp_ieee_inexact 0
		.amdhsa_exception_int_div_zero 0
	.end_amdhsa_kernel
	.section	.text._ZN9rocsolver6v33100L21syevj_offd_rotate_orgILb0E19rocblas_complex_numIdEdPS3_EEvbiiT2_iilPT0_PiS8_S8_,"axG",@progbits,_ZN9rocsolver6v33100L21syevj_offd_rotate_orgILb0E19rocblas_complex_numIdEdPS3_EEvbiiT2_iilPT0_PiS8_S8_,comdat
.Lfunc_end135:
	.size	_ZN9rocsolver6v33100L21syevj_offd_rotate_orgILb0E19rocblas_complex_numIdEdPS3_EEvbiiT2_iilPT0_PiS8_S8_, .Lfunc_end135-_ZN9rocsolver6v33100L21syevj_offd_rotate_orgILb0E19rocblas_complex_numIdEdPS3_EEvbiiT2_iilPT0_PiS8_S8_
                                        ; -- End function
	.set _ZN9rocsolver6v33100L21syevj_offd_rotate_orgILb0E19rocblas_complex_numIdEdPS3_EEvbiiT2_iilPT0_PiS8_S8_.num_vgpr, 26
	.set _ZN9rocsolver6v33100L21syevj_offd_rotate_orgILb0E19rocblas_complex_numIdEdPS3_EEvbiiT2_iilPT0_PiS8_S8_.num_agpr, 0
	.set _ZN9rocsolver6v33100L21syevj_offd_rotate_orgILb0E19rocblas_complex_numIdEdPS3_EEvbiiT2_iilPT0_PiS8_S8_.numbered_sgpr, 22
	.set _ZN9rocsolver6v33100L21syevj_offd_rotate_orgILb0E19rocblas_complex_numIdEdPS3_EEvbiiT2_iilPT0_PiS8_S8_.num_named_barrier, 0
	.set _ZN9rocsolver6v33100L21syevj_offd_rotate_orgILb0E19rocblas_complex_numIdEdPS3_EEvbiiT2_iilPT0_PiS8_S8_.private_seg_size, 0
	.set _ZN9rocsolver6v33100L21syevj_offd_rotate_orgILb0E19rocblas_complex_numIdEdPS3_EEvbiiT2_iilPT0_PiS8_S8_.uses_vcc, 1
	.set _ZN9rocsolver6v33100L21syevj_offd_rotate_orgILb0E19rocblas_complex_numIdEdPS3_EEvbiiT2_iilPT0_PiS8_S8_.uses_flat_scratch, 0
	.set _ZN9rocsolver6v33100L21syevj_offd_rotate_orgILb0E19rocblas_complex_numIdEdPS3_EEvbiiT2_iilPT0_PiS8_S8_.has_dyn_sized_stack, 0
	.set _ZN9rocsolver6v33100L21syevj_offd_rotate_orgILb0E19rocblas_complex_numIdEdPS3_EEvbiiT2_iilPT0_PiS8_S8_.has_recursion, 0
	.set _ZN9rocsolver6v33100L21syevj_offd_rotate_orgILb0E19rocblas_complex_numIdEdPS3_EEvbiiT2_iilPT0_PiS8_S8_.has_indirect_call, 0
	.section	.AMDGPU.csdata,"",@progbits
; Kernel info:
; codeLenInByte = 844
; TotalNumSgprs: 26
; NumVgprs: 26
; ScratchSize: 0
; MemoryBound: 0
; FloatMode: 240
; IeeeMode: 1
; LDSByteSize: 0 bytes/workgroup (compile time only)
; SGPRBlocks: 3
; VGPRBlocks: 6
; NumSGPRsForWavesPerEU: 26
; NumVGPRsForWavesPerEU: 26
; Occupancy: 9
; WaveLimiterHint : 0
; COMPUTE_PGM_RSRC2:SCRATCH_EN: 0
; COMPUTE_PGM_RSRC2:USER_SGPR: 6
; COMPUTE_PGM_RSRC2:TRAP_HANDLER: 0
; COMPUTE_PGM_RSRC2:TGID_X_EN: 1
; COMPUTE_PGM_RSRC2:TGID_Y_EN: 1
; COMPUTE_PGM_RSRC2:TGID_Z_EN: 1
; COMPUTE_PGM_RSRC2:TIDIG_COMP_CNT: 1
	.section	.text._ZN9rocsolver6v33100L17syevj_offd_rotateILb0E19rocblas_complex_numIdEdPS3_EEvbiiT2_iilPT0_PiS8_S8_i,"axG",@progbits,_ZN9rocsolver6v33100L17syevj_offd_rotateILb0E19rocblas_complex_numIdEdPS3_EEvbiiT2_iilPT0_PiS8_S8_i,comdat
	.globl	_ZN9rocsolver6v33100L17syevj_offd_rotateILb0E19rocblas_complex_numIdEdPS3_EEvbiiT2_iilPT0_PiS8_S8_i ; -- Begin function _ZN9rocsolver6v33100L17syevj_offd_rotateILb0E19rocblas_complex_numIdEdPS3_EEvbiiT2_iilPT0_PiS8_S8_i
	.p2align	8
	.type	_ZN9rocsolver6v33100L17syevj_offd_rotateILb0E19rocblas_complex_numIdEdPS3_EEvbiiT2_iilPT0_PiS8_S8_i,@function
_ZN9rocsolver6v33100L17syevj_offd_rotateILb0E19rocblas_complex_numIdEdPS3_EEvbiiT2_iilPT0_PiS8_S8_i: ; @_ZN9rocsolver6v33100L17syevj_offd_rotateILb0E19rocblas_complex_numIdEdPS3_EEvbiiT2_iilPT0_PiS8_S8_i
; %bb.0:
	s_load_dwordx4 s[20:23], s[4:5], 0x0
	s_load_dword s33, s[4:5], 0x48
	s_waitcnt lgkmcnt(0)
	s_abs_i32 s2, s21
	v_cvt_f32_u32_e32 v2, s2
	s_cmp_ge_u32 s8, s33
	v_rcp_iflag_f32_e32 v2, v2
	v_mul_f32_e32 v2, 0x4f7ffffe, v2
	v_cvt_u32_f32_e32 v2, v2
	v_readfirstlane_b32 s3, v2
	s_cbranch_scc1 .LBB136_36
; %bb.1:
	s_sub_i32 s10, 0, s2
	s_mov_b64 s[0:1], src_shared_base
	s_mul_i32 s10, s10, s3
	s_add_i32 s0, s22, -1
	s_mul_hi_u32 s10, s3, s10
	s_ashr_i32 s9, s0, 31
	s_ashr_i32 s24, s21, 31
	s_abs_i32 s0, s0
	s_add_i32 s3, s3, s10
	s_bitcmp1_b32 s20, 0
	s_mul_hi_u32 s3, s0, s3
	s_cselect_b64 s[10:11], -1, 0
	v_cndmask_b32_e64 v9, 0, 1, s[10:11]
	s_xor_b64 s[34:35], s[10:11], -1
	s_mul_i32 s10, s3, s2
	s_sub_i32 s0, s0, s10
	s_xor_b32 s9, s9, s24
	s_add_i32 s10, s3, 1
	s_sub_i32 s11, s0, s2
	s_cmp_ge_u32 s0, s2
	s_cselect_b32 s3, s10, s3
	s_cselect_b32 s0, s11, s0
	s_add_i32 s10, s3, 1
	s_cmp_ge_u32 s0, s2
	s_cselect_b32 s0, s10, s3
	s_xor_b32 s0, s0, s9
	s_sub_i32 s20, s0, s9
	s_add_i32 s48, s20, 1
	s_lshr_b32 s0, s48, 31
	s_add_i32 s0, s48, s0
	s_and_b32 s0, s0, -2
	s_sub_i32 s0, s48, s0
	s_load_dwordx4 s[28:31], s[4:5], 0x10
	s_load_dwordx8 s[12:19], s[4:5], 0x20
	s_load_dwordx2 s[36:37], s[4:5], 0x40
	s_load_dwordx4 s[24:27], s[4:5], 0x50
	s_add_i32 s0, s0, s48
	s_lshr_b32 s2, s0, 31
	s_add_i32 s0, s0, s2
	s_lshl_b32 s51, s21, 1
	s_ashr_i32 s49, s0, 1
	s_mul_i32 s0, s51, s21
	s_lshl_b32 s2, s0, 4
	s_waitcnt lgkmcnt(0)
	s_lshr_b32 s50, s27, 16
	s_and_b32 s27, s27, 0xffff
	s_add_i32 s52, s2, 0
	s_mul_i32 s0, s0, 3
	s_cmpk_lt_u32 s0, 0x1001
	s_mul_i32 s9, s21, s21
	s_cselect_b64 s[38:39], -1, 0
	s_ashr_i32 s3, s30, 31
	s_lshl_b32 s54, s9, 2
	s_cmp_lt_u32 s6, s49
	s_mul_i32 s0, s20, s21
	s_cselect_b64 s[4:5], -1, 0
	s_sub_i32 s55, s22, s0
	s_mov_b32 s2, s30
	s_cmp_lt_u32 s7, s48
	s_cselect_b64 s[40:41], -1, 0
	s_ashr_i32 s57, s31, 31
	s_lshl_b64 s[2:3], s[2:3], 4
	s_add_u32 s59, s28, s2
	s_addc_u32 s60, s29, s3
	s_lshl_b32 s2, s9, 5
	v_mad_u32_u24 v10, v1, s27, v0
	s_mul_i32 s56, s50, s27
	s_add_i32 s2, s2, 0
	v_cndmask_b32_e64 v2, 0, 1, s[4:5]
	s_mov_b32 s23, 0
	s_mov_b32 s53, s1
	v_cmp_gt_u32_e64 s[0:1], s54, v10
	s_mov_b32 s58, s31
	v_lshl_add_u32 v11, v10, 4, s2
	s_lshl_b32 s61, s56, 4
	v_lshl_add_u32 v6, v0, 4, 0
	s_lshl_b32 s62, s50, 4
	s_lshl_b32 s63, s27, 4
	v_mov_b32_e32 v8, 0
	v_cmp_ne_u32_e64 s[2:3], 1, v2
	s_branch .LBB136_3
.LBB136_2:                              ;   in Loop: Header=BB136_3 Depth=1
	s_add_i32 s8, s8, s26
	s_cmp_ge_u32 s8, s33
	s_cbranch_scc1 .LBB136_36
.LBB136_3:                              ; =>This Loop Header: Depth=1
                                        ;     Child Loop BB136_7 Depth 2
                                        ;       Child Loop BB136_11 Depth 3
                                        ;       Child Loop BB136_17 Depth 3
                                        ;         Child Loop BB136_23 Depth 4
                                        ;           Child Loop BB136_25 Depth 5
                                        ;         Child Loop BB136_29 Depth 4
                                        ;           Child Loop BB136_33 Depth 5
                                        ;             Child Loop BB136_35 Depth 6
	s_mov_b32 s9, s23
	s_lshl_b64 s[4:5], s[8:9], 2
	s_add_u32 s4, s36, s4
	s_addc_u32 s5, s37, s5
	s_load_dword s4, s[4:5], 0x4
	s_waitcnt lgkmcnt(0)
	s_cmp_lg_u32 s4, 0
	s_cbranch_scc1 .LBB136_2
; %bb.4:                                ;   in Loop: Header=BB136_3 Depth=1
	s_and_b64 vcc, exec, s[2:3]
	s_cbranch_vccnz .LBB136_2
; %bb.5:                                ;   in Loop: Header=BB136_3 Depth=1
	s_mul_i32 s4, s13, s8
	s_mul_hi_u32 s5, s12, s8
	s_add_i32 s5, s5, s4
	s_mul_i32 s4, s12, s8
	s_lshl_b64 s[4:5], s[4:5], 4
	s_add_u32 s9, s59, s4
	s_addc_u32 s64, s60, s5
	s_mov_b32 s22, s6
	s_branch .LBB136_7
.LBB136_6:                              ;   in Loop: Header=BB136_7 Depth=2
	s_add_i32 s22, s22, s24
	s_cmp_lt_u32 s22, s49
	s_cbranch_scc0 .LBB136_2
.LBB136_7:                              ;   Parent Loop BB136_3 Depth=1
                                        ; =>  This Loop Header: Depth=2
                                        ;       Child Loop BB136_11 Depth 3
                                        ;       Child Loop BB136_17 Depth 3
                                        ;         Child Loop BB136_23 Depth 4
                                        ;           Child Loop BB136_25 Depth 5
                                        ;         Child Loop BB136_29 Depth 4
                                        ;           Child Loop BB136_33 Depth 5
                                        ;             Child Loop BB136_35 Depth 6
	s_lshl_b64 s[4:5], s[22:23], 2
	s_add_u32 s10, s16, s4
	s_addc_u32 s11, s17, s5
	s_add_u32 s4, s18, s4
	s_addc_u32 s5, s19, s5
	s_load_dword s28, s[4:5], 0x0
	s_load_dword s29, s[10:11], 0x0
	s_waitcnt lgkmcnt(0)
	s_max_i32 s65, s29, s28
	s_cmp_gt_i32 s65, s20
	s_cbranch_scc1 .LBB136_6
; %bb.8:                                ;   in Loop: Header=BB136_7 Depth=2
	s_mul_i32 s4, s8, s49
	s_add_i32 s4, s22, s4
	s_mul_i32 s4, s54, s4
	s_mov_b32 s5, s23
	s_lshl_b64 s[4:5], s[4:5], 4
	s_add_u32 s30, s14, s4
	s_addc_u32 s31, s15, s5
	s_andn2_b64 vcc, exec, s[38:39]
	s_cbranch_vccnz .LBB136_13
; %bb.9:                                ;   in Loop: Header=BB136_7 Depth=2
	s_barrier
	s_and_saveexec_b64 s[4:5], s[0:1]
	s_cbranch_execz .LBB136_12
; %bb.10:                               ;   in Loop: Header=BB136_7 Depth=2
	s_mov_b64 s[10:11], 0
	v_mov_b32_e32 v2, s31
	v_mov_b32_e32 v3, v11
	;; [unrolled: 1-line block ×3, first 2 shown]
.LBB136_11:                             ;   Parent Loop BB136_3 Depth=1
                                        ;     Parent Loop BB136_7 Depth=2
                                        ; =>    This Inner Loop Header: Depth=3
	v_lshlrev_b64 v[4:5], 4, v[7:8]
	v_add_u32_e32 v7, s56, v7
	v_add_co_u32_e32 v4, vcc, s30, v4
	v_addc_co_u32_e32 v5, vcc, v2, v5, vcc
	global_load_dwordx4 v[12:15], v[4:5], off
	v_cmp_le_u32_e32 vcc, s54, v7
	s_or_b64 s[10:11], vcc, s[10:11]
	s_waitcnt vmcnt(0)
	ds_write2_b64 v3, v[12:13], v[14:15] offset1:1
	v_add_u32_e32 v3, s61, v3
	s_andn2_b64 exec, exec, s[10:11]
	s_cbranch_execnz .LBB136_11
.LBB136_12:                             ;   in Loop: Header=BB136_7 Depth=2
	s_or_b64 exec, exec, s[4:5]
	s_waitcnt lgkmcnt(0)
	s_barrier
.LBB136_13:                             ;   in Loop: Header=BB136_7 Depth=2
	s_andn2_b64 vcc, exec, s[40:41]
	s_cbranch_vccnz .LBB136_6
; %bb.14:                               ;   in Loop: Header=BB136_7 Depth=2
	s_min_i32 s66, s28, s29
	s_cmp_eq_u32 s66, s20
	s_cselect_b32 s68, s55, s21
	s_cmp_eq_u32 s65, s20
	s_cselect_b32 s4, s55, s21
	s_add_i32 s69, s68, s4
	s_mul_i32 s10, s65, s21
	s_and_b64 s[4:5], s[38:39], exec
	s_cselect_b32 s70, s53, s31
	s_cselect_b32 s71, s52, s30
	s_sub_i32 s72, s10, s68
	s_cmp_gt_i32 s69, 0
	s_mul_i32 s67, s66, s21
	v_cmp_gt_u32_e64 s[4:5], s69, v1
	s_cselect_b64 s[28:29], -1, 0
	s_mul_i32 s73, s7, s21
	s_mov_b32 s74, s7
	s_branch .LBB136_17
.LBB136_15:                             ;   in Loop: Header=BB136_17 Depth=3
	s_or_b64 exec, exec, s[30:31]
	s_waitcnt vmcnt(0)
	s_barrier
.LBB136_16:                             ;   in Loop: Header=BB136_17 Depth=3
	s_mul_i32 s10, s25, s21
	s_add_i32 s74, s74, s25
	s_add_i32 s73, s73, s10
	s_cmp_lt_u32 s74, s48
	s_cbranch_scc0 .LBB136_6
.LBB136_17:                             ;   Parent Loop BB136_3 Depth=1
                                        ;     Parent Loop BB136_7 Depth=2
                                        ; =>    This Loop Header: Depth=3
                                        ;         Child Loop BB136_23 Depth 4
                                        ;           Child Loop BB136_25 Depth 5
                                        ;         Child Loop BB136_29 Depth 4
                                        ;           Child Loop BB136_33 Depth 5
                                        ;             Child Loop BB136_35 Depth 6
	v_cmp_ne_u32_e32 vcc, 1, v9
	s_mov_b64 s[10:11], s[34:35]
	s_cbranch_vccnz .LBB136_19
; %bb.18:                               ;   in Loop: Header=BB136_17 Depth=3
	s_cmp_lg_u32 s74, s66
	s_cselect_b64 s[10:11], -1, 0
	s_cmp_lg_u32 s74, s65
	s_cselect_b64 s[30:31], -1, 0
	s_and_b64 s[10:11], s[10:11], s[30:31]
.LBB136_19:                             ;   in Loop: Header=BB136_17 Depth=3
	s_andn2_b64 vcc, exec, s[10:11]
	s_cbranch_vccnz .LBB136_16
; %bb.20:                               ;   in Loop: Header=BB136_17 Depth=3
	s_cmp_eq_u32 s74, s20
	s_cselect_b32 s75, s55, s21
	s_barrier
	s_and_saveexec_b64 s[30:31], s[4:5]
	s_cbranch_execz .LBB136_26
; %bb.21:                               ;   in Loop: Header=BB136_17 Depth=3
	v_lshlrev_b32_e32 v2, 4, v1
	v_mad_u64_u32 v[2:3], s[10:11], v2, s75, v[6:7]
	v_cmp_gt_u32_e32 vcc, s75, v0
	s_mul_i32 s76, s62, s75
	s_mov_b64 s[42:43], 0
	v_mov_b32_e32 v3, v1
	s_branch .LBB136_23
.LBB136_22:                             ;   in Loop: Header=BB136_23 Depth=4
	s_or_b64 exec, exec, s[44:45]
	v_add_u32_e32 v3, s50, v3
	v_cmp_le_u32_e64 s[10:11], s69, v3
	s_or_b64 s[42:43], s[10:11], s[42:43]
	v_add_u32_e32 v2, s76, v2
	s_andn2_b64 exec, exec, s[42:43]
	s_cbranch_execz .LBB136_26
.LBB136_23:                             ;   Parent Loop BB136_3 Depth=1
                                        ;     Parent Loop BB136_7 Depth=2
                                        ;       Parent Loop BB136_17 Depth=3
                                        ; =>      This Loop Header: Depth=4
                                        ;           Child Loop BB136_25 Depth 5
	s_and_saveexec_b64 s[44:45], vcc
	s_cbranch_execz .LBB136_22
; %bb.24:                               ;   in Loop: Header=BB136_23 Depth=4
	v_mov_b32_e32 v4, s72
	v_mov_b32_e32 v5, s67
	v_cmp_gt_u32_e64 s[10:11], s68, v3
	v_cndmask_b32_e64 v4, v4, v5, s[10:11]
	v_add_u32_e32 v7, v3, v4
	v_mad_u64_u32 v[4:5], s[10:11], v7, s58, 0
	s_mov_b64 s[46:47], 0
	v_mad_u64_u32 v[12:13], s[10:11], v7, s57, v[5:6]
	v_mov_b32_e32 v7, s64
	v_mov_b32_e32 v13, v0
	;; [unrolled: 1-line block ×3, first 2 shown]
	v_lshlrev_b64 v[4:5], 4, v[4:5]
	v_mov_b32_e32 v12, v2
	v_add_co_u32_e64 v4, s[10:11], s9, v4
	v_addc_co_u32_e64 v5, s[10:11], v7, v5, s[10:11]
.LBB136_25:                             ;   Parent Loop BB136_3 Depth=1
                                        ;     Parent Loop BB136_7 Depth=2
                                        ;       Parent Loop BB136_17 Depth=3
                                        ;         Parent Loop BB136_23 Depth=4
                                        ; =>        This Inner Loop Header: Depth=5
	v_add_u32_e32 v7, s73, v13
	v_lshlrev_b64 v[14:15], 4, v[7:8]
	v_add_u32_e32 v13, s27, v13
	v_add_co_u32_e64 v14, s[10:11], v4, v14
	v_addc_co_u32_e64 v15, s[10:11], v5, v15, s[10:11]
	global_load_dwordx4 v[14:17], v[14:15], off
	v_cmp_le_u32_e64 s[10:11], s75, v13
	s_or_b64 s[46:47], s[10:11], s[46:47]
	s_waitcnt vmcnt(0)
	ds_write2_b64 v12, v[14:15], v[16:17] offset1:1
	v_add_u32_e32 v12, s63, v12
	s_andn2_b64 exec, exec, s[46:47]
	s_cbranch_execnz .LBB136_25
	s_branch .LBB136_22
.LBB136_26:                             ;   in Loop: Header=BB136_17 Depth=3
	s_or_b64 exec, exec, s[30:31]
	s_waitcnt lgkmcnt(0)
	s_barrier
	s_and_saveexec_b64 s[30:31], s[4:5]
	s_cbranch_execz .LBB136_15
; %bb.27:                               ;   in Loop: Header=BB136_17 Depth=3
	s_mul_i32 s76, s74, s21
	v_cmp_gt_u32_e64 s[10:11], s75, v0
	s_lshl_b32 s77, s75, 4
	s_mov_b64 s[42:43], 0
	v_mov_b32_e32 v12, v1
	s_branch .LBB136_29
.LBB136_28:                             ;   in Loop: Header=BB136_29 Depth=4
	s_or_b64 exec, exec, s[44:45]
	v_add_u32_e32 v12, s50, v12
	v_cmp_le_u32_e32 vcc, s69, v12
	s_or_b64 s[42:43], vcc, s[42:43]
	s_andn2_b64 exec, exec, s[42:43]
	s_cbranch_execz .LBB136_15
.LBB136_29:                             ;   Parent Loop BB136_3 Depth=1
                                        ;     Parent Loop BB136_7 Depth=2
                                        ;       Parent Loop BB136_17 Depth=3
                                        ; =>      This Loop Header: Depth=4
                                        ;           Child Loop BB136_33 Depth 5
                                        ;             Child Loop BB136_35 Depth 6
	s_and_saveexec_b64 s[44:45], s[10:11]
	s_cbranch_execz .LBB136_28
; %bb.30:                               ;   in Loop: Header=BB136_29 Depth=4
	v_mov_b32_e32 v2, s72
	v_mov_b32_e32 v3, s67
	v_cmp_gt_u32_e32 vcc, s68, v12
	v_cndmask_b32_e32 v2, v2, v3, vcc
	v_add_u32_e32 v4, v12, v2
	v_mad_u64_u32 v[2:3], s[46:47], v4, s58, 0
	v_mov_b32_e32 v15, v6
	v_mov_b32_e32 v16, v0
	v_mad_u64_u32 v[3:4], s[46:47], v4, s57, v[3:4]
	v_mov_b32_e32 v4, s64
	s_mov_b64 s[46:47], 0
	v_lshlrev_b64 v[2:3], 4, v[2:3]
	v_add_co_u32_e32 v13, vcc, s9, v2
	v_addc_co_u32_e32 v14, vcc, v4, v3, vcc
	s_branch .LBB136_33
.LBB136_31:                             ;   in Loop: Header=BB136_33 Depth=5
	v_mov_b32_e32 v2, v4
	v_mov_b32_e32 v3, v5
.LBB136_32:                             ;   in Loop: Header=BB136_33 Depth=5
	v_add_u32_e32 v7, s76, v16
	v_lshlrev_b64 v[17:18], 4, v[7:8]
	v_add_u32_e32 v16, s27, v16
	v_add_co_u32_e32 v17, vcc, v13, v17
	v_addc_co_u32_e32 v18, vcc, v14, v18, vcc
	v_cmp_le_u32_e32 vcc, s75, v16
	s_or_b64 s[46:47], vcc, s[46:47]
	v_add_u32_e32 v15, s63, v15
	global_store_dwordx4 v[17:18], v[2:5], off
	s_andn2_b64 exec, exec, s[46:47]
	s_cbranch_execz .LBB136_28
.LBB136_33:                             ;   Parent Loop BB136_3 Depth=1
                                        ;     Parent Loop BB136_7 Depth=2
                                        ;       Parent Loop BB136_17 Depth=3
                                        ;         Parent Loop BB136_29 Depth=4
                                        ; =>        This Loop Header: Depth=5
                                        ;             Child Loop BB136_35 Depth 6
	v_mov_b32_e32 v4, 0
	v_mov_b32_e32 v5, 0
	s_andn2_b64 vcc, exec, s[28:29]
	s_cbranch_vccnz .LBB136_31
; %bb.34:                               ;   in Loop: Header=BB136_33 Depth=5
	v_mov_b32_e32 v2, v4
	v_mov_b32_e32 v7, v12
	v_mov_b32_e32 v17, v15
	s_mov_b32 s78, s69
	v_mov_b32_e32 v3, v5
.LBB136_35:                             ;   Parent Loop BB136_3 Depth=1
                                        ;     Parent Loop BB136_7 Depth=2
                                        ;       Parent Loop BB136_17 Depth=3
                                        ;         Parent Loop BB136_29 Depth=4
                                        ;           Parent Loop BB136_33 Depth=5
                                        ; =>          This Inner Loop Header: Depth=6
	v_lshlrev_b64 v[18:19], 4, v[7:8]
	v_mov_b32_e32 v20, s70
	v_add_co_u32_e32 v18, vcc, s71, v18
	v_addc_co_u32_e32 v19, vcc, v20, v19, vcc
	flat_load_dwordx4 v[18:21], v[18:19]
	ds_read2_b64 v[22:25], v17 offset1:1
	s_add_i32 s78, s78, -1
	v_add_u32_e32 v17, s77, v17
	s_cmp_eq_u32 s78, 0
	v_add_u32_e32 v7, s51, v7
	s_waitcnt vmcnt(0) lgkmcnt(0)
	v_mul_f64 v[26:27], v[24:25], v[20:21]
	v_mul_f64 v[20:21], v[22:23], v[20:21]
	v_fma_f64 v[22:23], v[22:23], v[18:19], -v[26:27]
	v_fma_f64 v[18:19], v[24:25], v[18:19], v[20:21]
	v_add_f64 v[2:3], v[2:3], v[22:23]
	v_add_f64 v[4:5], v[4:5], v[18:19]
	s_cbranch_scc0 .LBB136_35
	s_branch .LBB136_32
.LBB136_36:
	s_endpgm
	.section	.rodata,"a",@progbits
	.p2align	6, 0x0
	.amdhsa_kernel _ZN9rocsolver6v33100L17syevj_offd_rotateILb0E19rocblas_complex_numIdEdPS3_EEvbiiT2_iilPT0_PiS8_S8_i
		.amdhsa_group_segment_fixed_size 0
		.amdhsa_private_segment_fixed_size 0
		.amdhsa_kernarg_size 336
		.amdhsa_user_sgpr_count 6
		.amdhsa_user_sgpr_private_segment_buffer 1
		.amdhsa_user_sgpr_dispatch_ptr 0
		.amdhsa_user_sgpr_queue_ptr 0
		.amdhsa_user_sgpr_kernarg_segment_ptr 1
		.amdhsa_user_sgpr_dispatch_id 0
		.amdhsa_user_sgpr_flat_scratch_init 0
		.amdhsa_user_sgpr_private_segment_size 0
		.amdhsa_uses_dynamic_stack 0
		.amdhsa_system_sgpr_private_segment_wavefront_offset 0
		.amdhsa_system_sgpr_workgroup_id_x 1
		.amdhsa_system_sgpr_workgroup_id_y 1
		.amdhsa_system_sgpr_workgroup_id_z 1
		.amdhsa_system_sgpr_workgroup_info 0
		.amdhsa_system_vgpr_workitem_id 1
		.amdhsa_next_free_vgpr 28
		.amdhsa_next_free_sgpr 79
		.amdhsa_reserve_vcc 1
		.amdhsa_reserve_flat_scratch 0
		.amdhsa_float_round_mode_32 0
		.amdhsa_float_round_mode_16_64 0
		.amdhsa_float_denorm_mode_32 3
		.amdhsa_float_denorm_mode_16_64 3
		.amdhsa_dx10_clamp 1
		.amdhsa_ieee_mode 1
		.amdhsa_fp16_overflow 0
		.amdhsa_exception_fp_ieee_invalid_op 0
		.amdhsa_exception_fp_denorm_src 0
		.amdhsa_exception_fp_ieee_div_zero 0
		.amdhsa_exception_fp_ieee_overflow 0
		.amdhsa_exception_fp_ieee_underflow 0
		.amdhsa_exception_fp_ieee_inexact 0
		.amdhsa_exception_int_div_zero 0
	.end_amdhsa_kernel
	.section	.text._ZN9rocsolver6v33100L17syevj_offd_rotateILb0E19rocblas_complex_numIdEdPS3_EEvbiiT2_iilPT0_PiS8_S8_i,"axG",@progbits,_ZN9rocsolver6v33100L17syevj_offd_rotateILb0E19rocblas_complex_numIdEdPS3_EEvbiiT2_iilPT0_PiS8_S8_i,comdat
.Lfunc_end136:
	.size	_ZN9rocsolver6v33100L17syevj_offd_rotateILb0E19rocblas_complex_numIdEdPS3_EEvbiiT2_iilPT0_PiS8_S8_i, .Lfunc_end136-_ZN9rocsolver6v33100L17syevj_offd_rotateILb0E19rocblas_complex_numIdEdPS3_EEvbiiT2_iilPT0_PiS8_S8_i
                                        ; -- End function
	.set _ZN9rocsolver6v33100L17syevj_offd_rotateILb0E19rocblas_complex_numIdEdPS3_EEvbiiT2_iilPT0_PiS8_S8_i.num_vgpr, 28
	.set _ZN9rocsolver6v33100L17syevj_offd_rotateILb0E19rocblas_complex_numIdEdPS3_EEvbiiT2_iilPT0_PiS8_S8_i.num_agpr, 0
	.set _ZN9rocsolver6v33100L17syevj_offd_rotateILb0E19rocblas_complex_numIdEdPS3_EEvbiiT2_iilPT0_PiS8_S8_i.numbered_sgpr, 79
	.set _ZN9rocsolver6v33100L17syevj_offd_rotateILb0E19rocblas_complex_numIdEdPS3_EEvbiiT2_iilPT0_PiS8_S8_i.num_named_barrier, 0
	.set _ZN9rocsolver6v33100L17syevj_offd_rotateILb0E19rocblas_complex_numIdEdPS3_EEvbiiT2_iilPT0_PiS8_S8_i.private_seg_size, 0
	.set _ZN9rocsolver6v33100L17syevj_offd_rotateILb0E19rocblas_complex_numIdEdPS3_EEvbiiT2_iilPT0_PiS8_S8_i.uses_vcc, 1
	.set _ZN9rocsolver6v33100L17syevj_offd_rotateILb0E19rocblas_complex_numIdEdPS3_EEvbiiT2_iilPT0_PiS8_S8_i.uses_flat_scratch, 0
	.set _ZN9rocsolver6v33100L17syevj_offd_rotateILb0E19rocblas_complex_numIdEdPS3_EEvbiiT2_iilPT0_PiS8_S8_i.has_dyn_sized_stack, 0
	.set _ZN9rocsolver6v33100L17syevj_offd_rotateILb0E19rocblas_complex_numIdEdPS3_EEvbiiT2_iilPT0_PiS8_S8_i.has_recursion, 0
	.set _ZN9rocsolver6v33100L17syevj_offd_rotateILb0E19rocblas_complex_numIdEdPS3_EEvbiiT2_iilPT0_PiS8_S8_i.has_indirect_call, 0
	.section	.AMDGPU.csdata,"",@progbits
; Kernel info:
; codeLenInByte = 1500
; TotalNumSgprs: 83
; NumVgprs: 28
; ScratchSize: 0
; MemoryBound: 0
; FloatMode: 240
; IeeeMode: 1
; LDSByteSize: 0 bytes/workgroup (compile time only)
; SGPRBlocks: 10
; VGPRBlocks: 6
; NumSGPRsForWavesPerEU: 83
; NumVGPRsForWavesPerEU: 28
; Occupancy: 9
; WaveLimiterHint : 1
; COMPUTE_PGM_RSRC2:SCRATCH_EN: 0
; COMPUTE_PGM_RSRC2:USER_SGPR: 6
; COMPUTE_PGM_RSRC2:TRAP_HANDLER: 0
; COMPUTE_PGM_RSRC2:TGID_X_EN: 1
; COMPUTE_PGM_RSRC2:TGID_Y_EN: 1
; COMPUTE_PGM_RSRC2:TGID_Z_EN: 1
; COMPUTE_PGM_RSRC2:TIDIG_COMP_CNT: 1
	.section	.text._ZN9rocsolver6v33100L21syevj_offd_rotate_orgILb1E19rocblas_complex_numIdEdPS3_EEvbiiT2_iilPT0_PiS8_S8_,"axG",@progbits,_ZN9rocsolver6v33100L21syevj_offd_rotate_orgILb1E19rocblas_complex_numIdEdPS3_EEvbiiT2_iilPT0_PiS8_S8_,comdat
	.globl	_ZN9rocsolver6v33100L21syevj_offd_rotate_orgILb1E19rocblas_complex_numIdEdPS3_EEvbiiT2_iilPT0_PiS8_S8_ ; -- Begin function _ZN9rocsolver6v33100L21syevj_offd_rotate_orgILb1E19rocblas_complex_numIdEdPS3_EEvbiiT2_iilPT0_PiS8_S8_
	.p2align	8
	.type	_ZN9rocsolver6v33100L21syevj_offd_rotate_orgILb1E19rocblas_complex_numIdEdPS3_EEvbiiT2_iilPT0_PiS8_S8_,@function
_ZN9rocsolver6v33100L21syevj_offd_rotate_orgILb1E19rocblas_complex_numIdEdPS3_EEvbiiT2_iilPT0_PiS8_S8_: ; @_ZN9rocsolver6v33100L21syevj_offd_rotate_orgILb1E19rocblas_complex_numIdEdPS3_EEvbiiT2_iilPT0_PiS8_S8_
; %bb.0:
	s_load_dwordx2 s[0:1], s[4:5], 0x40
	s_ashr_i32 s9, s8, 31
	s_lshl_b64 s[2:3], s[8:9], 2
	s_waitcnt lgkmcnt(0)
	s_add_u32 s0, s0, s2
	s_addc_u32 s1, s1, s3
	s_load_dword s0, s[0:1], 0x4
	s_waitcnt lgkmcnt(0)
	s_cmp_lg_u32 s0, 0
	s_cbranch_scc0 .LBB137_2
.LBB137_1:
	s_endpgm
.LBB137_2:
	s_load_dwordx8 s[12:19], s[4:5], 0x20
	s_mov_b32 s20, s7
	s_ashr_i32 s7, s6, 31
	s_lshl_b64 s[0:1], s[6:7], 2
	s_waitcnt lgkmcnt(0)
	s_add_u32 s2, s16, s0
	s_addc_u32 s3, s17, s1
	s_add_u32 s10, s18, s0
	s_load_dword s7, s[2:3], 0x0
	s_addc_u32 s11, s19, s1
	s_load_dword s16, s[10:11], 0x0
	s_load_dwordx4 s[0:3], s[4:5], 0x0
	s_waitcnt lgkmcnt(0)
	s_max_i32 s3, s7, s16
	s_cmp_ge_i32 s3, s1
	s_cbranch_scc1 .LBB137_1
; %bb.3:
	s_add_u32 s10, s4, 0x48
	s_addc_u32 s11, s5, 0
	s_bitcmp1_b32 s0, 0
	s_cselect_b64 s[0:1], -1, 0
	s_xor_b64 s[0:1], s[0:1], -1
	s_min_i32 s17, s7, s16
	s_and_b64 vcc, exec, s[0:1]
	s_mov_b32 s16, s20
	s_cbranch_vccnz .LBB137_5
; %bb.4:
	s_lshr_b32 s0, s16, 31
	s_add_i32 s0, s16, s0
	s_ashr_i32 s7, s0, 1
	s_cmp_lg_u32 s7, s17
	s_cselect_b64 s[0:1], -1, 0
	s_cmp_lg_u32 s7, s3
	s_cselect_b64 s[18:19], -1, 0
	s_and_b64 s[0:1], s[0:1], s[18:19]
.LBB137_5:
	s_andn2_b64 vcc, exec, s[0:1]
	s_cbranch_vccnz .LBB137_1
; %bb.6:
	s_load_dword s1, s[10:11], 0xc
	s_waitcnt lgkmcnt(0)
	s_bfe_u32 s7, s1, 0xf0001
	s_mul_i32 s10, s3, s7
	s_mul_i32 s0, s17, s7
	s_sub_i32 s3, s10, s7
	s_lshr_b32 s11, s1, 16
	v_mov_b32_e32 v2, s0
	v_mov_b32_e32 v3, s3
	v_cmp_gt_u32_e32 vcc, s7, v0
	v_cndmask_b32_e32 v2, v3, v2, vcc
	s_mul_i32 s3, s16, s11
	v_add_u32_e32 v9, v2, v0
	v_add_u32_e32 v1, s3, v1
	v_max_i32_e32 v2, v9, v1
	v_cmp_gt_i32_e32 vcc, s2, v2
	s_and_saveexec_b64 s[16:17], vcc
	s_cbranch_execz .LBB137_1
; %bb.7:
	s_load_dword s3, s[4:5], 0x48
	s_load_dwordx4 s[16:19], s[4:5], 0x10
	s_mul_hi_u32 s4, s12, s8
	s_lshl_b32 s5, s7, 1
	s_waitcnt lgkmcnt(0)
	s_mul_i32 s3, s3, s8
	s_add_i32 s6, s3, s6
	s_mul_i32 s3, s12, s9
	s_add_i32 s3, s4, s3
	;; [unrolled: 2-line block ×3, first 2 shown]
	s_mul_i32 s8, s12, s8
	s_ashr_i32 s21, s18, 31
	s_lshl_b64 s[8:9], s[8:9], 4
	s_mov_b32 s20, s18
	s_add_u32 s3, s16, s8
	s_addc_u32 s4, s17, s9
	s_lshl_b64 s[8:9], s[20:21], 4
	s_mul_i32 s6, s6, s7
	s_add_u32 s3, s3, s8
	s_mul_i32 s6, s6, s7
	s_addc_u32 s4, s4, s9
	s_lshl_b32 s8, s6, 2
	s_ashr_i32 s9, s8, 31
	s_lshl_b64 s[8:9], s[8:9], 4
	v_mul_lo_u32 v11, v1, s19
	s_add_u32 s6, s14, s8
	s_addc_u32 s8, s15, s9
	s_and_b32 s1, 0xffff, s1
	s_cmp_gt_u32 s1, 1
	s_cbranch_scc0 .LBB137_11
; %bb.8:
	v_mul_lo_u32 v10, v1, s19
	v_mov_b32_e32 v3, 0
	v_mov_b32_e32 v1, 0
	v_mov_b32_e32 v4, 0
	v_mov_b32_e32 v6, 0
	v_mov_b32_e32 v12, s8
	v_add_u32_e32 v7, s0, v10
	v_mov_b32_e32 v13, s4
	v_mov_b32_e32 v5, v0
	;; [unrolled: 1-line block ×3, first 2 shown]
	s_mov_b32 s0, s7
.LBB137_9:                              ; =>This Inner Loop Header: Depth=1
	v_lshlrev_b64 v[14:15], 4, v[5:6]
	v_ashrrev_i32_e32 v8, 31, v7
	v_lshlrev_b64 v[16:17], 4, v[7:8]
	v_add_co_u32_e32 v22, vcc, s6, v14
	v_addc_co_u32_e32 v23, vcc, v12, v15, vcc
	v_add_co_u32_e32 v24, vcc, s3, v16
	v_addc_co_u32_e32 v25, vcc, v13, v17, vcc
	global_load_dwordx4 v[14:17], v[22:23], off
	global_load_dwordx4 v[18:21], v[24:25], off
	s_add_i32 s0, s0, -1
	v_add_u32_e32 v5, s5, v5
	s_cmp_eq_u32 s0, 0
	v_add_u32_e32 v7, 1, v7
	s_waitcnt vmcnt(0)
	v_mul_f64 v[22:23], v[16:17], v[20:21]
	v_mul_f64 v[16:17], v[16:17], v[18:19]
	v_fma_f64 v[18:19], v[14:15], v[18:19], v[22:23]
	v_fma_f64 v[14:15], v[14:15], v[20:21], -v[16:17]
	v_add_f64 v[1:2], v[1:2], v[18:19]
	v_add_f64 v[3:4], v[3:4], v[14:15]
	s_cbranch_scc0 .LBB137_9
; %bb.10:
	s_mov_b64 s[0:1], 0
	s_branch .LBB137_12
.LBB137_11:
	s_mov_b64 s[0:1], -1
                                        ; implicit-def: $vgpr3_vgpr4
                                        ; implicit-def: $vgpr10
.LBB137_12:
	s_and_b64 vcc, exec, s[0:1]
	s_cbranch_vccz .LBB137_14
; %bb.13:
	v_mov_b32_e32 v1, 0
	v_mov_b32_e32 v3, 0
	;; [unrolled: 1-line block ×5, first 2 shown]
.LBB137_14:
	s_sub_i32 s0, s2, s10
	s_min_i32 s0, s0, s7
	s_cmp_lt_i32 s0, 1
	s_cbranch_scc1 .LBB137_17
; %bb.15:
	s_mul_i32 s7, s7, s7
	v_lshl_add_u32 v5, s7, 1, v0
	v_add_u32_e32 v7, s10, v10
	v_mov_b32_e32 v6, 0
	v_mov_b32_e32 v0, s8
	;; [unrolled: 1-line block ×3, first 2 shown]
.LBB137_16:                             ; =>This Inner Loop Header: Depth=1
	v_lshlrev_b64 v[12:13], 4, v[5:6]
	v_ashrrev_i32_e32 v8, 31, v7
	v_lshlrev_b64 v[16:17], 4, v[7:8]
	v_add_co_u32_e32 v12, vcc, s6, v12
	v_addc_co_u32_e32 v13, vcc, v0, v13, vcc
	v_add_co_u32_e32 v16, vcc, s3, v16
	v_addc_co_u32_e32 v17, vcc, v11, v17, vcc
	global_load_dwordx4 v[12:15], v[12:13], off
	s_add_i32 s0, s0, -1
	global_load_dwordx4 v[16:19], v[16:17], off
	v_add_u32_e32 v5, s5, v5
	s_cmp_lg_u32 s0, 0
	v_add_u32_e32 v7, 1, v7
	s_waitcnt vmcnt(0)
	v_mul_f64 v[20:21], v[14:15], v[18:19]
	v_mul_f64 v[14:15], v[14:15], v[16:17]
	v_fma_f64 v[16:17], v[12:13], v[16:17], v[20:21]
	v_fma_f64 v[12:13], v[12:13], v[18:19], -v[14:15]
	v_add_f64 v[1:2], v[1:2], v[16:17]
	v_add_f64 v[3:4], v[3:4], v[12:13]
	s_cbranch_scc1 .LBB137_16
.LBB137_17:
	v_add_u32_e32 v5, v9, v10
	v_ashrrev_i32_e32 v6, 31, v5
	v_lshlrev_b64 v[5:6], 4, v[5:6]
	v_mov_b32_e32 v0, s4
	v_add_co_u32_e32 v5, vcc, s3, v5
	v_addc_co_u32_e32 v6, vcc, v0, v6, vcc
	s_barrier
	global_store_dwordx4 v[5:6], v[1:4], off
	s_endpgm
	.section	.rodata,"a",@progbits
	.p2align	6, 0x0
	.amdhsa_kernel _ZN9rocsolver6v33100L21syevj_offd_rotate_orgILb1E19rocblas_complex_numIdEdPS3_EEvbiiT2_iilPT0_PiS8_S8_
		.amdhsa_group_segment_fixed_size 0
		.amdhsa_private_segment_fixed_size 0
		.amdhsa_kernarg_size 328
		.amdhsa_user_sgpr_count 6
		.amdhsa_user_sgpr_private_segment_buffer 1
		.amdhsa_user_sgpr_dispatch_ptr 0
		.amdhsa_user_sgpr_queue_ptr 0
		.amdhsa_user_sgpr_kernarg_segment_ptr 1
		.amdhsa_user_sgpr_dispatch_id 0
		.amdhsa_user_sgpr_flat_scratch_init 0
		.amdhsa_user_sgpr_private_segment_size 0
		.amdhsa_uses_dynamic_stack 0
		.amdhsa_system_sgpr_private_segment_wavefront_offset 0
		.amdhsa_system_sgpr_workgroup_id_x 1
		.amdhsa_system_sgpr_workgroup_id_y 1
		.amdhsa_system_sgpr_workgroup_id_z 1
		.amdhsa_system_sgpr_workgroup_info 0
		.amdhsa_system_vgpr_workitem_id 1
		.amdhsa_next_free_vgpr 26
		.amdhsa_next_free_sgpr 22
		.amdhsa_reserve_vcc 1
		.amdhsa_reserve_flat_scratch 0
		.amdhsa_float_round_mode_32 0
		.amdhsa_float_round_mode_16_64 0
		.amdhsa_float_denorm_mode_32 3
		.amdhsa_float_denorm_mode_16_64 3
		.amdhsa_dx10_clamp 1
		.amdhsa_ieee_mode 1
		.amdhsa_fp16_overflow 0
		.amdhsa_exception_fp_ieee_invalid_op 0
		.amdhsa_exception_fp_denorm_src 0
		.amdhsa_exception_fp_ieee_div_zero 0
		.amdhsa_exception_fp_ieee_overflow 0
		.amdhsa_exception_fp_ieee_underflow 0
		.amdhsa_exception_fp_ieee_inexact 0
		.amdhsa_exception_int_div_zero 0
	.end_amdhsa_kernel
	.section	.text._ZN9rocsolver6v33100L21syevj_offd_rotate_orgILb1E19rocblas_complex_numIdEdPS3_EEvbiiT2_iilPT0_PiS8_S8_,"axG",@progbits,_ZN9rocsolver6v33100L21syevj_offd_rotate_orgILb1E19rocblas_complex_numIdEdPS3_EEvbiiT2_iilPT0_PiS8_S8_,comdat
.Lfunc_end137:
	.size	_ZN9rocsolver6v33100L21syevj_offd_rotate_orgILb1E19rocblas_complex_numIdEdPS3_EEvbiiT2_iilPT0_PiS8_S8_, .Lfunc_end137-_ZN9rocsolver6v33100L21syevj_offd_rotate_orgILb1E19rocblas_complex_numIdEdPS3_EEvbiiT2_iilPT0_PiS8_S8_
                                        ; -- End function
	.set _ZN9rocsolver6v33100L21syevj_offd_rotate_orgILb1E19rocblas_complex_numIdEdPS3_EEvbiiT2_iilPT0_PiS8_S8_.num_vgpr, 26
	.set _ZN9rocsolver6v33100L21syevj_offd_rotate_orgILb1E19rocblas_complex_numIdEdPS3_EEvbiiT2_iilPT0_PiS8_S8_.num_agpr, 0
	.set _ZN9rocsolver6v33100L21syevj_offd_rotate_orgILb1E19rocblas_complex_numIdEdPS3_EEvbiiT2_iilPT0_PiS8_S8_.numbered_sgpr, 22
	.set _ZN9rocsolver6v33100L21syevj_offd_rotate_orgILb1E19rocblas_complex_numIdEdPS3_EEvbiiT2_iilPT0_PiS8_S8_.num_named_barrier, 0
	.set _ZN9rocsolver6v33100L21syevj_offd_rotate_orgILb1E19rocblas_complex_numIdEdPS3_EEvbiiT2_iilPT0_PiS8_S8_.private_seg_size, 0
	.set _ZN9rocsolver6v33100L21syevj_offd_rotate_orgILb1E19rocblas_complex_numIdEdPS3_EEvbiiT2_iilPT0_PiS8_S8_.uses_vcc, 1
	.set _ZN9rocsolver6v33100L21syevj_offd_rotate_orgILb1E19rocblas_complex_numIdEdPS3_EEvbiiT2_iilPT0_PiS8_S8_.uses_flat_scratch, 0
	.set _ZN9rocsolver6v33100L21syevj_offd_rotate_orgILb1E19rocblas_complex_numIdEdPS3_EEvbiiT2_iilPT0_PiS8_S8_.has_dyn_sized_stack, 0
	.set _ZN9rocsolver6v33100L21syevj_offd_rotate_orgILb1E19rocblas_complex_numIdEdPS3_EEvbiiT2_iilPT0_PiS8_S8_.has_recursion, 0
	.set _ZN9rocsolver6v33100L21syevj_offd_rotate_orgILb1E19rocblas_complex_numIdEdPS3_EEvbiiT2_iilPT0_PiS8_S8_.has_indirect_call, 0
	.section	.AMDGPU.csdata,"",@progbits
; Kernel info:
; codeLenInByte = 856
; TotalNumSgprs: 26
; NumVgprs: 26
; ScratchSize: 0
; MemoryBound: 0
; FloatMode: 240
; IeeeMode: 1
; LDSByteSize: 0 bytes/workgroup (compile time only)
; SGPRBlocks: 3
; VGPRBlocks: 6
; NumSGPRsForWavesPerEU: 26
; NumVGPRsForWavesPerEU: 26
; Occupancy: 9
; WaveLimiterHint : 0
; COMPUTE_PGM_RSRC2:SCRATCH_EN: 0
; COMPUTE_PGM_RSRC2:USER_SGPR: 6
; COMPUTE_PGM_RSRC2:TRAP_HANDLER: 0
; COMPUTE_PGM_RSRC2:TGID_X_EN: 1
; COMPUTE_PGM_RSRC2:TGID_Y_EN: 1
; COMPUTE_PGM_RSRC2:TGID_Z_EN: 1
; COMPUTE_PGM_RSRC2:TIDIG_COMP_CNT: 1
	.section	.text._ZN9rocsolver6v33100L17syevj_offd_rotateILb1E19rocblas_complex_numIdEdPS3_EEvbiiT2_iilPT0_PiS8_S8_i,"axG",@progbits,_ZN9rocsolver6v33100L17syevj_offd_rotateILb1E19rocblas_complex_numIdEdPS3_EEvbiiT2_iilPT0_PiS8_S8_i,comdat
	.globl	_ZN9rocsolver6v33100L17syevj_offd_rotateILb1E19rocblas_complex_numIdEdPS3_EEvbiiT2_iilPT0_PiS8_S8_i ; -- Begin function _ZN9rocsolver6v33100L17syevj_offd_rotateILb1E19rocblas_complex_numIdEdPS3_EEvbiiT2_iilPT0_PiS8_S8_i
	.p2align	8
	.type	_ZN9rocsolver6v33100L17syevj_offd_rotateILb1E19rocblas_complex_numIdEdPS3_EEvbiiT2_iilPT0_PiS8_S8_i,@function
_ZN9rocsolver6v33100L17syevj_offd_rotateILb1E19rocblas_complex_numIdEdPS3_EEvbiiT2_iilPT0_PiS8_S8_i: ; @_ZN9rocsolver6v33100L17syevj_offd_rotateILb1E19rocblas_complex_numIdEdPS3_EEvbiiT2_iilPT0_PiS8_S8_i
; %bb.0:
	s_load_dwordx4 s[20:23], s[4:5], 0x0
	s_load_dword s33, s[4:5], 0x48
	s_waitcnt lgkmcnt(0)
	s_abs_i32 s2, s21
	v_cvt_f32_u32_e32 v2, s2
	s_cmp_ge_u32 s8, s33
	v_rcp_iflag_f32_e32 v2, v2
	v_mul_f32_e32 v2, 0x4f7ffffe, v2
	v_cvt_u32_f32_e32 v2, v2
	v_readfirstlane_b32 s3, v2
	s_cbranch_scc1 .LBB138_36
; %bb.1:
	s_sub_i32 s10, 0, s2
	s_mov_b64 s[0:1], src_shared_base
	s_mul_i32 s10, s10, s3
	s_add_i32 s0, s22, -1
	s_mul_hi_u32 s10, s3, s10
	s_ashr_i32 s9, s0, 31
	s_ashr_i32 s24, s21, 31
	s_abs_i32 s0, s0
	s_add_i32 s3, s3, s10
	s_bitcmp1_b32 s20, 0
	s_mul_hi_u32 s3, s0, s3
	s_cselect_b64 s[10:11], -1, 0
	v_cndmask_b32_e64 v8, 0, 1, s[10:11]
	s_xor_b64 s[34:35], s[10:11], -1
	s_mul_i32 s10, s3, s2
	s_sub_i32 s0, s0, s10
	s_xor_b32 s9, s9, s24
	s_add_i32 s10, s3, 1
	s_sub_i32 s11, s0, s2
	s_cmp_ge_u32 s0, s2
	s_cselect_b32 s3, s10, s3
	s_cselect_b32 s0, s11, s0
	s_add_i32 s10, s3, 1
	s_cmp_ge_u32 s0, s2
	s_cselect_b32 s0, s10, s3
	s_xor_b32 s0, s0, s9
	s_sub_i32 s20, s0, s9
	s_add_i32 s48, s20, 1
	s_lshr_b32 s0, s48, 31
	s_add_i32 s0, s48, s0
	s_and_b32 s0, s0, -2
	s_sub_i32 s0, s48, s0
	s_load_dwordx4 s[28:31], s[4:5], 0x10
	s_load_dwordx8 s[12:19], s[4:5], 0x20
	s_load_dwordx2 s[36:37], s[4:5], 0x40
	s_load_dwordx4 s[24:27], s[4:5], 0x50
	s_add_i32 s0, s0, s48
	s_lshr_b32 s2, s0, 31
	s_add_i32 s0, s0, s2
	s_lshl_b32 s51, s21, 1
	s_ashr_i32 s49, s0, 1
	s_mul_i32 s0, s51, s21
	s_lshl_b32 s2, s0, 4
	s_waitcnt lgkmcnt(0)
	s_lshr_b32 s50, s27, 16
	s_and_b32 s27, s27, 0xffff
	s_add_i32 s52, s2, 0
	s_mul_i32 s0, s0, 3
	s_cmpk_lt_u32 s0, 0x1001
	s_mul_i32 s9, s21, s21
	s_cselect_b64 s[38:39], -1, 0
	s_ashr_i32 s3, s30, 31
	s_lshl_b32 s54, s9, 2
	s_cmp_lt_u32 s6, s49
	s_mul_i32 s0, s20, s21
	s_cselect_b64 s[4:5], -1, 0
	s_sub_i32 s55, s22, s0
	s_mov_b32 s2, s30
	s_cmp_lt_u32 s7, s48
	s_cselect_b64 s[40:41], -1, 0
	s_ashr_i32 s57, s31, 31
	s_lshl_b64 s[2:3], s[2:3], 4
	s_add_u32 s59, s28, s2
	s_addc_u32 s60, s29, s3
	s_lshl_b32 s2, s9, 5
	v_mad_u32_u24 v9, v1, s27, v0
	s_mul_i32 s56, s50, s27
	s_add_i32 s2, s2, 0
	v_cndmask_b32_e64 v2, 0, 1, s[4:5]
	s_mov_b32 s23, 0
	s_mov_b32 s53, s1
	v_cmp_gt_u32_e64 s[0:1], s54, v9
	s_mov_b32 s58, s31
	v_lshl_add_u32 v10, v9, 4, s2
	s_lshl_b32 s61, s56, 4
	s_lshl_b32 s62, s50, 4
	s_lshl_b32 s63, s27, 4
	v_mov_b32_e32 v7, 0
	v_cmp_ne_u32_e64 s[2:3], 1, v2
	s_branch .LBB138_3
.LBB138_2:                              ;   in Loop: Header=BB138_3 Depth=1
	s_add_i32 s8, s8, s26
	s_cmp_ge_u32 s8, s33
	s_cbranch_scc1 .LBB138_36
.LBB138_3:                              ; =>This Loop Header: Depth=1
                                        ;     Child Loop BB138_7 Depth 2
                                        ;       Child Loop BB138_11 Depth 3
                                        ;       Child Loop BB138_17 Depth 3
                                        ;         Child Loop BB138_23 Depth 4
                                        ;           Child Loop BB138_25 Depth 5
                                        ;         Child Loop BB138_29 Depth 4
                                        ;           Child Loop BB138_33 Depth 5
                                        ;             Child Loop BB138_35 Depth 6
	s_mov_b32 s9, s23
	s_lshl_b64 s[4:5], s[8:9], 2
	s_add_u32 s4, s36, s4
	s_addc_u32 s5, s37, s5
	s_load_dword s4, s[4:5], 0x4
	s_waitcnt lgkmcnt(0)
	s_cmp_lg_u32 s4, 0
	s_cbranch_scc1 .LBB138_2
; %bb.4:                                ;   in Loop: Header=BB138_3 Depth=1
	s_and_b64 vcc, exec, s[2:3]
	s_cbranch_vccnz .LBB138_2
; %bb.5:                                ;   in Loop: Header=BB138_3 Depth=1
	s_mul_i32 s4, s13, s8
	s_mul_hi_u32 s5, s12, s8
	s_add_i32 s5, s5, s4
	s_mul_i32 s4, s12, s8
	s_lshl_b64 s[4:5], s[4:5], 4
	s_add_u32 s9, s59, s4
	s_addc_u32 s64, s60, s5
	s_mul_i32 s65, s8, s49
	s_mov_b32 s22, s6
	s_branch .LBB138_7
.LBB138_6:                              ;   in Loop: Header=BB138_7 Depth=2
	s_add_i32 s22, s22, s24
	s_cmp_lt_u32 s22, s49
	s_cbranch_scc0 .LBB138_2
.LBB138_7:                              ;   Parent Loop BB138_3 Depth=1
                                        ; =>  This Loop Header: Depth=2
                                        ;       Child Loop BB138_11 Depth 3
                                        ;       Child Loop BB138_17 Depth 3
                                        ;         Child Loop BB138_23 Depth 4
                                        ;           Child Loop BB138_25 Depth 5
                                        ;         Child Loop BB138_29 Depth 4
                                        ;           Child Loop BB138_33 Depth 5
                                        ;             Child Loop BB138_35 Depth 6
	s_lshl_b64 s[4:5], s[22:23], 2
	s_add_u32 s10, s16, s4
	s_addc_u32 s11, s17, s5
	s_add_u32 s4, s18, s4
	s_addc_u32 s5, s19, s5
	s_load_dword s28, s[4:5], 0x0
	s_load_dword s29, s[10:11], 0x0
	s_waitcnt lgkmcnt(0)
	s_max_i32 s66, s29, s28
	s_cmp_gt_i32 s66, s20
	s_cbranch_scc1 .LBB138_6
; %bb.8:                                ;   in Loop: Header=BB138_7 Depth=2
	s_add_i32 s4, s22, s65
	s_mul_i32 s4, s54, s4
	s_mov_b32 s5, s23
	s_lshl_b64 s[4:5], s[4:5], 4
	s_add_u32 s30, s14, s4
	s_addc_u32 s31, s15, s5
	s_andn2_b64 vcc, exec, s[38:39]
	s_cbranch_vccnz .LBB138_13
; %bb.9:                                ;   in Loop: Header=BB138_7 Depth=2
	s_barrier
	s_and_saveexec_b64 s[4:5], s[0:1]
	s_cbranch_execz .LBB138_12
; %bb.10:                               ;   in Loop: Header=BB138_7 Depth=2
	s_mov_b64 s[10:11], 0
	v_mov_b32_e32 v2, s31
	v_mov_b32_e32 v3, v10
	;; [unrolled: 1-line block ×3, first 2 shown]
.LBB138_11:                             ;   Parent Loop BB138_3 Depth=1
                                        ;     Parent Loop BB138_7 Depth=2
                                        ; =>    This Inner Loop Header: Depth=3
	v_lshlrev_b64 v[4:5], 4, v[6:7]
	v_add_u32_e32 v6, s56, v6
	v_add_co_u32_e32 v4, vcc, s30, v4
	v_addc_co_u32_e32 v5, vcc, v2, v5, vcc
	global_load_dwordx4 v[11:14], v[4:5], off
	v_cmp_le_u32_e32 vcc, s54, v6
	s_or_b64 s[10:11], vcc, s[10:11]
	s_waitcnt vmcnt(0)
	ds_write2_b64 v3, v[11:12], v[13:14] offset1:1
	v_add_u32_e32 v3, s61, v3
	s_andn2_b64 exec, exec, s[10:11]
	s_cbranch_execnz .LBB138_11
.LBB138_12:                             ;   in Loop: Header=BB138_7 Depth=2
	s_or_b64 exec, exec, s[4:5]
	s_waitcnt lgkmcnt(0)
	s_barrier
.LBB138_13:                             ;   in Loop: Header=BB138_7 Depth=2
	s_andn2_b64 vcc, exec, s[40:41]
	s_cbranch_vccnz .LBB138_6
; %bb.14:                               ;   in Loop: Header=BB138_7 Depth=2
	s_min_i32 s67, s28, s29
	s_cmp_eq_u32 s67, s20
	s_cselect_b32 s69, s55, s21
	s_cmp_eq_u32 s66, s20
	s_cselect_b32 s4, s55, s21
	s_add_i32 s70, s69, s4
	v_lshlrev_b32_e32 v2, 4, v1
	v_mul_lo_u32 v2, v2, s70
	s_mul_i32 s10, s66, s21
	s_and_b64 s[4:5], s[38:39], exec
	s_cselect_b32 s71, s53, s31
	s_cselect_b32 s72, s52, s30
	s_sub_i32 s73, s10, s69
	s_cmp_gt_i32 s70, 0
	v_lshl_add_u32 v3, v0, 4, 0
	s_mul_i32 s68, s67, s21
	v_cmp_gt_u32_e64 s[4:5], s70, v0
	s_cselect_b64 s[28:29], -1, 0
	v_add_u32_e32 v11, v3, v2
	s_mul_i32 s74, s62, s70
	v_add_u32_e32 v12, 0, v2
	s_mov_b32 s75, s7
	s_branch .LBB138_17
.LBB138_15:                             ;   in Loop: Header=BB138_17 Depth=3
	s_or_b64 exec, exec, s[10:11]
	s_waitcnt vmcnt(0)
	s_barrier
.LBB138_16:                             ;   in Loop: Header=BB138_17 Depth=3
	s_add_i32 s75, s75, s25
	s_cmp_lt_u32 s75, s48
	s_cbranch_scc0 .LBB138_6
.LBB138_17:                             ;   Parent Loop BB138_3 Depth=1
                                        ;     Parent Loop BB138_7 Depth=2
                                        ; =>    This Loop Header: Depth=3
                                        ;         Child Loop BB138_23 Depth 4
                                        ;           Child Loop BB138_25 Depth 5
                                        ;         Child Loop BB138_29 Depth 4
                                        ;           Child Loop BB138_33 Depth 5
                                        ;             Child Loop BB138_35 Depth 6
	v_cmp_ne_u32_e32 vcc, 1, v8
	s_mov_b64 s[10:11], s[34:35]
	s_cbranch_vccz .LBB138_19
; %bb.18:                               ;   in Loop: Header=BB138_17 Depth=3
	s_andn2_b64 vcc, exec, s[10:11]
	s_cbranch_vccnz .LBB138_16
	s_branch .LBB138_20
.LBB138_19:                             ;   in Loop: Header=BB138_17 Depth=3
	s_cmp_lg_u32 s75, s67
	s_cselect_b64 s[10:11], -1, 0
	s_cmp_lg_u32 s75, s66
	s_cselect_b64 s[30:31], -1, 0
	s_and_b64 s[10:11], s[10:11], s[30:31]
	s_andn2_b64 vcc, exec, s[10:11]
	s_cbranch_vccnz .LBB138_16
.LBB138_20:                             ;   in Loop: Header=BB138_17 Depth=3
	s_cmp_eq_u32 s75, s20
	s_cselect_b32 s77, s55, s21
	s_mul_i32 s76, s75, s21
	v_cmp_gt_u32_e32 vcc, s77, v1
	s_barrier
	s_and_saveexec_b64 s[30:31], vcc
	s_cbranch_execz .LBB138_26
; %bb.21:                               ;   in Loop: Header=BB138_17 Depth=3
	s_mov_b64 s[42:43], 0
	v_mov_b32_e32 v2, v11
	v_mov_b32_e32 v3, v1
	s_branch .LBB138_23
.LBB138_22:                             ;   in Loop: Header=BB138_23 Depth=4
	s_or_b64 exec, exec, s[44:45]
	v_add_u32_e32 v3, s50, v3
	v_cmp_le_u32_e64 s[10:11], s77, v3
	s_or_b64 s[42:43], s[10:11], s[42:43]
	v_add_u32_e32 v2, s74, v2
	s_andn2_b64 exec, exec, s[42:43]
	s_cbranch_execz .LBB138_26
.LBB138_23:                             ;   Parent Loop BB138_3 Depth=1
                                        ;     Parent Loop BB138_7 Depth=2
                                        ;       Parent Loop BB138_17 Depth=3
                                        ; =>      This Loop Header: Depth=4
                                        ;           Child Loop BB138_25 Depth 5
	s_and_saveexec_b64 s[44:45], s[4:5]
	s_cbranch_execz .LBB138_22
; %bb.24:                               ;   in Loop: Header=BB138_23 Depth=4
	v_add_u32_e32 v6, s76, v3
	v_mad_u64_u32 v[4:5], s[10:11], v6, s58, 0
	s_mov_b64 s[46:47], 0
	v_mov_b32_e32 v13, v2
	v_mad_u64_u32 v[5:6], s[10:11], v6, s57, v[5:6]
	v_mov_b32_e32 v6, s64
	v_mov_b32_e32 v14, v0
	v_lshlrev_b64 v[4:5], 4, v[4:5]
	v_add_co_u32_e64 v4, s[10:11], s9, v4
	v_addc_co_u32_e64 v5, s[10:11], v6, v5, s[10:11]
.LBB138_25:                             ;   Parent Loop BB138_3 Depth=1
                                        ;     Parent Loop BB138_7 Depth=2
                                        ;       Parent Loop BB138_17 Depth=3
                                        ;         Parent Loop BB138_23 Depth=4
                                        ; =>        This Inner Loop Header: Depth=5
	v_mov_b32_e32 v6, s73
	v_mov_b32_e32 v15, s68
	v_cmp_gt_u32_e64 s[10:11], s69, v14
	v_cndmask_b32_e64 v6, v6, v15, s[10:11]
	v_add_u32_e32 v6, v6, v14
	v_lshlrev_b64 v[15:16], 4, v[6:7]
	v_add_u32_e32 v14, s27, v14
	v_add_co_u32_e64 v15, s[10:11], v4, v15
	v_addc_co_u32_e64 v16, s[10:11], v5, v16, s[10:11]
	global_load_dwordx4 v[15:18], v[15:16], off
	v_cmp_le_u32_e64 s[10:11], s70, v14
	s_or_b64 s[46:47], s[10:11], s[46:47]
	s_waitcnt vmcnt(0)
	ds_write2_b64 v13, v[15:16], v[17:18] offset1:1
	v_add_u32_e32 v13, s63, v13
	s_andn2_b64 exec, exec, s[46:47]
	s_cbranch_execnz .LBB138_25
	s_branch .LBB138_22
.LBB138_26:                             ;   in Loop: Header=BB138_17 Depth=3
	s_or_b64 exec, exec, s[30:31]
	s_waitcnt lgkmcnt(0)
	s_barrier
	s_and_saveexec_b64 s[10:11], vcc
	s_cbranch_execz .LBB138_15
; %bb.27:                               ;   in Loop: Header=BB138_17 Depth=3
	s_mov_b64 s[30:31], 0
	v_mov_b32_e32 v13, v12
	v_mov_b32_e32 v14, v1
	s_branch .LBB138_29
.LBB138_28:                             ;   in Loop: Header=BB138_29 Depth=4
	s_or_b64 exec, exec, s[42:43]
	v_add_u32_e32 v14, s50, v14
	v_cmp_le_u32_e32 vcc, s77, v14
	s_or_b64 s[30:31], vcc, s[30:31]
	v_add_u32_e32 v13, s74, v13
	s_andn2_b64 exec, exec, s[30:31]
	s_cbranch_execz .LBB138_15
.LBB138_29:                             ;   Parent Loop BB138_3 Depth=1
                                        ;     Parent Loop BB138_7 Depth=2
                                        ;       Parent Loop BB138_17 Depth=3
                                        ; =>      This Loop Header: Depth=4
                                        ;           Child Loop BB138_33 Depth 5
                                        ;             Child Loop BB138_35 Depth 6
	s_and_saveexec_b64 s[42:43], s[4:5]
	s_cbranch_execz .LBB138_28
; %bb.30:                               ;   in Loop: Header=BB138_29 Depth=4
	v_add_u32_e32 v4, s76, v14
	v_mad_u64_u32 v[2:3], s[44:45], v4, s58, 0
	v_mov_b32_e32 v17, v0
	v_mad_u64_u32 v[3:4], s[44:45], v4, s57, v[3:4]
	v_mov_b32_e32 v4, s64
	s_mov_b64 s[44:45], 0
	v_lshlrev_b64 v[2:3], 4, v[2:3]
	v_add_co_u32_e32 v15, vcc, s9, v2
	v_addc_co_u32_e32 v16, vcc, v4, v3, vcc
	s_branch .LBB138_33
.LBB138_31:                             ;   in Loop: Header=BB138_33 Depth=5
	v_mov_b32_e32 v2, v4
	v_mov_b32_e32 v3, v5
.LBB138_32:                             ;   in Loop: Header=BB138_33 Depth=5
	v_mov_b32_e32 v6, s73
	v_mov_b32_e32 v18, s68
	v_cmp_gt_u32_e32 vcc, s69, v17
	v_cndmask_b32_e32 v6, v6, v18, vcc
	v_add_u32_e32 v6, v17, v6
	v_lshlrev_b64 v[18:19], 4, v[6:7]
	v_add_u32_e32 v17, s27, v17
	v_add_co_u32_e32 v18, vcc, v15, v18
	v_addc_co_u32_e32 v19, vcc, v16, v19, vcc
	v_cmp_le_u32_e32 vcc, s70, v17
	s_or_b64 s[44:45], vcc, s[44:45]
	global_store_dwordx4 v[18:19], v[2:5], off
	s_andn2_b64 exec, exec, s[44:45]
	s_cbranch_execz .LBB138_28
.LBB138_33:                             ;   Parent Loop BB138_3 Depth=1
                                        ;     Parent Loop BB138_7 Depth=2
                                        ;       Parent Loop BB138_17 Depth=3
                                        ;         Parent Loop BB138_29 Depth=4
                                        ; =>        This Loop Header: Depth=5
                                        ;             Child Loop BB138_35 Depth 6
	v_mov_b32_e32 v4, 0
	v_mov_b32_e32 v5, 0
	s_andn2_b64 vcc, exec, s[28:29]
	s_cbranch_vccnz .LBB138_31
; %bb.34:                               ;   in Loop: Header=BB138_33 Depth=5
	v_mov_b32_e32 v2, v4
	v_mov_b32_e32 v6, v17
	s_mov_b32 s46, s70
	v_mov_b32_e32 v18, v13
	v_mov_b32_e32 v3, v5
.LBB138_35:                             ;   Parent Loop BB138_3 Depth=1
                                        ;     Parent Loop BB138_7 Depth=2
                                        ;       Parent Loop BB138_17 Depth=3
                                        ;         Parent Loop BB138_29 Depth=4
                                        ;           Parent Loop BB138_33 Depth=5
                                        ; =>          This Inner Loop Header: Depth=6
	v_lshlrev_b64 v[19:20], 4, v[6:7]
	v_mov_b32_e32 v21, s71
	v_add_co_u32_e32 v19, vcc, s72, v19
	v_addc_co_u32_e32 v20, vcc, v21, v20, vcc
	flat_load_dwordx4 v[19:22], v[19:20]
	ds_read2_b64 v[23:26], v18 offset1:1
	s_add_i32 s46, s46, -1
	v_add_u32_e32 v18, 16, v18
	s_cmp_eq_u32 s46, 0
	v_add_u32_e32 v6, s51, v6
	s_waitcnt vmcnt(0) lgkmcnt(0)
	v_mul_f64 v[27:28], v[21:22], v[25:26]
	v_mul_f64 v[21:22], v[21:22], v[23:24]
	v_fma_f64 v[23:24], v[19:20], v[23:24], v[27:28]
	v_fma_f64 v[19:20], v[19:20], v[25:26], -v[21:22]
	v_add_f64 v[2:3], v[2:3], v[23:24]
	v_add_f64 v[4:5], v[4:5], v[19:20]
	s_cbranch_scc0 .LBB138_35
	s_branch .LBB138_32
.LBB138_36:
	s_endpgm
	.section	.rodata,"a",@progbits
	.p2align	6, 0x0
	.amdhsa_kernel _ZN9rocsolver6v33100L17syevj_offd_rotateILb1E19rocblas_complex_numIdEdPS3_EEvbiiT2_iilPT0_PiS8_S8_i
		.amdhsa_group_segment_fixed_size 0
		.amdhsa_private_segment_fixed_size 0
		.amdhsa_kernarg_size 336
		.amdhsa_user_sgpr_count 6
		.amdhsa_user_sgpr_private_segment_buffer 1
		.amdhsa_user_sgpr_dispatch_ptr 0
		.amdhsa_user_sgpr_queue_ptr 0
		.amdhsa_user_sgpr_kernarg_segment_ptr 1
		.amdhsa_user_sgpr_dispatch_id 0
		.amdhsa_user_sgpr_flat_scratch_init 0
		.amdhsa_user_sgpr_private_segment_size 0
		.amdhsa_uses_dynamic_stack 0
		.amdhsa_system_sgpr_private_segment_wavefront_offset 0
		.amdhsa_system_sgpr_workgroup_id_x 1
		.amdhsa_system_sgpr_workgroup_id_y 1
		.amdhsa_system_sgpr_workgroup_id_z 1
		.amdhsa_system_sgpr_workgroup_info 0
		.amdhsa_system_vgpr_workitem_id 1
		.amdhsa_next_free_vgpr 29
		.amdhsa_next_free_sgpr 78
		.amdhsa_reserve_vcc 1
		.amdhsa_reserve_flat_scratch 0
		.amdhsa_float_round_mode_32 0
		.amdhsa_float_round_mode_16_64 0
		.amdhsa_float_denorm_mode_32 3
		.amdhsa_float_denorm_mode_16_64 3
		.amdhsa_dx10_clamp 1
		.amdhsa_ieee_mode 1
		.amdhsa_fp16_overflow 0
		.amdhsa_exception_fp_ieee_invalid_op 0
		.amdhsa_exception_fp_denorm_src 0
		.amdhsa_exception_fp_ieee_div_zero 0
		.amdhsa_exception_fp_ieee_overflow 0
		.amdhsa_exception_fp_ieee_underflow 0
		.amdhsa_exception_fp_ieee_inexact 0
		.amdhsa_exception_int_div_zero 0
	.end_amdhsa_kernel
	.section	.text._ZN9rocsolver6v33100L17syevj_offd_rotateILb1E19rocblas_complex_numIdEdPS3_EEvbiiT2_iilPT0_PiS8_S8_i,"axG",@progbits,_ZN9rocsolver6v33100L17syevj_offd_rotateILb1E19rocblas_complex_numIdEdPS3_EEvbiiT2_iilPT0_PiS8_S8_i,comdat
.Lfunc_end138:
	.size	_ZN9rocsolver6v33100L17syevj_offd_rotateILb1E19rocblas_complex_numIdEdPS3_EEvbiiT2_iilPT0_PiS8_S8_i, .Lfunc_end138-_ZN9rocsolver6v33100L17syevj_offd_rotateILb1E19rocblas_complex_numIdEdPS3_EEvbiiT2_iilPT0_PiS8_S8_i
                                        ; -- End function
	.set _ZN9rocsolver6v33100L17syevj_offd_rotateILb1E19rocblas_complex_numIdEdPS3_EEvbiiT2_iilPT0_PiS8_S8_i.num_vgpr, 29
	.set _ZN9rocsolver6v33100L17syevj_offd_rotateILb1E19rocblas_complex_numIdEdPS3_EEvbiiT2_iilPT0_PiS8_S8_i.num_agpr, 0
	.set _ZN9rocsolver6v33100L17syevj_offd_rotateILb1E19rocblas_complex_numIdEdPS3_EEvbiiT2_iilPT0_PiS8_S8_i.numbered_sgpr, 78
	.set _ZN9rocsolver6v33100L17syevj_offd_rotateILb1E19rocblas_complex_numIdEdPS3_EEvbiiT2_iilPT0_PiS8_S8_i.num_named_barrier, 0
	.set _ZN9rocsolver6v33100L17syevj_offd_rotateILb1E19rocblas_complex_numIdEdPS3_EEvbiiT2_iilPT0_PiS8_S8_i.private_seg_size, 0
	.set _ZN9rocsolver6v33100L17syevj_offd_rotateILb1E19rocblas_complex_numIdEdPS3_EEvbiiT2_iilPT0_PiS8_S8_i.uses_vcc, 1
	.set _ZN9rocsolver6v33100L17syevj_offd_rotateILb1E19rocblas_complex_numIdEdPS3_EEvbiiT2_iilPT0_PiS8_S8_i.uses_flat_scratch, 0
	.set _ZN9rocsolver6v33100L17syevj_offd_rotateILb1E19rocblas_complex_numIdEdPS3_EEvbiiT2_iilPT0_PiS8_S8_i.has_dyn_sized_stack, 0
	.set _ZN9rocsolver6v33100L17syevj_offd_rotateILb1E19rocblas_complex_numIdEdPS3_EEvbiiT2_iilPT0_PiS8_S8_i.has_recursion, 0
	.set _ZN9rocsolver6v33100L17syevj_offd_rotateILb1E19rocblas_complex_numIdEdPS3_EEvbiiT2_iilPT0_PiS8_S8_i.has_indirect_call, 0
	.section	.AMDGPU.csdata,"",@progbits
; Kernel info:
; codeLenInByte = 1496
; TotalNumSgprs: 82
; NumVgprs: 29
; ScratchSize: 0
; MemoryBound: 0
; FloatMode: 240
; IeeeMode: 1
; LDSByteSize: 0 bytes/workgroup (compile time only)
; SGPRBlocks: 10
; VGPRBlocks: 7
; NumSGPRsForWavesPerEU: 82
; NumVGPRsForWavesPerEU: 29
; Occupancy: 8
; WaveLimiterHint : 1
; COMPUTE_PGM_RSRC2:SCRATCH_EN: 0
; COMPUTE_PGM_RSRC2:USER_SGPR: 6
; COMPUTE_PGM_RSRC2:TRAP_HANDLER: 0
; COMPUTE_PGM_RSRC2:TGID_X_EN: 1
; COMPUTE_PGM_RSRC2:TGID_Y_EN: 1
; COMPUTE_PGM_RSRC2:TGID_Z_EN: 1
; COMPUTE_PGM_RSRC2:TIDIG_COMP_CNT: 1
	.section	.text._ZN9rocsolver6v33100L17syevj_cycle_pairsI19rocblas_complex_numIdEEEviPiS4_,"axG",@progbits,_ZN9rocsolver6v33100L17syevj_cycle_pairsI19rocblas_complex_numIdEEEviPiS4_,comdat
	.globl	_ZN9rocsolver6v33100L17syevj_cycle_pairsI19rocblas_complex_numIdEEEviPiS4_ ; -- Begin function _ZN9rocsolver6v33100L17syevj_cycle_pairsI19rocblas_complex_numIdEEEviPiS4_
	.p2align	8
	.type	_ZN9rocsolver6v33100L17syevj_cycle_pairsI19rocblas_complex_numIdEEEviPiS4_,@function
_ZN9rocsolver6v33100L17syevj_cycle_pairsI19rocblas_complex_numIdEEEviPiS4_: ; @_ZN9rocsolver6v33100L17syevj_cycle_pairsI19rocblas_complex_numIdEEEviPiS4_
; %bb.0:
	s_load_dword s8, s[4:5], 0x0
	s_load_dwordx4 s[0:3], s[4:5], 0x8
	s_load_dword s11, s[4:5], 0x24
	v_cmp_eq_u32_e32 vcc, 0, v0
	s_waitcnt lgkmcnt(0)
	s_add_i32 s9, s8, -1
	s_and_saveexec_b64 s[4:5], vcc
	s_cbranch_execz .LBB139_6
; %bb.1:
	s_lshl_b32 s6, s9, 1
	s_or_b32 s7, s6, 1
	s_bfe_i32 s10, s9, 0x1001e
	s_add_i32 s12, s7, s10
	s_xor_b32 s10, s12, s10
	v_cvt_f32_u32_e32 v1, s10
	s_load_dword s12, s[2:3], 0x0
	s_sub_i32 s14, 0, s10
	v_rcp_iflag_f32_e32 v1, v1
	s_waitcnt lgkmcnt(0)
	s_add_i32 s12, s12, -1
	s_ashr_i32 s13, s12, 31
	v_mul_f32_e32 v1, 0x4f7ffffe, v1
	v_cvt_u32_f32_e32 v1, v1
	s_abs_i32 s12, s12
	v_readfirstlane_b32 s15, v1
	s_mul_i32 s14, s14, s15
	s_mul_hi_u32 s14, s15, s14
	s_add_i32 s15, s15, s14
	s_mul_hi_u32 s14, s12, s15
	s_mul_i32 s14, s14, s10
	s_sub_i32 s12, s12, s14
	s_sub_i32 s14, s12, s10
	s_cmp_ge_u32 s12, s10
	s_cselect_b32 s12, s14, s12
	s_sub_i32 s14, s12, s10
	s_cmp_ge_u32 s12, s10
	s_cselect_b32 s10, s14, s12
	s_xor_b32 s10, s10, s13
	s_sub_i32 s10, s10, s13
	s_bitcmp0_b32 s10, 0
	s_cbranch_scc1 .LBB139_3
; %bb.2:
	s_add_i32 s12, s10, 3
	s_cmp_gt_i32 s12, s6
	s_cselect_b32 s12, s7, s12
	s_cbranch_execz .LBB139_4
	s_branch .LBB139_5
.LBB139_3:
                                        ; implicit-def: $sgpr12
.LBB139_4:
	s_add_i32 s6, s10, -1
	s_cmp_gt_i32 s10, 1
	s_cselect_b32 s12, s6, 2
.LBB139_5:
	v_mov_b32_e32 v1, 0
	v_mov_b32_e32 v2, s12
	global_store_dword v1, v2, s[2:3]
.LBB139_6:
	s_or_b64 exec, exec, s[4:5]
	v_add_u32_e32 v2, 1, v0
	v_cmp_gt_i32_e32 vcc, s8, v2
	s_and_saveexec_b64 s[4:5], vcc
	s_cbranch_execz .LBB139_17
; %bb.7:
	s_lshl_b32 s9, s9, 1
	s_or_b32 s10, s9, 1
	v_cvt_f32_u32_e32 v1, s10
	s_sub_i32 s4, 0, s10
	v_lshlrev_b32_e32 v0, 2, v0
	s_and_b32 s11, 0xffff, s11
	v_rcp_iflag_f32_e32 v1, v1
	v_mov_b32_e32 v3, s1
	s_lshl_b32 s1, s11, 2
	v_mov_b32_e32 v7, s3
	v_mul_f32_e32 v1, 0x4f7ffffe, v1
	v_cvt_u32_f32_e32 v1, v1
	v_mul_lo_u32 v4, s4, v1
	s_mov_b64 s[4:5], 0
	v_mul_hi_u32 v6, v1, v4
	v_add_co_u32_e32 v4, vcc, 4, v0
	v_addc_co_u32_e64 v5, s[6:7], 0, 0, vcc
	v_add_u32_e32 v6, v1, v6
	s_branch .LBB139_9
.LBB139_8:                              ;   in Loop: Header=BB139_9 Depth=1
	s_or_b64 exec, exec, s[6:7]
	v_add_u32_e32 v2, s11, v2
	v_cmp_le_i32_e32 vcc, s8, v2
	s_or_b64 s[4:5], vcc, s[4:5]
	v_add_co_u32_e32 v4, vcc, s1, v4
	v_addc_co_u32_e32 v5, vcc, 0, v5, vcc
	global_store_dword v[0:1], v8, off
	s_andn2_b64 exec, exec, s[4:5]
	s_cbranch_execz .LBB139_17
.LBB139_9:                              ; =>This Inner Loop Header: Depth=1
	v_add_co_u32_e32 v0, vcc, s0, v4
	v_addc_co_u32_e32 v1, vcc, v3, v5, vcc
	global_load_dword v8, v[0:1], off
	s_waitcnt vmcnt(0)
	v_add_u32_e32 v8, -1, v8
	v_sub_u32_e32 v9, 0, v8
	v_max_i32_e32 v9, v8, v9
	v_mul_hi_u32 v10, v9, v6
	v_ashrrev_i32_e32 v8, 31, v8
	v_mul_lo_u32 v10, v10, s10
	v_sub_u32_e32 v9, v9, v10
	v_subrev_u32_e32 v10, s10, v9
	v_cmp_le_u32_e32 vcc, s10, v9
	v_cndmask_b32_e32 v9, v9, v10, vcc
	v_subrev_u32_e32 v10, s10, v9
	v_cmp_le_u32_e32 vcc, s10, v9
	v_cndmask_b32_e32 v9, v9, v10, vcc
	v_xor_b32_e32 v9, v9, v8
	v_sub_u32_e32 v9, v9, v8
	v_and_b32_e32 v8, 1, v9
	v_cmp_eq_u32_e32 vcc, 1, v8
                                        ; implicit-def: $vgpr8
	s_and_saveexec_b64 s[6:7], vcc
	s_xor_b64 s[6:7], exec, s[6:7]
; %bb.10:                               ;   in Loop: Header=BB139_9 Depth=1
	v_add_u32_e32 v8, 3, v9
	v_mov_b32_e32 v9, s10
	v_cmp_lt_i32_e32 vcc, s9, v8
	v_cndmask_b32_e32 v8, v8, v9, vcc
                                        ; implicit-def: $vgpr9
; %bb.11:                               ;   in Loop: Header=BB139_9 Depth=1
	s_andn2_saveexec_b64 s[6:7], s[6:7]
; %bb.12:                               ;   in Loop: Header=BB139_9 Depth=1
	v_add_u32_e32 v8, -1, v9
	v_cmp_lt_i32_e32 vcc, 1, v9
	v_cndmask_b32_e32 v8, 2, v8, vcc
; %bb.13:                               ;   in Loop: Header=BB139_9 Depth=1
	s_or_b64 exec, exec, s[6:7]
	global_store_dword v[0:1], v8, off
	v_add_co_u32_e32 v0, vcc, s2, v4
	v_addc_co_u32_e32 v1, vcc, v7, v5, vcc
	global_load_dword v8, v[0:1], off
	s_waitcnt vmcnt(0)
	v_add_u32_e32 v8, -1, v8
	v_sub_u32_e32 v9, 0, v8
	v_max_i32_e32 v9, v8, v9
	v_mul_hi_u32 v10, v9, v6
	v_ashrrev_i32_e32 v8, 31, v8
	v_mul_lo_u32 v10, v10, s10
	v_sub_u32_e32 v9, v9, v10
	v_subrev_u32_e32 v10, s10, v9
	v_cmp_le_u32_e32 vcc, s10, v9
	v_cndmask_b32_e32 v9, v9, v10, vcc
	v_subrev_u32_e32 v10, s10, v9
	v_cmp_le_u32_e32 vcc, s10, v9
	v_cndmask_b32_e32 v9, v9, v10, vcc
	v_xor_b32_e32 v9, v9, v8
	v_sub_u32_e32 v9, v9, v8
	v_and_b32_e32 v8, 1, v9
	v_cmp_eq_u32_e32 vcc, 1, v8
                                        ; implicit-def: $vgpr8
	s_and_saveexec_b64 s[6:7], vcc
	s_xor_b64 s[6:7], exec, s[6:7]
; %bb.14:                               ;   in Loop: Header=BB139_9 Depth=1
	v_add_u32_e32 v8, 3, v9
	v_mov_b32_e32 v9, s10
	v_cmp_lt_i32_e32 vcc, s9, v8
	v_cndmask_b32_e32 v8, v8, v9, vcc
                                        ; implicit-def: $vgpr9
; %bb.15:                               ;   in Loop: Header=BB139_9 Depth=1
	s_andn2_saveexec_b64 s[6:7], s[6:7]
	s_cbranch_execz .LBB139_8
; %bb.16:                               ;   in Loop: Header=BB139_9 Depth=1
	v_add_u32_e32 v8, -1, v9
	v_cmp_lt_i32_e32 vcc, 1, v9
	v_cndmask_b32_e32 v8, 2, v8, vcc
	s_branch .LBB139_8
.LBB139_17:
	s_endpgm
	.section	.rodata,"a",@progbits
	.p2align	6, 0x0
	.amdhsa_kernel _ZN9rocsolver6v33100L17syevj_cycle_pairsI19rocblas_complex_numIdEEEviPiS4_
		.amdhsa_group_segment_fixed_size 0
		.amdhsa_private_segment_fixed_size 0
		.amdhsa_kernarg_size 280
		.amdhsa_user_sgpr_count 6
		.amdhsa_user_sgpr_private_segment_buffer 1
		.amdhsa_user_sgpr_dispatch_ptr 0
		.amdhsa_user_sgpr_queue_ptr 0
		.amdhsa_user_sgpr_kernarg_segment_ptr 1
		.amdhsa_user_sgpr_dispatch_id 0
		.amdhsa_user_sgpr_flat_scratch_init 0
		.amdhsa_user_sgpr_private_segment_size 0
		.amdhsa_uses_dynamic_stack 0
		.amdhsa_system_sgpr_private_segment_wavefront_offset 0
		.amdhsa_system_sgpr_workgroup_id_x 1
		.amdhsa_system_sgpr_workgroup_id_y 0
		.amdhsa_system_sgpr_workgroup_id_z 0
		.amdhsa_system_sgpr_workgroup_info 0
		.amdhsa_system_vgpr_workitem_id 0
		.amdhsa_next_free_vgpr 11
		.amdhsa_next_free_sgpr 16
		.amdhsa_reserve_vcc 1
		.amdhsa_reserve_flat_scratch 0
		.amdhsa_float_round_mode_32 0
		.amdhsa_float_round_mode_16_64 0
		.amdhsa_float_denorm_mode_32 3
		.amdhsa_float_denorm_mode_16_64 3
		.amdhsa_dx10_clamp 1
		.amdhsa_ieee_mode 1
		.amdhsa_fp16_overflow 0
		.amdhsa_exception_fp_ieee_invalid_op 0
		.amdhsa_exception_fp_denorm_src 0
		.amdhsa_exception_fp_ieee_div_zero 0
		.amdhsa_exception_fp_ieee_overflow 0
		.amdhsa_exception_fp_ieee_underflow 0
		.amdhsa_exception_fp_ieee_inexact 0
		.amdhsa_exception_int_div_zero 0
	.end_amdhsa_kernel
	.section	.text._ZN9rocsolver6v33100L17syevj_cycle_pairsI19rocblas_complex_numIdEEEviPiS4_,"axG",@progbits,_ZN9rocsolver6v33100L17syevj_cycle_pairsI19rocblas_complex_numIdEEEviPiS4_,comdat
.Lfunc_end139:
	.size	_ZN9rocsolver6v33100L17syevj_cycle_pairsI19rocblas_complex_numIdEEEviPiS4_, .Lfunc_end139-_ZN9rocsolver6v33100L17syevj_cycle_pairsI19rocblas_complex_numIdEEEviPiS4_
                                        ; -- End function
	.set _ZN9rocsolver6v33100L17syevj_cycle_pairsI19rocblas_complex_numIdEEEviPiS4_.num_vgpr, 11
	.set _ZN9rocsolver6v33100L17syevj_cycle_pairsI19rocblas_complex_numIdEEEviPiS4_.num_agpr, 0
	.set _ZN9rocsolver6v33100L17syevj_cycle_pairsI19rocblas_complex_numIdEEEviPiS4_.numbered_sgpr, 16
	.set _ZN9rocsolver6v33100L17syevj_cycle_pairsI19rocblas_complex_numIdEEEviPiS4_.num_named_barrier, 0
	.set _ZN9rocsolver6v33100L17syevj_cycle_pairsI19rocblas_complex_numIdEEEviPiS4_.private_seg_size, 0
	.set _ZN9rocsolver6v33100L17syevj_cycle_pairsI19rocblas_complex_numIdEEEviPiS4_.uses_vcc, 1
	.set _ZN9rocsolver6v33100L17syevj_cycle_pairsI19rocblas_complex_numIdEEEviPiS4_.uses_flat_scratch, 0
	.set _ZN9rocsolver6v33100L17syevj_cycle_pairsI19rocblas_complex_numIdEEEviPiS4_.has_dyn_sized_stack, 0
	.set _ZN9rocsolver6v33100L17syevj_cycle_pairsI19rocblas_complex_numIdEEEviPiS4_.has_recursion, 0
	.set _ZN9rocsolver6v33100L17syevj_cycle_pairsI19rocblas_complex_numIdEEEviPiS4_.has_indirect_call, 0
	.section	.AMDGPU.csdata,"",@progbits
; Kernel info:
; codeLenInByte = 684
; TotalNumSgprs: 20
; NumVgprs: 11
; ScratchSize: 0
; MemoryBound: 0
; FloatMode: 240
; IeeeMode: 1
; LDSByteSize: 0 bytes/workgroup (compile time only)
; SGPRBlocks: 2
; VGPRBlocks: 2
; NumSGPRsForWavesPerEU: 20
; NumVGPRsForWavesPerEU: 11
; Occupancy: 10
; WaveLimiterHint : 0
; COMPUTE_PGM_RSRC2:SCRATCH_EN: 0
; COMPUTE_PGM_RSRC2:USER_SGPR: 6
; COMPUTE_PGM_RSRC2:TRAP_HANDLER: 0
; COMPUTE_PGM_RSRC2:TGID_X_EN: 1
; COMPUTE_PGM_RSRC2:TGID_Y_EN: 0
; COMPUTE_PGM_RSRC2:TGID_Z_EN: 0
; COMPUTE_PGM_RSRC2:TIDIG_COMP_CNT: 0
	.section	.text._ZN9rocsolver6v33100L15syevj_calc_normI19rocblas_complex_numIdEdEEviiPT0_PT_S5_Pi,"axG",@progbits,_ZN9rocsolver6v33100L15syevj_calc_normI19rocblas_complex_numIdEdEEviiPT0_PT_S5_Pi,comdat
	.globl	_ZN9rocsolver6v33100L15syevj_calc_normI19rocblas_complex_numIdEdEEviiPT0_PT_S5_Pi ; -- Begin function _ZN9rocsolver6v33100L15syevj_calc_normI19rocblas_complex_numIdEdEEviiPT0_PT_S5_Pi
	.p2align	8
	.type	_ZN9rocsolver6v33100L15syevj_calc_normI19rocblas_complex_numIdEdEEviiPT0_PT_S5_Pi,@function
_ZN9rocsolver6v33100L15syevj_calc_normI19rocblas_complex_numIdEdEEviiPT0_PT_S5_Pi: ; @_ZN9rocsolver6v33100L15syevj_calc_normI19rocblas_complex_numIdEdEEviiPT0_PT_S5_Pi
; %bb.0:
	s_load_dwordx8 s[8:15], s[4:5], 0x8
	s_mov_b32 s6, s7
	s_ashr_i32 s7, s7, 31
	s_lshl_b64 s[0:1], s[6:7], 2
	s_waitcnt lgkmcnt(0)
	s_add_u32 s2, s14, s0
	s_addc_u32 s3, s15, s1
	s_load_dword s0, s[2:3], 0x4
	s_waitcnt lgkmcnt(0)
	s_cmp_lg_u32 s0, 0
	s_cbranch_scc0 .LBB140_2
.LBB140_1:
	s_endpgm
.LBB140_2:
	s_load_dword s0, s[4:5], 0x34
	s_load_dwordx2 s[16:17], s[4:5], 0x0
	v_mov_b32_e32 v1, 0
	v_mov_b32_e32 v2, 0
	s_waitcnt lgkmcnt(0)
	s_and_b32 s24, s0, 0xffff
	v_cmp_gt_i32_e32 vcc, s16, v0
	s_and_saveexec_b64 s[4:5], vcc
	s_cbranch_execz .LBB140_10
; %bb.3:
	s_mul_i32 s0, s16, s6
	s_mul_i32 s0, s0, s16
	s_ashr_i32 s1, s0, 31
	s_lshl_b64 s[0:1], s[0:1], 4
	s_add_u32 s0, s10, s0
	v_lshlrev_b32_e32 v1, 4, v0
	s_addc_u32 s1, s11, s1
	v_mov_b32_e32 v2, s1
	v_add_co_u32_e32 v1, vcc, s0, v1
	v_addc_co_u32_e32 v2, vcc, 0, v2, vcc
	v_add_co_u32_e32 v3, vcc, 8, v1
	v_addc_co_u32_e32 v4, vcc, 0, v2, vcc
	s_ashr_i32 s1, s16, 31
	s_mov_b32 s0, s16
	v_mov_b32_e32 v1, 0
	s_lshl_b32 s25, s24, 4
	s_lshl_b64 s[10:11], s[0:1], 4
	v_mov_b32_e32 v2, 0
	s_mov_b64 s[18:19], 0
	v_mov_b32_e32 v7, v0
	s_branch .LBB140_6
.LBB140_4:                              ;   in Loop: Header=BB140_6 Depth=1
	s_or_b64 exec, exec, s[22:23]
.LBB140_5:                              ;   in Loop: Header=BB140_6 Depth=1
	s_or_b64 exec, exec, s[20:21]
	v_add_u32_e32 v7, s24, v7
	v_cmp_le_i32_e32 vcc, s16, v7
	s_or_b64 s[18:19], vcc, s[18:19]
	v_add_co_u32_e32 v3, vcc, s25, v3
	v_addc_co_u32_e32 v4, vcc, 0, v4, vcc
	s_andn2_b64 exec, exec, s[18:19]
	s_cbranch_execz .LBB140_9
.LBB140_6:                              ; =>This Loop Header: Depth=1
                                        ;     Child Loop BB140_8 Depth 2
	v_cmp_ne_u32_e32 vcc, 0, v7
	s_and_saveexec_b64 s[20:21], vcc
	s_cbranch_execz .LBB140_5
; %bb.7:                                ;   in Loop: Header=BB140_6 Depth=1
	v_mov_b32_e32 v6, v4
	s_mov_b64 s[22:23], 0
	v_mov_b32_e32 v5, v3
	v_mov_b32_e32 v8, v7
.LBB140_8:                              ;   Parent Loop BB140_6 Depth=1
                                        ; =>  This Inner Loop Header: Depth=2
	global_load_dwordx4 v[9:12], v[5:6], off offset:-8
	v_add_u32_e32 v8, -1, v8
	v_add_co_u32_e32 v5, vcc, s10, v5
	v_cmp_eq_u32_e64 s[0:1], 0, v8
	s_or_b64 s[22:23], s[0:1], s[22:23]
	s_waitcnt vmcnt(0)
	v_mul_f64 v[11:12], v[11:12], v[11:12]
	v_fma_f64 v[9:10], v[9:10], v[9:10], v[11:12]
	v_fma_f64 v[1:2], v[9:10], 2.0, v[1:2]
	v_mov_b32_e32 v9, s11
	v_addc_co_u32_e32 v6, vcc, v6, v9, vcc
	s_andn2_b64 exec, exec, s[22:23]
	s_cbranch_execnz .LBB140_8
	s_branch .LBB140_4
.LBB140_9:
	s_or_b64 exec, exec, s[18:19]
.LBB140_10:
	s_or_b64 exec, exec, s[4:5]
	v_lshl_add_u32 v3, v0, 3, 0
	v_cmp_eq_u32_e32 vcc, 0, v0
	ds_write_b64 v3, v[1:2]
	s_waitcnt lgkmcnt(0)
	s_barrier
	s_and_saveexec_b64 s[0:1], vcc
	s_cbranch_execz .LBB140_1
; %bb.11:
	s_min_i32 s1, s16, s24
	s_cmp_lt_i32 s1, 2
	s_cbranch_scc1 .LBB140_20
; %bb.12:
	s_add_i32 s0, s1, -1
	s_add_i32 s1, s1, -2
	s_cmp_lt_u32 s1, 7
	s_cbranch_scc1 .LBB140_16
; %bb.13:
	s_mov_b32 s5, 0
	s_add_i32 s1, 0, 8
	s_and_b32 s4, s0, -8
.LBB140_14:                             ; =>This Inner Loop Header: Depth=1
	v_mov_b32_e32 v11, s1
	ds_read2_b64 v[3:6], v11 offset1:1
	ds_read2_b64 v[7:10], v11 offset0:2 offset1:3
	s_mov_b32 s10, s5
	s_add_i32 s1, s1, 64
	s_add_i32 s5, s5, 8
	s_waitcnt lgkmcnt(1)
	v_add_f64 v[0:1], v[1:2], v[3:4]
	s_cmp_lg_u32 s4, s5
	v_add_f64 v[0:1], v[0:1], v[5:6]
	s_waitcnt lgkmcnt(0)
	v_add_f64 v[0:1], v[0:1], v[7:8]
	v_add_f64 v[8:9], v[0:1], v[9:10]
	ds_read2_b64 v[0:3], v11 offset0:4 offset1:5
	ds_read2_b64 v[4:7], v11 offset0:6 offset1:7
	s_waitcnt lgkmcnt(1)
	v_add_f64 v[0:1], v[8:9], v[0:1]
	v_add_f64 v[0:1], v[0:1], v[2:3]
	s_waitcnt lgkmcnt(0)
	v_add_f64 v[0:1], v[0:1], v[4:5]
	v_add_f64 v[1:2], v[0:1], v[6:7]
	s_cbranch_scc1 .LBB140_14
; %bb.15:
	s_add_i32 s1, s10, 9
	s_branch .LBB140_17
.LBB140_16:
	s_mov_b32 s1, 1
.LBB140_17:
	s_and_b32 s0, s0, 7
	s_cmp_eq_u32 s0, 0
	s_cbranch_scc1 .LBB140_20
; %bb.18:
	s_lshl_b32 s1, s1, 3
	s_add_i32 s1, s1, 0
.LBB140_19:                             ; =>This Inner Loop Header: Depth=1
	v_mov_b32_e32 v0, s1
	ds_read_b64 v[3:4], v0
	s_add_i32 s1, s1, 8
	s_add_i32 s0, s0, -1
	s_cmp_lg_u32 s0, 0
	s_waitcnt lgkmcnt(0)
	v_add_f64 v[1:2], v[1:2], v[3:4]
	s_cbranch_scc1 .LBB140_19
.LBB140_20:
	s_lshl_b64 s[0:1], s[6:7], 3
	s_add_u32 s4, s8, s0
	s_addc_u32 s5, s9, s1
	v_mov_b32_e32 v0, 0
	s_add_u32 s0, s12, s0
	global_store_dwordx2 v0, v[1:2], s[4:5]
	s_addc_u32 s1, s13, s1
	global_load_dwordx2 v[3:4], v0, s[0:1]
	s_waitcnt vmcnt(0)
	v_cmp_lt_f64_e32 vcc, v[1:2], v[3:4]
	s_and_b64 exec, exec, vcc
	s_cbranch_execz .LBB140_1
; %bb.21:
	s_add_i32 s4, s17, 1
	s_mov_b64 s[0:1], exec
	v_mov_b32_e32 v1, s4
	global_store_dword v0, v1, s[2:3] offset:4
	v_mbcnt_lo_u32_b32 v0, s0, 0
	v_mbcnt_hi_u32_b32 v0, s1, v0
	v_cmp_eq_u32_e32 vcc, 0, v0
	s_and_b64 s[2:3], exec, vcc
	s_mov_b64 exec, s[2:3]
	s_cbranch_execz .LBB140_1
; %bb.22:
	s_bcnt1_i32_b64 s0, s[0:1]
	v_mov_b32_e32 v0, 0
	v_mov_b32_e32 v1, s0
	global_atomic_add v0, v1, s[14:15]
	s_endpgm
	.section	.rodata,"a",@progbits
	.p2align	6, 0x0
	.amdhsa_kernel _ZN9rocsolver6v33100L15syevj_calc_normI19rocblas_complex_numIdEdEEviiPT0_PT_S5_Pi
		.amdhsa_group_segment_fixed_size 0
		.amdhsa_private_segment_fixed_size 0
		.amdhsa_kernarg_size 296
		.amdhsa_user_sgpr_count 6
		.amdhsa_user_sgpr_private_segment_buffer 1
		.amdhsa_user_sgpr_dispatch_ptr 0
		.amdhsa_user_sgpr_queue_ptr 0
		.amdhsa_user_sgpr_kernarg_segment_ptr 1
		.amdhsa_user_sgpr_dispatch_id 0
		.amdhsa_user_sgpr_flat_scratch_init 0
		.amdhsa_user_sgpr_private_segment_size 0
		.amdhsa_uses_dynamic_stack 0
		.amdhsa_system_sgpr_private_segment_wavefront_offset 0
		.amdhsa_system_sgpr_workgroup_id_x 1
		.amdhsa_system_sgpr_workgroup_id_y 1
		.amdhsa_system_sgpr_workgroup_id_z 0
		.amdhsa_system_sgpr_workgroup_info 0
		.amdhsa_system_vgpr_workitem_id 0
		.amdhsa_next_free_vgpr 13
		.amdhsa_next_free_sgpr 26
		.amdhsa_reserve_vcc 1
		.amdhsa_reserve_flat_scratch 0
		.amdhsa_float_round_mode_32 0
		.amdhsa_float_round_mode_16_64 0
		.amdhsa_float_denorm_mode_32 3
		.amdhsa_float_denorm_mode_16_64 3
		.amdhsa_dx10_clamp 1
		.amdhsa_ieee_mode 1
		.amdhsa_fp16_overflow 0
		.amdhsa_exception_fp_ieee_invalid_op 0
		.amdhsa_exception_fp_denorm_src 0
		.amdhsa_exception_fp_ieee_div_zero 0
		.amdhsa_exception_fp_ieee_overflow 0
		.amdhsa_exception_fp_ieee_underflow 0
		.amdhsa_exception_fp_ieee_inexact 0
		.amdhsa_exception_int_div_zero 0
	.end_amdhsa_kernel
	.section	.text._ZN9rocsolver6v33100L15syevj_calc_normI19rocblas_complex_numIdEdEEviiPT0_PT_S5_Pi,"axG",@progbits,_ZN9rocsolver6v33100L15syevj_calc_normI19rocblas_complex_numIdEdEEviiPT0_PT_S5_Pi,comdat
.Lfunc_end140:
	.size	_ZN9rocsolver6v33100L15syevj_calc_normI19rocblas_complex_numIdEdEEviiPT0_PT_S5_Pi, .Lfunc_end140-_ZN9rocsolver6v33100L15syevj_calc_normI19rocblas_complex_numIdEdEEviiPT0_PT_S5_Pi
                                        ; -- End function
	.set _ZN9rocsolver6v33100L15syevj_calc_normI19rocblas_complex_numIdEdEEviiPT0_PT_S5_Pi.num_vgpr, 13
	.set _ZN9rocsolver6v33100L15syevj_calc_normI19rocblas_complex_numIdEdEEviiPT0_PT_S5_Pi.num_agpr, 0
	.set _ZN9rocsolver6v33100L15syevj_calc_normI19rocblas_complex_numIdEdEEviiPT0_PT_S5_Pi.numbered_sgpr, 26
	.set _ZN9rocsolver6v33100L15syevj_calc_normI19rocblas_complex_numIdEdEEviiPT0_PT_S5_Pi.num_named_barrier, 0
	.set _ZN9rocsolver6v33100L15syevj_calc_normI19rocblas_complex_numIdEdEEviiPT0_PT_S5_Pi.private_seg_size, 0
	.set _ZN9rocsolver6v33100L15syevj_calc_normI19rocblas_complex_numIdEdEEviiPT0_PT_S5_Pi.uses_vcc, 1
	.set _ZN9rocsolver6v33100L15syevj_calc_normI19rocblas_complex_numIdEdEEviiPT0_PT_S5_Pi.uses_flat_scratch, 0
	.set _ZN9rocsolver6v33100L15syevj_calc_normI19rocblas_complex_numIdEdEEviiPT0_PT_S5_Pi.has_dyn_sized_stack, 0
	.set _ZN9rocsolver6v33100L15syevj_calc_normI19rocblas_complex_numIdEdEEviiPT0_PT_S5_Pi.has_recursion, 0
	.set _ZN9rocsolver6v33100L15syevj_calc_normI19rocblas_complex_numIdEdEEviiPT0_PT_S5_Pi.has_indirect_call, 0
	.section	.AMDGPU.csdata,"",@progbits
; Kernel info:
; codeLenInByte = 752
; TotalNumSgprs: 30
; NumVgprs: 13
; ScratchSize: 0
; MemoryBound: 0
; FloatMode: 240
; IeeeMode: 1
; LDSByteSize: 0 bytes/workgroup (compile time only)
; SGPRBlocks: 3
; VGPRBlocks: 3
; NumSGPRsForWavesPerEU: 30
; NumVGPRsForWavesPerEU: 13
; Occupancy: 10
; WaveLimiterHint : 0
; COMPUTE_PGM_RSRC2:SCRATCH_EN: 0
; COMPUTE_PGM_RSRC2:USER_SGPR: 6
; COMPUTE_PGM_RSRC2:TRAP_HANDLER: 0
; COMPUTE_PGM_RSRC2:TGID_X_EN: 1
; COMPUTE_PGM_RSRC2:TGID_Y_EN: 1
; COMPUTE_PGM_RSRC2:TGID_Z_EN: 0
; COMPUTE_PGM_RSRC2:TIDIG_COMP_CNT: 0
	.section	.text._ZN9rocsolver6v33100L14syevj_finalizeI19rocblas_complex_numIdEdPS3_EEv14rocblas_esort_14rocblas_evect_iT1_iilPT0_iPiS9_lSA_PT_SA_,"axG",@progbits,_ZN9rocsolver6v33100L14syevj_finalizeI19rocblas_complex_numIdEdPS3_EEv14rocblas_esort_14rocblas_evect_iT1_iilPT0_iPiS9_lSA_PT_SA_,comdat
	.globl	_ZN9rocsolver6v33100L14syevj_finalizeI19rocblas_complex_numIdEdPS3_EEv14rocblas_esort_14rocblas_evect_iT1_iilPT0_iPiS9_lSA_PT_SA_ ; -- Begin function _ZN9rocsolver6v33100L14syevj_finalizeI19rocblas_complex_numIdEdPS3_EEv14rocblas_esort_14rocblas_evect_iT1_iilPT0_iPiS9_lSA_PT_SA_
	.p2align	8
	.type	_ZN9rocsolver6v33100L14syevj_finalizeI19rocblas_complex_numIdEdPS3_EEv14rocblas_esort_14rocblas_evect_iT1_iilPT0_iPiS9_lSA_PT_SA_,@function
_ZN9rocsolver6v33100L14syevj_finalizeI19rocblas_complex_numIdEdPS3_EEv14rocblas_esort_14rocblas_evect_iT1_iilPT0_iPiS9_lSA_PT_SA_: ; @_ZN9rocsolver6v33100L14syevj_finalizeI19rocblas_complex_numIdEdPS3_EEv14rocblas_esort_14rocblas_evect_iT1_iilPT0_iPiS9_lSA_PT_SA_
; %bb.0:
	s_mov_b32 s28, s9
	s_load_dwordx4 s[20:23], s[6:7], 0x20
	s_load_dwordx8 s[8:15], s[6:7], 0x38
	s_load_dwordx4 s[24:27], s[6:7], 0x58
	s_ashr_i32 s29, s28, 31
	v_cmp_eq_u32_e64 s[0:1], 0, v0
	s_and_saveexec_b64 s[2:3], s[0:1]
	s_cbranch_execz .LBB141_2
; %bb.1:
	s_lshl_b64 s[16:17], s[28:29], 2
	s_waitcnt lgkmcnt(0)
	s_add_u32 s18, s26, s16
	s_addc_u32 s19, s27, s17
	s_lshl_b64 s[26:27], s[28:29], 3
	s_add_u32 s22, s22, s26
	s_addc_u32 s23, s23, s27
	s_load_dwordx2 s[26:27], s[22:23], 0x0
	v_mov_b32_e32 v3, 0
	v_bfrev_b32_e32 v4, 8
	v_mov_b32_e32 v12, 0x260
	v_mov_b32_e32 v11, 0
	s_waitcnt lgkmcnt(0)
	v_cmp_lt_f64_e32 vcc, s[26:27], v[3:4]
	s_and_b64 s[30:31], vcc, exec
	s_cselect_b32 s30, 0x100, 0
	v_mov_b32_e32 v3, s30
	v_ldexp_f64 v[3:4], s[26:27], v3
	s_load_dword s26, s[6:7], 0x30
	s_load_dword s27, s[18:19], 0x4
	s_cselect_b32 s30, 0xffffff80, 0
	s_waitcnt lgkmcnt(0)
	s_add_i32 s31, s27, -1
	s_cmp_lt_i32 s27, 1
	v_rsq_f64_e32 v[5:6], v[3:4]
	v_cmp_class_f64_e32 vcc, v[3:4], v12
	s_cselect_b64 s[18:19], -1, 0
	v_mul_f64 v[7:8], v[3:4], v[5:6]
	v_mul_f64 v[5:6], v[5:6], 0.5
	v_fma_f64 v[9:10], -v[5:6], v[7:8], 0.5
	v_fma_f64 v[7:8], v[7:8], v[9:10], v[7:8]
	v_fma_f64 v[5:6], v[5:6], v[9:10], v[5:6]
	v_fma_f64 v[9:10], -v[7:8], v[7:8], v[3:4]
	v_fma_f64 v[7:8], v[9:10], v[5:6], v[7:8]
	v_fma_f64 v[9:10], -v[7:8], v[7:8], v[3:4]
	v_fma_f64 v[5:6], v[9:10], v[5:6], v[7:8]
	v_cndmask_b32_e64 v7, 0, 1, s[18:19]
	s_and_b64 s[18:19], s[18:19], exec
	s_cselect_b32 s18, s26, s31
	s_add_u32 s8, s8, s16
	s_addc_u32 s9, s9, s17
	v_mov_b32_e32 v8, s18
	global_store_dword v11, v8, s[8:9]
	v_ldexp_f64 v[5:6], v[5:6], s30
	s_add_u32 s8, s14, s16
	s_addc_u32 s9, s15, s17
	v_cndmask_b32_e32 v4, v6, v4, vcc
	v_cndmask_b32_e32 v3, v5, v3, vcc
	global_store_dwordx2 v11, v[3:4], s[22:23]
	global_store_dword v11, v7, s[8:9]
.LBB141_2:
	s_or_b64 exec, exec, s[2:3]
	s_load_dwordx4 s[16:19], s[6:7], 0x0
	s_waitcnt lgkmcnt(0)
	s_mul_i32 s2, s12, s29
	s_mul_hi_u32 s3, s12, s28
	s_add_i32 s2, s3, s2
	s_mul_i32 s3, s13, s28
	s_add_i32 s3, s2, s3
	s_mul_i32 s2, s12, s28
	s_lshl_b64 s[22:23], s[2:3], 3
	s_add_u32 s19, s10, s22
	s_addc_u32 s26, s11, s23
	v_cmp_gt_i32_e64 s[2:3], s18, v0
	s_and_saveexec_b64 s[12:13], s[2:3]
	s_cbranch_execz .LBB141_5
; %bb.3:
	s_mul_i32 s8, s18, s28
	s_mul_i32 s8, s8, s18
	s_ashr_i32 s9, s8, 31
	s_load_dword s14, s[6:7], 0x74
	s_lshl_b64 s[8:9], s[8:9], 4
	s_add_u32 s24, s24, s8
	s_addc_u32 s30, s25, s9
	v_mad_u64_u32 v[3:4], s[8:9], v0, s18, v[0:1]
	s_add_i32 s27, s18, 1
	s_waitcnt lgkmcnt(0)
	s_and_b32 s25, s14, 0xffff
	s_mul_i32 s27, s27, s25
	s_mov_b64 s[14:15], 0
	v_mov_b32_e32 v7, s30
	v_mov_b32_e32 v8, s26
	;; [unrolled: 1-line block ×3, first 2 shown]
.LBB141_4:                              ; =>This Inner Loop Header: Depth=1
	v_ashrrev_i32_e32 v4, 31, v3
	v_lshlrev_b64 v[9:10], 4, v[3:4]
	v_ashrrev_i32_e32 v6, 31, v5
	v_add_co_u32_e32 v9, vcc, s24, v9
	v_addc_co_u32_e32 v10, vcc, v7, v10, vcc
	global_load_dwordx2 v[9:10], v[9:10], off
	v_lshlrev_b64 v[11:12], 3, v[5:6]
	v_add_u32_e32 v5, s25, v5
	v_cmp_le_i32_e32 vcc, s18, v5
	v_add_co_u32_e64 v11, s[8:9], s19, v11
	v_addc_co_u32_e64 v12, s[8:9], v8, v12, s[8:9]
	s_or_b64 s[14:15], vcc, s[14:15]
	v_add_u32_e32 v3, s27, v3
	s_waitcnt vmcnt(0)
	global_store_dwordx2 v[11:12], v[9:10], off
	s_andn2_b64 exec, exec, s[14:15]
	s_cbranch_execnz .LBB141_4
.LBB141_5:
	s_or_b64 exec, exec, s[12:13]
	s_cmpk_lg_i32 s17, 0xd5
	s_cselect_b64 s[24:25], -1, 0
	v_cmp_eq_u32_e32 vcc, 0, v0
	s_or_b64 s[12:13], vcc, s[24:25]
	s_cmpk_lg_i32 s16, 0xfb
	s_cselect_b64 s[14:15], -1, 0
	s_and_b64 s[12:13], s[14:15], s[12:13]
	s_cmp_gt_i32 s18, 1
	s_cselect_b64 s[14:15], -1, 0
	s_mov_b32 s9, 0
	s_and_b64 s[12:13], s[14:15], s[12:13]
	s_waitcnt vmcnt(0)
	s_barrier
	s_and_saveexec_b64 s[14:15], s[12:13]
	s_cbranch_execz .LBB141_18
; %bb.6:
	s_load_dwordx2 s[16:17], s[4:5], 0x4
	s_load_dwordx4 s[12:15], s[6:7], 0x10
	s_mul_i32 s4, s20, s29
	s_mul_hi_u32 s5, s20, s28
	s_mul_i32 s8, s21, s28
	s_waitcnt lgkmcnt(0)
	s_lshr_b32 s16, s16, 16
	s_mul_i32 s16, s16, s17
	v_mul_lo_u32 v3, s16, v0
	s_add_i32 s16, s5, s4
	s_ashr_i32 s5, s14, 31
	s_mov_b32 s4, s14
	v_mad_u32_u24 v1, v1, s17, v3
	s_add_i32 s17, s16, s8
	s_mul_i32 s16, s20, s28
	s_lshl_b64 s[16:17], s[16:17], 4
	s_add_u32 s8, s12, s16
	s_addc_u32 s12, s13, s17
	s_lshl_b64 s[4:5], s[4:5], 4
	s_add_u32 s14, s8, s4
	s_addc_u32 s27, s12, s5
	s_add_u32 s6, s6, 0x68
	s_addc_u32 s7, s7, 0
	s_add_i32 s28, s18, -2
	s_add_u32 s4, s10, s22
	s_addc_u32 s5, s11, s23
	v_add_lshl_u32 v3, v1, v2, 4
	s_add_u32 s10, s4, 8
	v_cndmask_b32_e64 v1, 0, 1, s[24:25]
	s_addc_u32 s11, s5, 0
	v_mov_b32_e32 v4, 0
	v_cmp_ne_u32_e64 s[4:5], 1, v1
	s_mov_b32 s22, 0
	s_mov_b32 s23, 0
	s_branch .LBB141_9
.LBB141_7:                              ;   in Loop: Header=BB141_9 Depth=1
	s_or_b64 exec, exec, s[16:17]
	s_waitcnt vmcnt(0) lgkmcnt(0)
	s_barrier
.LBB141_8:                              ;   in Loop: Header=BB141_9 Depth=1
	s_add_u32 s10, s10, 8
	s_addc_u32 s11, s11, 0
	s_add_i32 s22, s22, s15
	s_cmp_lg_u32 s8, s28
	s_cbranch_scc0 .LBB141_18
.LBB141_9:                              ; =>This Loop Header: Depth=1
                                        ;     Child Loop BB141_10 Depth 2
                                        ;     Child Loop BB141_17 Depth 2
	s_mov_b32 s8, s23
	s_lshl_b64 s[12:13], s[8:9], 3
	s_add_u32 s16, s19, s12
	s_addc_u32 s17, s26, s13
	global_load_dwordx2 v[1:2], v4, s[16:17]
	s_add_i32 s23, s23, 1
	s_mov_b64 s[20:21], s[10:11]
	s_mov_b32 s13, s23
	s_mov_b32 s12, s8
.LBB141_10:                             ;   Parent Loop BB141_9 Depth=1
                                        ; =>  This Inner Loop Header: Depth=2
	global_load_dwordx2 v[5:6], v4, s[20:21]
	s_waitcnt vmcnt(0)
	v_cmp_lt_f64_e32 vcc, v[5:6], v[1:2]
	s_and_b64 s[24:25], vcc, exec
	s_cselect_b32 s12, s13, s12
	s_add_i32 s13, s13, 1
	s_add_u32 s20, s20, 8
	s_addc_u32 s21, s21, 0
	v_cndmask_b32_e32 v2, v2, v6, vcc
	s_cmp_lg_u32 s18, s13
	v_cndmask_b32_e32 v1, v1, v5, vcc
	s_cbranch_scc1 .LBB141_10
; %bb.11:                               ;   in Loop: Header=BB141_9 Depth=1
	s_cmp_eq_u32 s12, s8
	s_barrier
	s_cbranch_scc1 .LBB141_8
; %bb.12:                               ;   in Loop: Header=BB141_9 Depth=1
	s_and_saveexec_b64 s[20:21], s[0:1]
	s_cbranch_execz .LBB141_14
; %bb.13:                               ;   in Loop: Header=BB141_9 Depth=1
	global_load_dwordx2 v[5:6], v4, s[16:17]
	s_ashr_i32 s13, s12, 31
	s_lshl_b64 s[24:25], s[12:13], 3
	s_add_u32 s24, s19, s24
	s_addc_u32 s25, s26, s25
	s_waitcnt vmcnt(0)
	global_store_dwordx2 v4, v[5:6], s[24:25]
	global_store_dwordx2 v4, v[1:2], s[16:17]
.LBB141_14:                             ;   in Loop: Header=BB141_9 Depth=1
	s_or_b64 exec, exec, s[20:21]
	s_and_b64 vcc, exec, s[4:5]
	s_cbranch_vccnz .LBB141_8
; %bb.15:                               ;   in Loop: Header=BB141_9 Depth=1
	s_and_saveexec_b64 s[16:17], s[2:3]
	s_cbranch_execz .LBB141_7
; %bb.16:                               ;   in Loop: Header=BB141_9 Depth=1
	s_load_dword s21, s[6:7], 0xc
	s_mul_i32 s20, s12, s15
	s_mov_b64 s[12:13], 0
	v_mov_b32_e32 v1, v0
	s_waitcnt lgkmcnt(0)
	s_and_b32 s21, s21, 0xffff
.LBB141_17:                             ;   Parent Loop BB141_9 Depth=1
                                        ; =>  This Inner Loop Header: Depth=2
	v_add_u32_e32 v5, s20, v1
	v_ashrrev_i32_e32 v6, 31, v5
	v_add_u32_e32 v7, s22, v1
	v_lshlrev_b64 v[5:6], 4, v[5:6]
	v_ashrrev_i32_e32 v8, 31, v7
	v_mov_b32_e32 v2, s27
	v_lshlrev_b64 v[7:8], 4, v[7:8]
	v_add_co_u32_e32 v13, vcc, s14, v5
	v_addc_co_u32_e32 v14, vcc, v2, v6, vcc
	v_mov_b32_e32 v9, s27
	v_add_co_u32_e32 v15, vcc, s14, v7
	v_addc_co_u32_e32 v16, vcc, v9, v8, vcc
	global_load_dwordx4 v[5:8], v[13:14], off
	global_load_dwordx4 v[9:12], v[15:16], off
	v_add_u32_e32 v1, s21, v1
	v_cmp_le_i32_e32 vcc, s18, v1
	s_or_b64 s[12:13], vcc, s[12:13]
	s_waitcnt vmcnt(1)
	ds_write2_b64 v3, v[5:6], v[7:8] offset1:1
	s_waitcnt vmcnt(0)
	global_store_dwordx4 v[13:14], v[9:12], off
	global_store_dwordx4 v[15:16], v[5:8], off
	s_andn2_b64 exec, exec, s[12:13]
	s_cbranch_execnz .LBB141_17
	s_branch .LBB141_7
.LBB141_18:
	s_endpgm
	.section	.rodata,"a",@progbits
	.p2align	6, 0x0
	.amdhsa_kernel _ZN9rocsolver6v33100L14syevj_finalizeI19rocblas_complex_numIdEdPS3_EEv14rocblas_esort_14rocblas_evect_iT1_iilPT0_iPiS9_lSA_PT_SA_
		.amdhsa_group_segment_fixed_size 16384
		.amdhsa_private_segment_fixed_size 0
		.amdhsa_kernarg_size 360
		.amdhsa_user_sgpr_count 8
		.amdhsa_user_sgpr_private_segment_buffer 1
		.amdhsa_user_sgpr_dispatch_ptr 1
		.amdhsa_user_sgpr_queue_ptr 0
		.amdhsa_user_sgpr_kernarg_segment_ptr 1
		.amdhsa_user_sgpr_dispatch_id 0
		.amdhsa_user_sgpr_flat_scratch_init 0
		.amdhsa_user_sgpr_private_segment_size 0
		.amdhsa_uses_dynamic_stack 0
		.amdhsa_system_sgpr_private_segment_wavefront_offset 0
		.amdhsa_system_sgpr_workgroup_id_x 1
		.amdhsa_system_sgpr_workgroup_id_y 1
		.amdhsa_system_sgpr_workgroup_id_z 0
		.amdhsa_system_sgpr_workgroup_info 0
		.amdhsa_system_vgpr_workitem_id 2
		.amdhsa_next_free_vgpr 17
		.amdhsa_next_free_sgpr 32
		.amdhsa_reserve_vcc 1
		.amdhsa_reserve_flat_scratch 0
		.amdhsa_float_round_mode_32 0
		.amdhsa_float_round_mode_16_64 0
		.amdhsa_float_denorm_mode_32 3
		.amdhsa_float_denorm_mode_16_64 3
		.amdhsa_dx10_clamp 1
		.amdhsa_ieee_mode 1
		.amdhsa_fp16_overflow 0
		.amdhsa_exception_fp_ieee_invalid_op 0
		.amdhsa_exception_fp_denorm_src 0
		.amdhsa_exception_fp_ieee_div_zero 0
		.amdhsa_exception_fp_ieee_overflow 0
		.amdhsa_exception_fp_ieee_underflow 0
		.amdhsa_exception_fp_ieee_inexact 0
		.amdhsa_exception_int_div_zero 0
	.end_amdhsa_kernel
	.section	.text._ZN9rocsolver6v33100L14syevj_finalizeI19rocblas_complex_numIdEdPS3_EEv14rocblas_esort_14rocblas_evect_iT1_iilPT0_iPiS9_lSA_PT_SA_,"axG",@progbits,_ZN9rocsolver6v33100L14syevj_finalizeI19rocblas_complex_numIdEdPS3_EEv14rocblas_esort_14rocblas_evect_iT1_iilPT0_iPiS9_lSA_PT_SA_,comdat
.Lfunc_end141:
	.size	_ZN9rocsolver6v33100L14syevj_finalizeI19rocblas_complex_numIdEdPS3_EEv14rocblas_esort_14rocblas_evect_iT1_iilPT0_iPiS9_lSA_PT_SA_, .Lfunc_end141-_ZN9rocsolver6v33100L14syevj_finalizeI19rocblas_complex_numIdEdPS3_EEv14rocblas_esort_14rocblas_evect_iT1_iilPT0_iPiS9_lSA_PT_SA_
                                        ; -- End function
	.set _ZN9rocsolver6v33100L14syevj_finalizeI19rocblas_complex_numIdEdPS3_EEv14rocblas_esort_14rocblas_evect_iT1_iilPT0_iPiS9_lSA_PT_SA_.num_vgpr, 17
	.set _ZN9rocsolver6v33100L14syevj_finalizeI19rocblas_complex_numIdEdPS3_EEv14rocblas_esort_14rocblas_evect_iT1_iilPT0_iPiS9_lSA_PT_SA_.num_agpr, 0
	.set _ZN9rocsolver6v33100L14syevj_finalizeI19rocblas_complex_numIdEdPS3_EEv14rocblas_esort_14rocblas_evect_iT1_iilPT0_iPiS9_lSA_PT_SA_.numbered_sgpr, 32
	.set _ZN9rocsolver6v33100L14syevj_finalizeI19rocblas_complex_numIdEdPS3_EEv14rocblas_esort_14rocblas_evect_iT1_iilPT0_iPiS9_lSA_PT_SA_.num_named_barrier, 0
	.set _ZN9rocsolver6v33100L14syevj_finalizeI19rocblas_complex_numIdEdPS3_EEv14rocblas_esort_14rocblas_evect_iT1_iilPT0_iPiS9_lSA_PT_SA_.private_seg_size, 0
	.set _ZN9rocsolver6v33100L14syevj_finalizeI19rocblas_complex_numIdEdPS3_EEv14rocblas_esort_14rocblas_evect_iT1_iilPT0_iPiS9_lSA_PT_SA_.uses_vcc, 1
	.set _ZN9rocsolver6v33100L14syevj_finalizeI19rocblas_complex_numIdEdPS3_EEv14rocblas_esort_14rocblas_evect_iT1_iilPT0_iPiS9_lSA_PT_SA_.uses_flat_scratch, 0
	.set _ZN9rocsolver6v33100L14syevj_finalizeI19rocblas_complex_numIdEdPS3_EEv14rocblas_esort_14rocblas_evect_iT1_iilPT0_iPiS9_lSA_PT_SA_.has_dyn_sized_stack, 0
	.set _ZN9rocsolver6v33100L14syevj_finalizeI19rocblas_complex_numIdEdPS3_EEv14rocblas_esort_14rocblas_evect_iT1_iilPT0_iPiS9_lSA_PT_SA_.has_recursion, 0
	.set _ZN9rocsolver6v33100L14syevj_finalizeI19rocblas_complex_numIdEdPS3_EEv14rocblas_esort_14rocblas_evect_iT1_iilPT0_iPiS9_lSA_PT_SA_.has_indirect_call, 0
	.section	.AMDGPU.csdata,"",@progbits
; Kernel info:
; codeLenInByte = 1176
; TotalNumSgprs: 36
; NumVgprs: 17
; ScratchSize: 0
; MemoryBound: 0
; FloatMode: 240
; IeeeMode: 1
; LDSByteSize: 16384 bytes/workgroup (compile time only)
; SGPRBlocks: 4
; VGPRBlocks: 4
; NumSGPRsForWavesPerEU: 36
; NumVGPRsForWavesPerEU: 17
; Occupancy: 8
; WaveLimiterHint : 0
; COMPUTE_PGM_RSRC2:SCRATCH_EN: 0
; COMPUTE_PGM_RSRC2:USER_SGPR: 8
; COMPUTE_PGM_RSRC2:TRAP_HANDLER: 0
; COMPUTE_PGM_RSRC2:TGID_X_EN: 1
; COMPUTE_PGM_RSRC2:TGID_Y_EN: 1
; COMPUTE_PGM_RSRC2:TGID_Z_EN: 0
; COMPUTE_PGM_RSRC2:TIDIG_COMP_CNT: 2
	.section	.text._ZN9rocsolver6v33100L18geqr2_kernel_smallILi256E19rocblas_complex_numIdEidPS3_EEvT1_S5_T3_lS5_lPT2_lPT0_l,"axG",@progbits,_ZN9rocsolver6v33100L18geqr2_kernel_smallILi256E19rocblas_complex_numIdEidPS3_EEvT1_S5_T3_lS5_lPT2_lPT0_l,comdat
	.globl	_ZN9rocsolver6v33100L18geqr2_kernel_smallILi256E19rocblas_complex_numIdEidPS3_EEvT1_S5_T3_lS5_lPT2_lPT0_l ; -- Begin function _ZN9rocsolver6v33100L18geqr2_kernel_smallILi256E19rocblas_complex_numIdEidPS3_EEvT1_S5_T3_lS5_lPT2_lPT0_l
	.p2align	8
	.type	_ZN9rocsolver6v33100L18geqr2_kernel_smallILi256E19rocblas_complex_numIdEidPS3_EEvT1_S5_T3_lS5_lPT2_lPT0_l,@function
_ZN9rocsolver6v33100L18geqr2_kernel_smallILi256E19rocblas_complex_numIdEidPS3_EEvT1_S5_T3_lS5_lPT2_lPT0_l: ; @_ZN9rocsolver6v33100L18geqr2_kernel_smallILi256E19rocblas_complex_numIdEidPS3_EEvT1_S5_T3_lS5_lPT2_lPT0_l
; %bb.0:
	s_load_dwordx8 s[8:15], s[4:5], 0x20
	s_load_dwordx2 s[16:17], s[4:5], 0x0
	s_load_dwordx4 s[0:3], s[4:5], 0x8
	s_load_dword s28, s[4:5], 0x18
	s_load_dwordx2 s[18:19], s[4:5], 0x40
	s_ashr_i32 s6, s7, 31
	s_waitcnt lgkmcnt(0)
	s_mul_hi_u32 s4, s8, s7
	s_mul_i32 s5, s8, s6
	s_add_i32 s4, s4, s5
	s_mul_i32 s5, s9, s7
	s_add_i32 s5, s4, s5
	s_mul_i32 s4, s8, s7
	s_lshl_b64 s[4:5], s[4:5], 4
	s_add_u32 s4, s0, s4
	s_addc_u32 s5, s1, s5
	s_lshl_b64 s[0:1], s[2:3], 4
	s_add_u32 s26, s4, s0
	v_and_b32_e32 v1, 0x7f, v0
	s_addc_u32 s27, s5, s1
	v_cmp_gt_i32_e64 s[0:1], s16, v1
	v_lshrrev_b32_e32 v16, 7, v0
	v_lshlrev_b32_e32 v17, 4, v1
	s_and_saveexec_b64 s[4:5], s[0:1]
	s_cbranch_execz .LBB142_6
; %bb.1:
	v_lshrrev_b32_e32 v5, 7, v0
	v_mul_lo_u32 v2, s16, v5
	s_lshl_b32 s24, s16, 5
	v_cmp_gt_i32_e32 vcc, s17, v5
	s_lshl_b32 s25, s28, 1
	v_lshlrev_b32_e32 v2, 4, v2
	v_add3_u32 v6, v2, v17, 0
	v_mad_u64_u32 v[2:3], s[2:3], s28, v5, v[1:2]
	s_mov_b64 s[8:9], 0
	v_mov_b32_e32 v7, v1
	s_branch .LBB142_3
.LBB142_2:                              ;   in Loop: Header=BB142_3 Depth=1
	s_or_b64 exec, exec, s[20:21]
	v_add_u32_e32 v7, 0x80, v7
	v_cmp_le_i32_e64 s[2:3], s16, v7
	v_add_u32_e32 v6, 0x800, v6
	s_or_b64 s[8:9], s[2:3], s[8:9]
	v_add_u32_e32 v2, 0x80, v2
	s_andn2_b64 exec, exec, s[8:9]
	s_cbranch_execz .LBB142_6
.LBB142_3:                              ; =>This Loop Header: Depth=1
                                        ;     Child Loop BB142_5 Depth 2
	s_and_saveexec_b64 s[20:21], vcc
	s_cbranch_execz .LBB142_2
; %bb.4:                                ;   in Loop: Header=BB142_3 Depth=1
	s_mov_b64 s[22:23], 0
	v_mov_b32_e32 v3, v2
	v_mov_b32_e32 v8, v6
	;; [unrolled: 1-line block ×3, first 2 shown]
.LBB142_5:                              ;   Parent Loop BB142_3 Depth=1
                                        ; =>  This Inner Loop Header: Depth=2
	v_ashrrev_i32_e32 v4, 31, v3
	v_lshlrev_b64 v[10:11], 4, v[3:4]
	v_mov_b32_e32 v12, s27
	v_add_co_u32_e64 v10, s[2:3], s26, v10
	v_addc_co_u32_e64 v11, s[2:3], v12, v11, s[2:3]
	global_load_dwordx4 v[10:13], v[10:11], off
	v_add_u32_e32 v9, 2, v9
	v_cmp_le_i32_e64 s[2:3], s17, v9
	v_add_u32_e32 v3, s25, v3
	s_or_b64 s[22:23], s[2:3], s[22:23]
	s_waitcnt vmcnt(0)
	ds_write2_b64 v8, v[10:11], v[12:13] offset1:1
	v_add_u32_e32 v8, s24, v8
	s_andn2_b64 exec, exec, s[22:23]
	s_cbranch_execnz .LBB142_5
	s_branch .LBB142_2
.LBB142_6:
	s_or_b64 exec, exec, s[4:5]
	s_min_i32 s29, s17, s16
	s_cmp_lt_i32 s29, 1
	s_waitcnt lgkmcnt(0)
	s_barrier
	s_cbranch_scc1 .LBB142_44
; %bb.7:
	s_mul_i32 s2, s12, s6
	s_mul_hi_u32 s3, s12, s7
	s_add_i32 s2, s3, s2
	s_mul_i32 s3, s13, s7
	s_add_i32 s3, s2, s3
	s_mul_i32 s2, s12, s7
	s_lshl_b64 s[2:3], s[2:3], 3
	v_mbcnt_lo_u32_b32 v2, -1, 0
	s_add_u32 s30, s10, s2
	v_mbcnt_hi_u32_b32 v2, -1, v2
	s_addc_u32 s31, s11, s3
	s_mul_i32 s2, s18, s6
	s_mul_hi_u32 s3, s18, s7
	v_and_b32_e32 v3, 63, v2
	s_add_i32 s2, s3, s2
	s_mul_i32 s3, s19, s7
	v_cmp_ne_u32_e32 vcc, 63, v3
	s_add_i32 s3, s2, s3
	s_mul_i32 s2, s18, s7
	v_addc_co_u32_e32 v4, vcc, 0, v2, vcc
	s_lshl_b64 s[2:3], s[2:3], 4
	v_cmp_gt_u32_e32 vcc, 62, v3
	s_add_u32 s33, s14, s2
	s_mul_i32 s2, s17, s16
	v_lshlrev_b32_e32 v18, 2, v4
	v_cndmask_b32_e64 v4, 0, 2, vcc
	v_cmp_gt_u32_e32 vcc, 60, v3
	s_addc_u32 s34, s15, s3
	s_lshl_b32 s2, s2, 4
	v_add_lshl_u32 v19, v4, v2, 2
	v_cndmask_b32_e64 v4, 0, 4, vcc
	v_cmp_gt_u32_e32 vcc, 56, v3
	s_add_i32 s35, s2, 0
	s_lshl_b32 s2, s17, 4
	v_add_lshl_u32 v20, v4, v2, 2
	v_cndmask_b32_e64 v4, 0, 8, vcc
	s_add_i32 s36, s35, s2
	v_add_lshl_u32 v21, v4, v2, 2
	v_cmp_gt_u32_e32 vcc, 48, v3
	v_mul_lo_u32 v4, s16, v0
	v_cndmask_b32_e64 v3, 0, 16, vcc
	s_cmp_eq_u64 s[10:11], 0
	v_add_lshl_u32 v22, v3, v2, 2
	v_mov_b32_e32 v3, 0x80
	s_cselect_b64 s[12:13], -1, 0
	s_cmp_lg_u64 s[10:11], 0
	v_lshl_or_b32 v23, v2, 2, v3
	v_and_b32_e32 v2, 63, v0
	s_cselect_b64 s[10:11], -1, 0
	s_lshl_b32 s37, s16, 4
	s_mov_b32 s9, 0
	v_cmp_eq_u32_e64 s[2:3], 0, v2
	v_lshrrev_b32_e32 v2, 2, v0
	v_lshlrev_b32_e32 v3, 4, v0
	v_add_u32_e32 v4, s16, v4
	s_add_i32 s6, s37, 0
	s_mov_b32 s14, 0
	v_cmp_eq_u32_e64 s[4:5], 0, v0
	v_add3_u32 v24, v3, 0, 16
	s_add_i32 s38, s37, 16
	v_lshl_add_u32 v25, v4, 4, 0
	s_lshl_b32 s39, s16, 12
	v_add_u32_e32 v26, s6, v3
	v_add_u32_e32 v27, s36, v2
	s_brev_b32 s15, 8
	v_mov_b32_e32 v2, 0
	v_mov_b32_e32 v28, 0xffffff80
	s_mov_b32 s40, 0
	s_mov_b32 s41, s17
	;; [unrolled: 1-line block ×4, first 2 shown]
	s_branch .LBB142_9
.LBB142_8:                              ;   in Loop: Header=BB142_9 Depth=1
	s_or_b64 exec, exec, s[6:7]
	s_add_i32 s41, s41, -1
	s_add_i32 s8, s8, 1
	s_add_i32 s42, s42, -1
	s_add_i32 s40, s40, s38
	v_add_u32_e32 v24, s38, v24
	v_add_u32_e32 v25, s38, v25
	s_cmp_eq_u32 s8, s29
	v_add_u32_e32 v26, s38, v26
	s_waitcnt lgkmcnt(0)
	s_barrier
	s_cbranch_scc1 .LBB142_44
.LBB142_9:                              ; =>This Loop Header: Depth=1
                                        ;     Child Loop BB142_11 Depth 2
                                        ;     Child Loop BB142_30 Depth 2
	;; [unrolled: 1-line block ×3, first 2 shown]
                                        ;       Child Loop BB142_37 Depth 3
                                        ;     Child Loop BB142_41 Depth 2
                                        ;       Child Loop BB142_43 Depth 3
	s_sub_i32 s43, s16, s8
	s_add_i32 s45, s43, -1
	v_mov_b32_e32 v3, 0
	v_mov_b32_e32 v5, 0
	;; [unrolled: 1-line block ×4, first 2 shown]
	v_cmp_gt_i32_e64 s[6:7], s45, v0
	s_and_saveexec_b64 s[18:19], s[6:7]
	s_cbranch_execz .LBB142_13
; %bb.10:                               ;   in Loop: Header=BB142_9 Depth=1
	v_mov_b32_e32 v3, 0
	v_mov_b32_e32 v5, 0
	;; [unrolled: 1-line block ×3, first 2 shown]
	s_mov_b64 s[20:21], 0
	v_mov_b32_e32 v7, v24
	v_mov_b32_e32 v6, 0
	;; [unrolled: 1-line block ×3, first 2 shown]
.LBB142_11:                             ;   Parent Loop BB142_9 Depth=1
                                        ; =>  This Inner Loop Header: Depth=2
	ds_read2_b64 v[9:12], v7 offset1:1
	v_add_u32_e32 v8, 0x100, v8
	v_cmp_le_i32_e32 vcc, s45, v8
	s_or_b64 s[20:21], vcc, s[20:21]
	v_add_u32_e32 v7, 0x1000, v7
	s_waitcnt lgkmcnt(0)
	v_mul_f64 v[13:14], v[11:12], v[11:12]
	v_mul_f64 v[29:30], v[9:10], v[11:12]
	v_fma_f64 v[13:14], v[9:10], v[9:10], v[13:14]
	v_fma_f64 v[9:10], v[9:10], v[11:12], -v[29:30]
	v_add_f64 v[5:6], v[5:6], v[13:14]
	v_add_f64 v[3:4], v[3:4], v[9:10]
	s_andn2_b64 exec, exec, s[20:21]
	s_cbranch_execnz .LBB142_11
; %bb.12:                               ;   in Loop: Header=BB142_9 Depth=1
	s_or_b64 exec, exec, s[20:21]
.LBB142_13:                             ;   in Loop: Header=BB142_9 Depth=1
	s_or_b64 exec, exec, s[18:19]
	ds_bpermute_b32 v7, v18, v5
	ds_bpermute_b32 v8, v18, v6
	s_waitcnt lgkmcnt(0)
	v_add_f64 v[5:6], v[5:6], v[7:8]
	ds_bpermute_b32 v7, v18, v3
	ds_bpermute_b32 v8, v18, v4
	s_waitcnt lgkmcnt(0)
	v_add_f64 v[3:4], v[3:4], v[7:8]
	;; [unrolled: 4-line block ×11, first 2 shown]
	ds_bpermute_b32 v7, v23, v5
	ds_bpermute_b32 v8, v23, v6
	s_and_saveexec_b64 s[18:19], s[2:3]
	s_cbranch_execz .LBB142_15
; %bb.14:                               ;   in Loop: Header=BB142_9 Depth=1
	s_waitcnt lgkmcnt(0)
	v_add_f64 v[5:6], v[5:6], v[7:8]
	ds_write2_b64 v27, v[3:4], v[5:6] offset0:2 offset1:3
.LBB142_15:                             ;   in Loop: Header=BB142_9 Depth=1
	s_or_b64 exec, exec, s[18:19]
	s_lshl_b32 s18, s8, 4
	s_add_i32 s44, s18, 0
	s_mul_i32 s18, s8, s16
	s_lshl_b32 s18, s18, 4
	s_add_i32 s44, s44, s18
	s_waitcnt lgkmcnt(0)
	s_barrier
	s_and_saveexec_b64 s[18:19], s[4:5]
	s_cbranch_execz .LBB142_28
; %bb.16:                               ;   in Loop: Header=BB142_9 Depth=1
	v_mov_b32_e32 v9, s36
	ds_read2_b64 v[5:8], v9 offset0:4 offset1:6
	s_mov_b64 s[24:25], 0
	s_mov_b64 s[20:21], 0
	s_waitcnt lgkmcnt(0)
	v_add_f64 v[3:4], v[3:4], v[5:6]
	v_add_f64 v[3:4], v[3:4], v[7:8]
	v_mov_b32_e32 v7, s44
	ds_read_b64 v[5:6], v9 offset:64
	ds_read_b64 v[10:11], v7 offset:8
	s_waitcnt lgkmcnt(0)
	v_mul_f64 v[12:13], v[10:11], v[10:11]
	v_add_f64 v[14:15], v[3:4], v[5:6]
	v_max_f64 v[3:4], v[14:15], v[12:13]
	v_cmp_nlt_f64_e32 vcc, 0, v[3:4]
	s_and_saveexec_b64 s[22:23], vcc
	s_xor_b64 s[22:23], exec, s[22:23]
                                        ; implicit-def: $vgpr4_vgpr5
	s_cbranch_execz .LBB142_21
; %bb.17:                               ;   in Loop: Header=BB142_9 Depth=1
	s_mov_b32 s20, s9
	s_mov_b32 s46, s9
	;; [unrolled: 1-line block ×4, first 2 shown]
	v_mov_b32_e32 v3, s20
	v_mov_b32_e32 v5, s46
	;; [unrolled: 1-line block ×5, first 2 shown]
	s_and_b64 vcc, exec, s[10:11]
	ds_write2_b64 v7, v[3:4], v[5:6] offset1:1
	s_cbranch_vccz .LBB142_19
; %bb.18:                               ;   in Loop: Header=BB142_9 Depth=1
	v_mov_b32_e32 v3, s44
	ds_read_b64 v[4:5], v3
	s_mov_b64 s[20:21], -1
	s_branch .LBB142_20
.LBB142_19:                             ;   in Loop: Header=BB142_9 Depth=1
	s_mov_b64 s[20:21], 0
                                        ; implicit-def: $vgpr4_vgpr5
.LBB142_20:                             ;   in Loop: Header=BB142_9 Depth=1
	s_and_b64 s[20:21], s[20:21], exec
                                        ; implicit-def: $vgpr12_vgpr13
                                        ; implicit-def: $vgpr14_vgpr15
                                        ; implicit-def: $vgpr10_vgpr11
.LBB142_21:                             ;   in Loop: Header=BB142_9 Depth=1
	s_or_saveexec_b64 s[22:23], s[22:23]
	v_mov_b32_e32 v6, 0
	v_mov_b32_e32 v8, 0
	;; [unrolled: 1-line block ×4, first 2 shown]
	s_xor_b64 exec, exec, s[22:23]
	s_cbranch_execz .LBB142_23
; %bb.22:                               ;   in Loop: Header=BB142_9 Depth=1
	v_mov_b32_e32 v3, s44
	ds_read_b64 v[29:30], v3
	s_waitcnt lgkmcnt(1)
	v_mov_b32_e32 v5, 0x100
	s_andn2_b64 s[20:21], s[20:21], exec
	s_and_b64 s[46:47], s[10:11], exec
	s_or_b64 s[20:21], s[20:21], s[46:47]
	s_waitcnt lgkmcnt(0)
	v_fma_f64 v[3:4], v[29:30], v[29:30], v[12:13]
	v_add_f64 v[3:4], v[14:15], v[3:4]
	v_cmp_gt_f64_e32 vcc, s[14:15], v[3:4]
	v_cndmask_b32_e32 v5, 0, v5, vcc
	v_ldexp_f64 v[4:5], v[3:4], v5
	v_cndmask_b32_e32 v3, 0, v28, vcc
	v_rsq_f64_e32 v[6:7], v[4:5]
	v_mul_f64 v[8:9], v[4:5], v[6:7]
	v_mul_f64 v[6:7], v[6:7], 0.5
	v_fma_f64 v[14:15], -v[6:7], v[8:9], 0.5
	v_fma_f64 v[8:9], v[8:9], v[14:15], v[8:9]
	v_fma_f64 v[6:7], v[6:7], v[14:15], v[6:7]
	v_fma_f64 v[31:32], -v[8:9], v[8:9], v[4:5]
	v_fma_f64 v[8:9], v[31:32], v[6:7], v[8:9]
	v_fma_f64 v[14:15], -v[8:9], v[8:9], v[4:5]
	v_fma_f64 v[6:7], v[14:15], v[6:7], v[8:9]
	v_ldexp_f64 v[6:7], v[6:7], v3
	v_mov_b32_e32 v3, 0x260
	v_cmp_class_f64_e32 vcc, v[4:5], v3
	v_cndmask_b32_e32 v4, v6, v4, vcc
	v_cndmask_b32_e32 v3, v7, v5, vcc
	v_cmp_le_f64_e32 vcc, 0, v[29:30]
	v_xor_b32_e32 v5, 0x80000000, v3
	v_cndmask_b32_e32 v5, v3, v5, vcc
	v_add_f64 v[6:7], v[29:30], -v[4:5]
	v_mov_b32_e32 v3, s36
	v_fma_f64 v[8:9], v[6:7], v[6:7], v[12:13]
	v_div_scale_f64 v[12:13], s[24:25], v[8:9], v[8:9], v[6:7]
	v_rcp_f64_e32 v[14:15], v[12:13]
	v_fma_f64 v[31:32], -v[12:13], v[14:15], 1.0
	v_fma_f64 v[14:15], v[14:15], v[31:32], v[14:15]
	v_fma_f64 v[31:32], -v[12:13], v[14:15], 1.0
	v_fma_f64 v[14:15], v[14:15], v[31:32], v[14:15]
	v_div_scale_f64 v[31:32], vcc, v[6:7], v[8:9], v[6:7]
	v_mul_f64 v[33:34], v[31:32], v[14:15]
	v_fma_f64 v[12:13], -v[12:13], v[33:34], v[31:32]
	s_nop 1
	v_div_fmas_f64 v[12:13], v[12:13], v[14:15], v[33:34]
	v_div_fixup_f64 v[6:7], v[12:13], v[8:9], v[6:7]
	v_div_scale_f64 v[12:13], s[24:25], v[8:9], v[8:9], -v[10:11]
	v_rcp_f64_e32 v[14:15], v[12:13]
	v_fma_f64 v[31:32], -v[12:13], v[14:15], 1.0
	v_fma_f64 v[14:15], v[14:15], v[31:32], v[14:15]
	v_fma_f64 v[31:32], -v[12:13], v[14:15], 1.0
	v_fma_f64 v[14:15], v[14:15], v[31:32], v[14:15]
	v_div_scale_f64 v[31:32], vcc, -v[10:11], v[8:9], -v[10:11]
	v_mul_f64 v[33:34], v[31:32], v[14:15]
	v_fma_f64 v[12:13], -v[12:13], v[33:34], v[31:32]
	s_nop 1
	v_div_fmas_f64 v[12:13], v[12:13], v[14:15], v[33:34]
	v_div_fixup_f64 v[8:9], v[12:13], v[8:9], -v[10:11]
	v_add_f64 v[12:13], v[4:5], -v[29:30]
	v_div_scale_f64 v[14:15], s[24:25], v[4:5], v[4:5], v[12:13]
	v_rcp_f64_e32 v[29:30], v[14:15]
	v_fma_f64 v[31:32], -v[14:15], v[29:30], 1.0
	v_fma_f64 v[29:30], v[29:30], v[31:32], v[29:30]
	v_fma_f64 v[31:32], -v[14:15], v[29:30], 1.0
	v_fma_f64 v[29:30], v[29:30], v[31:32], v[29:30]
	v_div_scale_f64 v[31:32], vcc, v[12:13], v[4:5], v[12:13]
	v_mul_f64 v[33:34], v[31:32], v[29:30]
	v_fma_f64 v[14:15], -v[14:15], v[33:34], v[31:32]
	s_nop 1
	v_div_fmas_f64 v[14:15], v[14:15], v[29:30], v[33:34]
	v_div_fixup_f64 v[12:13], v[14:15], v[4:5], v[12:13]
	v_div_scale_f64 v[14:15], s[24:25], v[4:5], v[4:5], -v[10:11]
	s_and_b64 s[24:25], s[12:13], exec
	v_rcp_f64_e32 v[29:30], v[14:15]
	v_fma_f64 v[31:32], -v[14:15], v[29:30], 1.0
	v_fma_f64 v[29:30], v[29:30], v[31:32], v[29:30]
	v_fma_f64 v[31:32], -v[14:15], v[29:30], 1.0
	v_fma_f64 v[29:30], v[29:30], v[31:32], v[29:30]
	v_div_scale_f64 v[31:32], vcc, -v[10:11], v[4:5], -v[10:11]
	v_mul_f64 v[33:34], v[31:32], v[29:30]
	v_fma_f64 v[14:15], -v[14:15], v[33:34], v[31:32]
	s_nop 1
	v_div_fmas_f64 v[14:15], v[14:15], v[29:30], v[33:34]
	v_div_fixup_f64 v[10:11], v[14:15], v[4:5], -v[10:11]
	ds_write2_b64 v3, v[12:13], v[10:11] offset1:1
.LBB142_23:                             ;   in Loop: Header=BB142_9 Depth=1
	s_or_b64 exec, exec, s[22:23]
	s_and_saveexec_b64 s[22:23], s[20:21]
	s_cbranch_execz .LBB142_25
; %bb.24:                               ;   in Loop: Header=BB142_9 Depth=1
	s_lshl_b64 s[20:21], s[8:9], 3
	s_add_u32 s20, s30, s20
	s_addc_u32 s21, s31, s21
	s_waitcnt lgkmcnt(0)
	global_store_dwordx2 v2, v[4:5], s[20:21]
	v_mov_b32_e32 v4, 0
	v_mov_b32_e32 v5, 0x3ff00000
	s_or_b64 s[24:25], s[24:25], exec
.LBB142_25:                             ;   in Loop: Header=BB142_9 Depth=1
	s_or_b64 exec, exec, s[22:23]
	v_mov_b32_e32 v10, 0
	v_mov_b32_e32 v11, 0
	s_and_saveexec_b64 s[20:21], s[24:25]
	s_cbranch_execz .LBB142_27
; %bb.26:                               ;   in Loop: Header=BB142_9 Depth=1
	v_mov_b32_e32 v3, v2
	v_mov_b32_e32 v10, s44
	s_waitcnt lgkmcnt(0)
	ds_write2_b64 v10, v[4:5], v[2:3] offset1:1
	v_mov_b32_e32 v3, s36
	ds_read_b64 v[10:11], v3 offset:8
.LBB142_27:                             ;   in Loop: Header=BB142_9 Depth=1
	s_or_b64 exec, exec, s[20:21]
	v_mov_b32_e32 v3, s36
	ds_read2_b64 v[12:15], v3 offset1:1
	s_lshl_b64 s[20:21], s[8:9], 4
	s_add_u32 s20, s33, s20
	s_addc_u32 s21, s34, s21
	s_waitcnt lgkmcnt(1)
	v_xor_b32_e32 v11, 0x80000000, v11
	ds_write_b64 v3, v[8:9] offset:24
	s_waitcnt lgkmcnt(1)
	global_store_dwordx4 v2, v[12:15], s[20:21]
	ds_write2_b64 v3, v[10:11], v[6:7] offset0:1 offset1:2
.LBB142_28:                             ;   in Loop: Header=BB142_9 Depth=1
	s_or_b64 exec, exec, s[18:19]
	s_waitcnt vmcnt(0) lgkmcnt(0)
	s_barrier
	s_and_saveexec_b64 s[18:19], s[6:7]
	s_cbranch_execz .LBB142_31
; %bb.29:                               ;   in Loop: Header=BB142_9 Depth=1
	s_mov_b32 s20, 0
	s_mov_b64 s[6:7], 0
	v_mov_b32_e32 v3, v0
.LBB142_30:                             ;   Parent Loop BB142_9 Depth=1
                                        ; =>  This Inner Loop Header: Depth=2
	v_mov_b32_e32 v4, s36
	v_add_u32_e32 v14, s20, v24
	ds_read2_b64 v[4:7], v4 offset0:2 offset1:3
	ds_read2_b64 v[8:11], v14 offset1:1
	v_add_u32_e32 v3, 0x100, v3
	s_addk_i32 s20, 0x1000
	v_cmp_le_i32_e32 vcc, s45, v3
	s_or_b64 s[6:7], vcc, s[6:7]
	s_waitcnt lgkmcnt(0)
	v_mul_f64 v[12:13], v[6:7], v[10:11]
	v_mul_f64 v[10:11], v[4:5], v[10:11]
	v_fma_f64 v[4:5], v[4:5], v[8:9], -v[12:13]
	v_fma_f64 v[6:7], v[6:7], v[8:9], v[10:11]
	ds_write2_b64 v14, v[4:5], v[6:7] offset1:1
	s_andn2_b64 exec, exec, s[6:7]
	s_cbranch_execnz .LBB142_30
.LBB142_31:                             ;   in Loop: Header=BB142_9 Depth=1
	s_or_b64 exec, exec, s[18:19]
	s_not_b32 s6, s8
	s_add_i32 s22, s17, s6
	v_cmp_gt_i32_e32 vcc, s22, v0
	s_waitcnt lgkmcnt(0)
	s_barrier
	s_and_saveexec_b64 s[6:7], vcc
	s_cbranch_execz .LBB142_38
; %bb.32:                               ;   in Loop: Header=BB142_9 Depth=1
	s_cmp_gt_i32 s43, 0
	s_mov_b64 s[18:19], 0
	s_cselect_b64 s[20:21], -1, 0
	v_mov_b32_e32 v7, v25
	v_mov_b32_e32 v8, v0
	s_branch .LBB142_35
.LBB142_33:                             ;   in Loop: Header=BB142_35 Depth=2
	v_mov_b32_e32 v5, 0
	v_mov_b32_e32 v6, 0
.LBB142_34:                             ;   in Loop: Header=BB142_35 Depth=2
	v_mov_b32_e32 v9, s36
	ds_read2_b64 v[9:12], v9 offset1:1
	v_add_u32_e32 v7, s39, v7
	s_waitcnt lgkmcnt(0)
	v_mul_f64 v[13:14], v[3:4], v[11:12]
	v_mul_f64 v[11:12], v[5:6], v[11:12]
	v_fma_f64 v[5:6], v[5:6], v[9:10], -v[13:14]
	v_fma_f64 v[3:4], v[3:4], v[9:10], v[11:12]
	v_lshl_add_u32 v9, v8, 4, s35
	v_add_u32_e32 v8, 0x100, v8
	v_cmp_le_i32_e32 vcc, s22, v8
	s_or_b64 s[18:19], vcc, s[18:19]
	ds_write2_b64 v9, v[5:6], v[3:4] offset1:1
	s_andn2_b64 exec, exec, s[18:19]
	s_cbranch_execz .LBB142_38
.LBB142_35:                             ;   Parent Loop BB142_9 Depth=1
                                        ; =>  This Loop Header: Depth=2
                                        ;       Child Loop BB142_37 Depth 3
	v_mov_b32_e32 v3, 0
	v_mov_b32_e32 v4, 0
	s_andn2_b64 vcc, exec, s[20:21]
	s_cbranch_vccnz .LBB142_33
; %bb.36:                               ;   in Loop: Header=BB142_35 Depth=2
	v_mov_b32_e32 v5, 0
	s_mov_b32 s23, s40
	s_mov_b32 s24, s42
	v_mov_b32_e32 v6, 0
	v_mov_b32_e32 v9, v7
.LBB142_37:                             ;   Parent Loop BB142_9 Depth=1
                                        ;     Parent Loop BB142_35 Depth=2
                                        ; =>    This Inner Loop Header: Depth=3
	v_mov_b32_e32 v14, s23
	ds_read2_b64 v[10:13], v9 offset1:1
	ds_read2_b64 v[29:32], v14 offset1:1
	s_add_i32 s24, s24, -1
	s_add_i32 s23, s23, 16
	s_cmp_eq_u32 s24, 0
	v_add_u32_e32 v9, 16, v9
	s_waitcnt lgkmcnt(0)
	v_mul_f64 v[14:15], v[31:32], v[12:13]
	v_mul_f64 v[31:32], v[31:32], v[10:11]
	v_fma_f64 v[10:11], v[29:30], v[10:11], v[14:15]
	v_fma_f64 v[12:13], v[29:30], v[12:13], -v[31:32]
	v_add_f64 v[5:6], v[5:6], v[10:11]
	v_add_f64 v[3:4], v[3:4], v[12:13]
	s_cbranch_scc0 .LBB142_37
	s_branch .LBB142_34
.LBB142_38:                             ;   in Loop: Header=BB142_9 Depth=1
	s_or_b64 exec, exec, s[6:7]
	v_cmp_gt_i32_e32 vcc, s43, v0
	s_waitcnt lgkmcnt(0)
	s_barrier
	s_and_saveexec_b64 s[6:7], vcc
	s_cbranch_execz .LBB142_8
; %bb.39:                               ;   in Loop: Header=BB142_9 Depth=1
	s_cmp_gt_i32 s22, 0
	s_mov_b64 s[18:19], 0
	s_cselect_b64 s[20:21], -1, 0
	v_mov_b32_e32 v3, v26
	v_mov_b32_e32 v4, v0
	s_branch .LBB142_41
.LBB142_40:                             ;   in Loop: Header=BB142_41 Depth=2
	v_add_u32_e32 v4, 0x100, v4
	v_cmp_le_i32_e32 vcc, s43, v4
	s_or_b64 s[18:19], vcc, s[18:19]
	v_add_u32_e32 v3, 0x1000, v3
	s_andn2_b64 exec, exec, s[18:19]
	s_cbranch_execz .LBB142_8
.LBB142_41:                             ;   Parent Loop BB142_9 Depth=1
                                        ; =>  This Loop Header: Depth=2
                                        ;       Child Loop BB142_43 Depth 3
	s_andn2_b64 vcc, exec, s[20:21]
	s_cbranch_vccnz .LBB142_40
; %bb.42:                               ;   in Loop: Header=BB142_41 Depth=2
	v_lshl_add_u32 v5, v4, 4, s44
	s_mov_b32 s22, 1
	s_mov_b32 s23, s35
	v_mov_b32_e32 v6, v3
.LBB142_43:                             ;   Parent Loop BB142_9 Depth=1
                                        ;     Parent Loop BB142_41 Depth=2
                                        ; =>    This Inner Loop Header: Depth=3
	v_mov_b32_e32 v11, s23
	ds_read2_b64 v[7:10], v5 offset1:1
	ds_read2_b64 v[11:14], v11 offset1:1
	s_add_i32 s22, s22, 1
	s_add_i32 s23, s23, 16
	s_cmp_eq_u32 s41, s22
	s_waitcnt lgkmcnt(0)
	v_mul_f64 v[29:30], v[13:14], v[9:10]
	v_mul_f64 v[9:10], v[11:12], v[9:10]
	v_fma_f64 v[11:12], v[11:12], v[7:8], -v[29:30]
	v_fma_f64 v[13:14], v[13:14], v[7:8], v[9:10]
	ds_read2_b64 v[7:10], v6 offset1:1
	s_waitcnt lgkmcnt(0)
	v_add_f64 v[7:8], v[7:8], -v[11:12]
	v_add_f64 v[9:10], v[9:10], -v[13:14]
	ds_write2_b64 v6, v[7:8], v[9:10] offset1:1
	v_add_u32_e32 v6, s37, v6
	s_cbranch_scc0 .LBB142_43
	s_branch .LBB142_40
.LBB142_44:
	s_and_saveexec_b64 s[2:3], s[0:1]
	s_cbranch_execz .LBB142_50
; %bb.45:
	v_mul_lo_u32 v0, s16, v16
	v_mad_u64_u32 v[2:3], s[0:1], s28, v16, v[1:2]
	v_cmp_gt_i32_e32 vcc, s17, v16
	v_lshlrev_b32_e32 v0, 4, v0
	s_lshl_b32 s8, s28, 1
	v_add3_u32 v0, v0, v17, 0
	s_lshl_b32 s9, s16, 5
	s_mov_b64 s[2:3], 0
	s_branch .LBB142_47
.LBB142_46:                             ;   in Loop: Header=BB142_47 Depth=1
	s_or_b64 exec, exec, s[4:5]
	v_add_u32_e32 v1, 0x80, v1
	v_cmp_le_i32_e64 s[0:1], s16, v1
	v_add_u32_e32 v2, 0x80, v2
	s_or_b64 s[2:3], s[0:1], s[2:3]
	v_add_u32_e32 v0, 0x800, v0
	s_andn2_b64 exec, exec, s[2:3]
	s_cbranch_execz .LBB142_50
.LBB142_47:                             ; =>This Loop Header: Depth=1
                                        ;     Child Loop BB142_49 Depth 2
	s_and_saveexec_b64 s[4:5], vcc
	s_cbranch_execz .LBB142_46
; %bb.48:                               ;   in Loop: Header=BB142_47 Depth=1
	s_mov_b64 s[6:7], 0
	v_mov_b32_e32 v5, v0
	v_mov_b32_e32 v3, v2
	;; [unrolled: 1-line block ×3, first 2 shown]
.LBB142_49:                             ;   Parent Loop BB142_47 Depth=1
                                        ; =>  This Inner Loop Header: Depth=2
	v_ashrrev_i32_e32 v4, 31, v3
	ds_read2_b64 v[7:10], v5 offset1:1
	v_add_u32_e32 v6, 2, v6
	v_lshlrev_b64 v[11:12], 4, v[3:4]
	v_cmp_le_i32_e64 s[0:1], s17, v6
	v_mov_b32_e32 v13, s27
	s_or_b64 s[6:7], s[0:1], s[6:7]
	v_add_co_u32_e64 v11, s[0:1], s26, v11
	v_add_u32_e32 v5, s9, v5
	v_add_u32_e32 v3, s8, v3
	v_addc_co_u32_e64 v12, s[0:1], v13, v12, s[0:1]
	s_waitcnt lgkmcnt(0)
	global_store_dwordx4 v[11:12], v[7:10], off
	s_andn2_b64 exec, exec, s[6:7]
	s_cbranch_execnz .LBB142_49
	s_branch .LBB142_46
.LBB142_50:
	s_endpgm
	.section	.rodata,"a",@progbits
	.p2align	6, 0x0
	.amdhsa_kernel _ZN9rocsolver6v33100L18geqr2_kernel_smallILi256E19rocblas_complex_numIdEidPS3_EEvT1_S5_T3_lS5_lPT2_lPT0_l
		.amdhsa_group_segment_fixed_size 0
		.amdhsa_private_segment_fixed_size 0
		.amdhsa_kernarg_size 72
		.amdhsa_user_sgpr_count 6
		.amdhsa_user_sgpr_private_segment_buffer 1
		.amdhsa_user_sgpr_dispatch_ptr 0
		.amdhsa_user_sgpr_queue_ptr 0
		.amdhsa_user_sgpr_kernarg_segment_ptr 1
		.amdhsa_user_sgpr_dispatch_id 0
		.amdhsa_user_sgpr_flat_scratch_init 0
		.amdhsa_user_sgpr_private_segment_size 0
		.amdhsa_uses_dynamic_stack 0
		.amdhsa_system_sgpr_private_segment_wavefront_offset 0
		.amdhsa_system_sgpr_workgroup_id_x 1
		.amdhsa_system_sgpr_workgroup_id_y 0
		.amdhsa_system_sgpr_workgroup_id_z 1
		.amdhsa_system_sgpr_workgroup_info 0
		.amdhsa_system_vgpr_workitem_id 0
		.amdhsa_next_free_vgpr 35
		.amdhsa_next_free_sgpr 48
		.amdhsa_reserve_vcc 1
		.amdhsa_reserve_flat_scratch 0
		.amdhsa_float_round_mode_32 0
		.amdhsa_float_round_mode_16_64 0
		.amdhsa_float_denorm_mode_32 3
		.amdhsa_float_denorm_mode_16_64 3
		.amdhsa_dx10_clamp 1
		.amdhsa_ieee_mode 1
		.amdhsa_fp16_overflow 0
		.amdhsa_exception_fp_ieee_invalid_op 0
		.amdhsa_exception_fp_denorm_src 0
		.amdhsa_exception_fp_ieee_div_zero 0
		.amdhsa_exception_fp_ieee_overflow 0
		.amdhsa_exception_fp_ieee_underflow 0
		.amdhsa_exception_fp_ieee_inexact 0
		.amdhsa_exception_int_div_zero 0
	.end_amdhsa_kernel
	.section	.text._ZN9rocsolver6v33100L18geqr2_kernel_smallILi256E19rocblas_complex_numIdEidPS3_EEvT1_S5_T3_lS5_lPT2_lPT0_l,"axG",@progbits,_ZN9rocsolver6v33100L18geqr2_kernel_smallILi256E19rocblas_complex_numIdEidPS3_EEvT1_S5_T3_lS5_lPT2_lPT0_l,comdat
.Lfunc_end142:
	.size	_ZN9rocsolver6v33100L18geqr2_kernel_smallILi256E19rocblas_complex_numIdEidPS3_EEvT1_S5_T3_lS5_lPT2_lPT0_l, .Lfunc_end142-_ZN9rocsolver6v33100L18geqr2_kernel_smallILi256E19rocblas_complex_numIdEidPS3_EEvT1_S5_T3_lS5_lPT2_lPT0_l
                                        ; -- End function
	.set _ZN9rocsolver6v33100L18geqr2_kernel_smallILi256E19rocblas_complex_numIdEidPS3_EEvT1_S5_T3_lS5_lPT2_lPT0_l.num_vgpr, 35
	.set _ZN9rocsolver6v33100L18geqr2_kernel_smallILi256E19rocblas_complex_numIdEidPS3_EEvT1_S5_T3_lS5_lPT2_lPT0_l.num_agpr, 0
	.set _ZN9rocsolver6v33100L18geqr2_kernel_smallILi256E19rocblas_complex_numIdEidPS3_EEvT1_S5_T3_lS5_lPT2_lPT0_l.numbered_sgpr, 48
	.set _ZN9rocsolver6v33100L18geqr2_kernel_smallILi256E19rocblas_complex_numIdEidPS3_EEvT1_S5_T3_lS5_lPT2_lPT0_l.num_named_barrier, 0
	.set _ZN9rocsolver6v33100L18geqr2_kernel_smallILi256E19rocblas_complex_numIdEidPS3_EEvT1_S5_T3_lS5_lPT2_lPT0_l.private_seg_size, 0
	.set _ZN9rocsolver6v33100L18geqr2_kernel_smallILi256E19rocblas_complex_numIdEidPS3_EEvT1_S5_T3_lS5_lPT2_lPT0_l.uses_vcc, 1
	.set _ZN9rocsolver6v33100L18geqr2_kernel_smallILi256E19rocblas_complex_numIdEidPS3_EEvT1_S5_T3_lS5_lPT2_lPT0_l.uses_flat_scratch, 0
	.set _ZN9rocsolver6v33100L18geqr2_kernel_smallILi256E19rocblas_complex_numIdEidPS3_EEvT1_S5_T3_lS5_lPT2_lPT0_l.has_dyn_sized_stack, 0
	.set _ZN9rocsolver6v33100L18geqr2_kernel_smallILi256E19rocblas_complex_numIdEidPS3_EEvT1_S5_T3_lS5_lPT2_lPT0_l.has_recursion, 0
	.set _ZN9rocsolver6v33100L18geqr2_kernel_smallILi256E19rocblas_complex_numIdEidPS3_EEvT1_S5_T3_lS5_lPT2_lPT0_l.has_indirect_call, 0
	.section	.AMDGPU.csdata,"",@progbits
; Kernel info:
; codeLenInByte = 3172
; TotalNumSgprs: 52
; NumVgprs: 35
; ScratchSize: 0
; MemoryBound: 0
; FloatMode: 240
; IeeeMode: 1
; LDSByteSize: 0 bytes/workgroup (compile time only)
; SGPRBlocks: 6
; VGPRBlocks: 8
; NumSGPRsForWavesPerEU: 52
; NumVGPRsForWavesPerEU: 35
; Occupancy: 7
; WaveLimiterHint : 0
; COMPUTE_PGM_RSRC2:SCRATCH_EN: 0
; COMPUTE_PGM_RSRC2:USER_SGPR: 6
; COMPUTE_PGM_RSRC2:TRAP_HANDLER: 0
; COMPUTE_PGM_RSRC2:TGID_X_EN: 1
; COMPUTE_PGM_RSRC2:TGID_Y_EN: 0
; COMPUTE_PGM_RSRC2:TGID_Z_EN: 1
; COMPUTE_PGM_RSRC2:TIDIG_COMP_CNT: 0
	.section	.text._ZN9rocsolver6v33100L16reset_batch_infoI19rocblas_complex_numIdEiiPS3_EEvT2_lT0_T1_,"axG",@progbits,_ZN9rocsolver6v33100L16reset_batch_infoI19rocblas_complex_numIdEiiPS3_EEvT2_lT0_T1_,comdat
	.globl	_ZN9rocsolver6v33100L16reset_batch_infoI19rocblas_complex_numIdEiiPS3_EEvT2_lT0_T1_ ; -- Begin function _ZN9rocsolver6v33100L16reset_batch_infoI19rocblas_complex_numIdEiiPS3_EEvT2_lT0_T1_
	.p2align	8
	.type	_ZN9rocsolver6v33100L16reset_batch_infoI19rocblas_complex_numIdEiiPS3_EEvT2_lT0_T1_,@function
_ZN9rocsolver6v33100L16reset_batch_infoI19rocblas_complex_numIdEiiPS3_EEvT2_lT0_T1_: ; @_ZN9rocsolver6v33100L16reset_batch_infoI19rocblas_complex_numIdEiiPS3_EEvT2_lT0_T1_
; %bb.0:
	s_load_dword s2, s[4:5], 0x24
	s_load_dwordx2 s[0:1], s[4:5], 0x10
	s_waitcnt lgkmcnt(0)
	s_and_b32 s2, s2, 0xffff
	s_mul_i32 s6, s6, s2
	v_add_u32_e32 v0, s6, v0
	v_cmp_gt_i32_e32 vcc, s0, v0
	s_and_saveexec_b64 s[2:3], vcc
	s_cbranch_execz .LBB143_2
; %bb.1:
	s_load_dwordx4 s[8:11], s[4:5], 0x0
	s_ashr_i32 s0, s7, 31
	v_ashrrev_i32_e32 v1, 31, v0
	v_lshlrev_b64 v[2:3], 4, v[0:1]
	v_cvt_f64_i32_e32 v[0:1], s1
	s_waitcnt lgkmcnt(0)
	s_mul_hi_u32 s3, s10, s7
	s_mul_i32 s0, s10, s0
	s_mul_i32 s4, s11, s7
	s_add_i32 s0, s3, s0
	s_mul_i32 s2, s10, s7
	s_add_i32 s3, s0, s4
	s_lshl_b64 s[2:3], s[2:3], 4
	s_add_u32 s0, s8, s2
	s_addc_u32 s2, s9, s3
	v_mov_b32_e32 v5, s2
	v_add_co_u32_e32 v4, vcc, s0, v2
	v_mov_b32_e32 v2, 0
	v_addc_co_u32_e32 v5, vcc, v5, v3, vcc
	v_mov_b32_e32 v3, v2
	global_store_dwordx4 v[4:5], v[0:3], off
.LBB143_2:
	s_endpgm
	.section	.rodata,"a",@progbits
	.p2align	6, 0x0
	.amdhsa_kernel _ZN9rocsolver6v33100L16reset_batch_infoI19rocblas_complex_numIdEiiPS3_EEvT2_lT0_T1_
		.amdhsa_group_segment_fixed_size 0
		.amdhsa_private_segment_fixed_size 0
		.amdhsa_kernarg_size 280
		.amdhsa_user_sgpr_count 6
		.amdhsa_user_sgpr_private_segment_buffer 1
		.amdhsa_user_sgpr_dispatch_ptr 0
		.amdhsa_user_sgpr_queue_ptr 0
		.amdhsa_user_sgpr_kernarg_segment_ptr 1
		.amdhsa_user_sgpr_dispatch_id 0
		.amdhsa_user_sgpr_flat_scratch_init 0
		.amdhsa_user_sgpr_private_segment_size 0
		.amdhsa_uses_dynamic_stack 0
		.amdhsa_system_sgpr_private_segment_wavefront_offset 0
		.amdhsa_system_sgpr_workgroup_id_x 1
		.amdhsa_system_sgpr_workgroup_id_y 1
		.amdhsa_system_sgpr_workgroup_id_z 0
		.amdhsa_system_sgpr_workgroup_info 0
		.amdhsa_system_vgpr_workitem_id 0
		.amdhsa_next_free_vgpr 6
		.amdhsa_next_free_sgpr 12
		.amdhsa_reserve_vcc 1
		.amdhsa_reserve_flat_scratch 0
		.amdhsa_float_round_mode_32 0
		.amdhsa_float_round_mode_16_64 0
		.amdhsa_float_denorm_mode_32 3
		.amdhsa_float_denorm_mode_16_64 3
		.amdhsa_dx10_clamp 1
		.amdhsa_ieee_mode 1
		.amdhsa_fp16_overflow 0
		.amdhsa_exception_fp_ieee_invalid_op 0
		.amdhsa_exception_fp_denorm_src 0
		.amdhsa_exception_fp_ieee_div_zero 0
		.amdhsa_exception_fp_ieee_overflow 0
		.amdhsa_exception_fp_ieee_underflow 0
		.amdhsa_exception_fp_ieee_inexact 0
		.amdhsa_exception_int_div_zero 0
	.end_amdhsa_kernel
	.section	.text._ZN9rocsolver6v33100L16reset_batch_infoI19rocblas_complex_numIdEiiPS3_EEvT2_lT0_T1_,"axG",@progbits,_ZN9rocsolver6v33100L16reset_batch_infoI19rocblas_complex_numIdEiiPS3_EEvT2_lT0_T1_,comdat
.Lfunc_end143:
	.size	_ZN9rocsolver6v33100L16reset_batch_infoI19rocblas_complex_numIdEiiPS3_EEvT2_lT0_T1_, .Lfunc_end143-_ZN9rocsolver6v33100L16reset_batch_infoI19rocblas_complex_numIdEiiPS3_EEvT2_lT0_T1_
                                        ; -- End function
	.set _ZN9rocsolver6v33100L16reset_batch_infoI19rocblas_complex_numIdEiiPS3_EEvT2_lT0_T1_.num_vgpr, 6
	.set _ZN9rocsolver6v33100L16reset_batch_infoI19rocblas_complex_numIdEiiPS3_EEvT2_lT0_T1_.num_agpr, 0
	.set _ZN9rocsolver6v33100L16reset_batch_infoI19rocblas_complex_numIdEiiPS3_EEvT2_lT0_T1_.numbered_sgpr, 12
	.set _ZN9rocsolver6v33100L16reset_batch_infoI19rocblas_complex_numIdEiiPS3_EEvT2_lT0_T1_.num_named_barrier, 0
	.set _ZN9rocsolver6v33100L16reset_batch_infoI19rocblas_complex_numIdEiiPS3_EEvT2_lT0_T1_.private_seg_size, 0
	.set _ZN9rocsolver6v33100L16reset_batch_infoI19rocblas_complex_numIdEiiPS3_EEvT2_lT0_T1_.uses_vcc, 1
	.set _ZN9rocsolver6v33100L16reset_batch_infoI19rocblas_complex_numIdEiiPS3_EEvT2_lT0_T1_.uses_flat_scratch, 0
	.set _ZN9rocsolver6v33100L16reset_batch_infoI19rocblas_complex_numIdEiiPS3_EEvT2_lT0_T1_.has_dyn_sized_stack, 0
	.set _ZN9rocsolver6v33100L16reset_batch_infoI19rocblas_complex_numIdEiiPS3_EEvT2_lT0_T1_.has_recursion, 0
	.set _ZN9rocsolver6v33100L16reset_batch_infoI19rocblas_complex_numIdEiiPS3_EEvT2_lT0_T1_.has_indirect_call, 0
	.section	.AMDGPU.csdata,"",@progbits
; Kernel info:
; codeLenInByte = 148
; TotalNumSgprs: 16
; NumVgprs: 6
; ScratchSize: 0
; MemoryBound: 0
; FloatMode: 240
; IeeeMode: 1
; LDSByteSize: 0 bytes/workgroup (compile time only)
; SGPRBlocks: 1
; VGPRBlocks: 1
; NumSGPRsForWavesPerEU: 16
; NumVGPRsForWavesPerEU: 6
; Occupancy: 10
; WaveLimiterHint : 0
; COMPUTE_PGM_RSRC2:SCRATCH_EN: 0
; COMPUTE_PGM_RSRC2:USER_SGPR: 6
; COMPUTE_PGM_RSRC2:TRAP_HANDLER: 0
; COMPUTE_PGM_RSRC2:TGID_X_EN: 1
; COMPUTE_PGM_RSRC2:TGID_Y_EN: 1
; COMPUTE_PGM_RSRC2:TGID_Z_EN: 0
; COMPUTE_PGM_RSRC2:TIDIG_COMP_CNT: 0
	.section	.text._ZN9rocsolver6v33100L8set_diagI19rocblas_complex_numIdEidPS3_TnNSt9enable_ifIXaa18rocblas_is_complexIT_Ent18rocblas_is_complexIT1_EEiE4typeELi0EEEvPS7_llT2_lT0_lSC_b,"axG",@progbits,_ZN9rocsolver6v33100L8set_diagI19rocblas_complex_numIdEidPS3_TnNSt9enable_ifIXaa18rocblas_is_complexIT_Ent18rocblas_is_complexIT1_EEiE4typeELi0EEEvPS7_llT2_lT0_lSC_b,comdat
	.globl	_ZN9rocsolver6v33100L8set_diagI19rocblas_complex_numIdEidPS3_TnNSt9enable_ifIXaa18rocblas_is_complexIT_Ent18rocblas_is_complexIT1_EEiE4typeELi0EEEvPS7_llT2_lT0_lSC_b ; -- Begin function _ZN9rocsolver6v33100L8set_diagI19rocblas_complex_numIdEidPS3_TnNSt9enable_ifIXaa18rocblas_is_complexIT_Ent18rocblas_is_complexIT1_EEiE4typeELi0EEEvPS7_llT2_lT0_lSC_b
	.p2align	8
	.type	_ZN9rocsolver6v33100L8set_diagI19rocblas_complex_numIdEidPS3_TnNSt9enable_ifIXaa18rocblas_is_complexIT_Ent18rocblas_is_complexIT1_EEiE4typeELi0EEEvPS7_llT2_lT0_lSC_b,@function
_ZN9rocsolver6v33100L8set_diagI19rocblas_complex_numIdEidPS3_TnNSt9enable_ifIXaa18rocblas_is_complexIT_Ent18rocblas_is_complexIT1_EEiE4typeELi0EEEvPS7_llT2_lT0_lSC_b: ; @_ZN9rocsolver6v33100L8set_diagI19rocblas_complex_numIdEidPS3_TnNSt9enable_ifIXaa18rocblas_is_complexIT_Ent18rocblas_is_complexIT1_EEiE4typeELi0EEEvPS7_llT2_lT0_lSC_b
; %bb.0:
	s_load_dword s2, s[4:5], 0x4c
	s_load_dwordx2 s[0:1], s[4:5], 0x38
	s_waitcnt lgkmcnt(0)
	s_lshr_b32 s2, s2, 16
	s_mul_i32 s7, s7, s2
	v_add_u32_e32 v2, s7, v1
	v_cmp_gt_i32_e32 vcc, s0, v2
	s_and_saveexec_b64 s[2:3], vcc
	s_cbranch_execz .LBB144_5
; %bb.1:
	s_load_dwordx2 s[2:3], s[4:5], 0x20
	s_load_dword s7, s[4:5], 0x28
	s_load_dwordx2 s[16:17], s[4:5], 0x30
	s_load_dwordx8 s[8:15], s[4:5], 0x0
	s_bitcmp1_b32 s1, 0
	s_cselect_b64 s[0:1], -1, 0
	s_ashr_i32 s18, s6, 31
	s_waitcnt lgkmcnt(0)
	s_mul_hi_u32 s4, s16, s6
	s_mul_i32 s5, s16, s18
	s_add_i32 s4, s4, s5
	s_mul_i32 s5, s17, s6
	s_add_i32 s5, s4, s5
	s_mul_i32 s4, s16, s6
	s_lshl_b64 s[4:5], s[4:5], 4
	s_add_u32 s14, s14, s4
	s_addc_u32 s15, s15, s5
	v_mad_u64_u32 v[0:1], s[4:5], v2, s7, v[2:3]
	s_lshl_b64 s[2:3], s[2:3], 4
	s_add_u32 s2, s14, s2
	v_ashrrev_i32_e32 v1, 31, v0
	v_lshlrev_b64 v[0:1], 4, v[0:1]
	s_addc_u32 s3, s15, s3
	v_mov_b32_e32 v3, s3
	v_add_co_u32_e32 v4, vcc, s2, v0
	v_addc_co_u32_e32 v5, vcc, v3, v1, vcc
	global_load_dwordx2 v[0:1], v[4:5], off
	s_mul_hi_u32 s3, s12, s6
	s_mul_i32 s4, s12, s18
	s_mul_i32 s5, s13, s6
	s_add_i32 s3, s3, s4
	s_mul_i32 s2, s12, s6
	s_add_i32 s3, s3, s5
	s_lshl_b64 s[2:3], s[2:3], 3
	s_add_u32 s4, s8, s2
	v_ashrrev_i32_e32 v3, 31, v2
	s_addc_u32 s5, s9, s3
	s_lshl_b64 s[2:3], s[10:11], 3
	v_lshlrev_b64 v[2:3], 3, v[2:3]
	s_add_u32 s2, s4, s2
	s_addc_u32 s3, s5, s3
	s_and_b64 vcc, exec, s[0:1]
	v_mov_b32_e32 v6, s3
	v_add_co_u32_e64 v2, s[0:1], s2, v2
	v_addc_co_u32_e64 v3, s[0:1], v6, v3, s[0:1]
	s_waitcnt vmcnt(0)
	global_store_dwordx2 v[2:3], v[0:1], off
	s_cbranch_vccnz .LBB144_3
; %bb.2:
	global_load_dwordx2 v[2:3], v[4:5], off offset:8
	s_branch .LBB144_4
.LBB144_3:
	v_mov_b32_e32 v0, 0
	v_mov_b32_e32 v2, 0
	;; [unrolled: 1-line block ×4, first 2 shown]
.LBB144_4:
	s_waitcnt vmcnt(0)
	global_store_dwordx4 v[4:5], v[0:3], off
.LBB144_5:
	s_endpgm
	.section	.rodata,"a",@progbits
	.p2align	6, 0x0
	.amdhsa_kernel _ZN9rocsolver6v33100L8set_diagI19rocblas_complex_numIdEidPS3_TnNSt9enable_ifIXaa18rocblas_is_complexIT_Ent18rocblas_is_complexIT1_EEiE4typeELi0EEEvPS7_llT2_lT0_lSC_b
		.amdhsa_group_segment_fixed_size 0
		.amdhsa_private_segment_fixed_size 0
		.amdhsa_kernarg_size 320
		.amdhsa_user_sgpr_count 6
		.amdhsa_user_sgpr_private_segment_buffer 1
		.amdhsa_user_sgpr_dispatch_ptr 0
		.amdhsa_user_sgpr_queue_ptr 0
		.amdhsa_user_sgpr_kernarg_segment_ptr 1
		.amdhsa_user_sgpr_dispatch_id 0
		.amdhsa_user_sgpr_flat_scratch_init 0
		.amdhsa_user_sgpr_private_segment_size 0
		.amdhsa_uses_dynamic_stack 0
		.amdhsa_system_sgpr_private_segment_wavefront_offset 0
		.amdhsa_system_sgpr_workgroup_id_x 1
		.amdhsa_system_sgpr_workgroup_id_y 1
		.amdhsa_system_sgpr_workgroup_id_z 0
		.amdhsa_system_sgpr_workgroup_info 0
		.amdhsa_system_vgpr_workitem_id 1
		.amdhsa_next_free_vgpr 7
		.amdhsa_next_free_sgpr 19
		.amdhsa_reserve_vcc 1
		.amdhsa_reserve_flat_scratch 0
		.amdhsa_float_round_mode_32 0
		.amdhsa_float_round_mode_16_64 0
		.amdhsa_float_denorm_mode_32 3
		.amdhsa_float_denorm_mode_16_64 3
		.amdhsa_dx10_clamp 1
		.amdhsa_ieee_mode 1
		.amdhsa_fp16_overflow 0
		.amdhsa_exception_fp_ieee_invalid_op 0
		.amdhsa_exception_fp_denorm_src 0
		.amdhsa_exception_fp_ieee_div_zero 0
		.amdhsa_exception_fp_ieee_overflow 0
		.amdhsa_exception_fp_ieee_underflow 0
		.amdhsa_exception_fp_ieee_inexact 0
		.amdhsa_exception_int_div_zero 0
	.end_amdhsa_kernel
	.section	.text._ZN9rocsolver6v33100L8set_diagI19rocblas_complex_numIdEidPS3_TnNSt9enable_ifIXaa18rocblas_is_complexIT_Ent18rocblas_is_complexIT1_EEiE4typeELi0EEEvPS7_llT2_lT0_lSC_b,"axG",@progbits,_ZN9rocsolver6v33100L8set_diagI19rocblas_complex_numIdEidPS3_TnNSt9enable_ifIXaa18rocblas_is_complexIT_Ent18rocblas_is_complexIT1_EEiE4typeELi0EEEvPS7_llT2_lT0_lSC_b,comdat
.Lfunc_end144:
	.size	_ZN9rocsolver6v33100L8set_diagI19rocblas_complex_numIdEidPS3_TnNSt9enable_ifIXaa18rocblas_is_complexIT_Ent18rocblas_is_complexIT1_EEiE4typeELi0EEEvPS7_llT2_lT0_lSC_b, .Lfunc_end144-_ZN9rocsolver6v33100L8set_diagI19rocblas_complex_numIdEidPS3_TnNSt9enable_ifIXaa18rocblas_is_complexIT_Ent18rocblas_is_complexIT1_EEiE4typeELi0EEEvPS7_llT2_lT0_lSC_b
                                        ; -- End function
	.set _ZN9rocsolver6v33100L8set_diagI19rocblas_complex_numIdEidPS3_TnNSt9enable_ifIXaa18rocblas_is_complexIT_Ent18rocblas_is_complexIT1_EEiE4typeELi0EEEvPS7_llT2_lT0_lSC_b.num_vgpr, 7
	.set _ZN9rocsolver6v33100L8set_diagI19rocblas_complex_numIdEidPS3_TnNSt9enable_ifIXaa18rocblas_is_complexIT_Ent18rocblas_is_complexIT1_EEiE4typeELi0EEEvPS7_llT2_lT0_lSC_b.num_agpr, 0
	.set _ZN9rocsolver6v33100L8set_diagI19rocblas_complex_numIdEidPS3_TnNSt9enable_ifIXaa18rocblas_is_complexIT_Ent18rocblas_is_complexIT1_EEiE4typeELi0EEEvPS7_llT2_lT0_lSC_b.numbered_sgpr, 19
	.set _ZN9rocsolver6v33100L8set_diagI19rocblas_complex_numIdEidPS3_TnNSt9enable_ifIXaa18rocblas_is_complexIT_Ent18rocblas_is_complexIT1_EEiE4typeELi0EEEvPS7_llT2_lT0_lSC_b.num_named_barrier, 0
	.set _ZN9rocsolver6v33100L8set_diagI19rocblas_complex_numIdEidPS3_TnNSt9enable_ifIXaa18rocblas_is_complexIT_Ent18rocblas_is_complexIT1_EEiE4typeELi0EEEvPS7_llT2_lT0_lSC_b.private_seg_size, 0
	.set _ZN9rocsolver6v33100L8set_diagI19rocblas_complex_numIdEidPS3_TnNSt9enable_ifIXaa18rocblas_is_complexIT_Ent18rocblas_is_complexIT1_EEiE4typeELi0EEEvPS7_llT2_lT0_lSC_b.uses_vcc, 1
	.set _ZN9rocsolver6v33100L8set_diagI19rocblas_complex_numIdEidPS3_TnNSt9enable_ifIXaa18rocblas_is_complexIT_Ent18rocblas_is_complexIT1_EEiE4typeELi0EEEvPS7_llT2_lT0_lSC_b.uses_flat_scratch, 0
	.set _ZN9rocsolver6v33100L8set_diagI19rocblas_complex_numIdEidPS3_TnNSt9enable_ifIXaa18rocblas_is_complexIT_Ent18rocblas_is_complexIT1_EEiE4typeELi0EEEvPS7_llT2_lT0_lSC_b.has_dyn_sized_stack, 0
	.set _ZN9rocsolver6v33100L8set_diagI19rocblas_complex_numIdEidPS3_TnNSt9enable_ifIXaa18rocblas_is_complexIT_Ent18rocblas_is_complexIT1_EEiE4typeELi0EEEvPS7_llT2_lT0_lSC_b.has_recursion, 0
	.set _ZN9rocsolver6v33100L8set_diagI19rocblas_complex_numIdEidPS3_TnNSt9enable_ifIXaa18rocblas_is_complexIT_Ent18rocblas_is_complexIT1_EEiE4typeELi0EEEvPS7_llT2_lT0_lSC_b.has_indirect_call, 0
	.section	.AMDGPU.csdata,"",@progbits
; Kernel info:
; codeLenInByte = 328
; TotalNumSgprs: 23
; NumVgprs: 7
; ScratchSize: 0
; MemoryBound: 0
; FloatMode: 240
; IeeeMode: 1
; LDSByteSize: 0 bytes/workgroup (compile time only)
; SGPRBlocks: 2
; VGPRBlocks: 1
; NumSGPRsForWavesPerEU: 23
; NumVGPRsForWavesPerEU: 7
; Occupancy: 10
; WaveLimiterHint : 0
; COMPUTE_PGM_RSRC2:SCRATCH_EN: 0
; COMPUTE_PGM_RSRC2:USER_SGPR: 6
; COMPUTE_PGM_RSRC2:TRAP_HANDLER: 0
; COMPUTE_PGM_RSRC2:TGID_X_EN: 1
; COMPUTE_PGM_RSRC2:TGID_Y_EN: 1
; COMPUTE_PGM_RSRC2:TGID_Z_EN: 0
; COMPUTE_PGM_RSRC2:TIDIG_COMP_CNT: 1
	.section	.text._ZN9rocsolver6v33100L11set_taubetaI19rocblas_complex_numIdEidPS3_EEvPT_lS6_T2_llPT1_ll,"axG",@progbits,_ZN9rocsolver6v33100L11set_taubetaI19rocblas_complex_numIdEidPS3_EEvPT_lS6_T2_llPT1_ll,comdat
	.globl	_ZN9rocsolver6v33100L11set_taubetaI19rocblas_complex_numIdEidPS3_EEvPT_lS6_T2_llPT1_ll ; -- Begin function _ZN9rocsolver6v33100L11set_taubetaI19rocblas_complex_numIdEidPS3_EEvPT_lS6_T2_llPT1_ll
	.p2align	8
	.type	_ZN9rocsolver6v33100L11set_taubetaI19rocblas_complex_numIdEidPS3_EEvPT_lS6_T2_llPT1_ll,@function
_ZN9rocsolver6v33100L11set_taubetaI19rocblas_complex_numIdEidPS3_EEvPT_lS6_T2_llPT1_ll: ; @_ZN9rocsolver6v33100L11set_taubetaI19rocblas_complex_numIdEidPS3_EEvPT_lS6_T2_llPT1_ll
; %bb.0:
	s_load_dwordx16 s[8:23], s[4:5], 0x0
	s_ashr_i32 s7, s6, 31
	s_mov_b64 s[24:25], 0
	s_mov_b64 s[0:1], 0
	s_waitcnt lgkmcnt(0)
	s_cmp_eq_u64 s[20:21], 0
	s_cbranch_scc1 .LBB145_2
; %bb.1:
	s_load_dwordx2 s[0:1], s[4:5], 0x40
	s_waitcnt lgkmcnt(0)
	s_mul_i32 s2, s0, s7
	s_mul_hi_u32 s3, s0, s6
	s_mul_i32 s1, s1, s6
	s_add_i32 s2, s3, s2
	s_mul_i32 s0, s0, s6
	s_add_i32 s1, s2, s1
	s_lshl_b64 s[0:1], s[0:1], 3
	s_add_u32 s2, s20, s0
	s_addc_u32 s3, s21, s1
	s_lshl_b64 s[0:1], s[22:23], 3
	s_add_u32 s0, s2, s0
	s_addc_u32 s1, s3, s1
.LBB145_2:
	s_mul_i32 s2, s18, s7
	s_mul_hi_u32 s3, s18, s6
	s_add_i32 s2, s3, s2
	s_mul_i32 s3, s19, s6
	s_add_i32 s3, s2, s3
	s_mul_i32 s2, s18, s6
	s_lshl_b64 s[2:3], s[2:3], 4
	s_add_u32 s4, s14, s2
	s_addc_u32 s5, s15, s3
	s_lshl_b64 s[2:3], s[16:17], 4
	s_add_u32 s2, s4, s2
	s_addc_u32 s3, s5, s3
	s_mul_i32 s4, s10, s7
	s_mul_hi_u32 s5, s10, s6
	s_add_i32 s4, s5, s4
	s_mul_i32 s5, s11, s6
	s_add_i32 s5, s4, s5
	s_mul_i32 s4, s10, s6
	s_lshl_b64 s[4:5], s[4:5], 4
	s_add_u32 s8, s8, s4
	s_addc_u32 s9, s9, s5
	s_lshl_b64 s[4:5], s[6:7], 4
	s_add_u32 s12, s12, s4
	s_addc_u32 s13, s13, s5
	s_load_dwordx2 s[6:7], s[2:3], 0x8
	s_load_dwordx2 s[14:15], s[12:13], 0x0
	s_cmp_eq_u64 s[0:1], 0
	s_cselect_b64 s[4:5], -1, 0
	s_cmp_lg_u64 s[0:1], 0
	s_waitcnt lgkmcnt(0)
	v_mul_f64 v[4:5], s[6:7], s[6:7]
	v_max_f64 v[0:1], s[14:15], s[14:15]
	s_cselect_b64 s[10:11], -1, 0
	v_max_f64 v[0:1], v[0:1], v[4:5]
	v_cmp_nlt_f64_e32 vcc, 0, v[0:1]
	s_cbranch_vccz .LBB145_6
; %bb.3:
	v_mov_b32_e32 v0, 0
	v_mov_b32_e32 v1, 0x3ff00000
	;; [unrolled: 1-line block ×4, first 2 shown]
	global_store_dwordx4 v0, v[0:3], s[12:13]
	s_mov_b64 s[16:17], 0
	v_mov_b32_e32 v1, v0
	s_and_b64 vcc, exec, s[10:11]
	global_store_dwordx4 v0, v[0:3], s[8:9]
	s_cbranch_vccz .LBB145_7
; %bb.4:
	global_load_dwordx2 v[0:1], v0, s[2:3]
	s_mov_b64 s[24:25], -1
	s_and_b64 vcc, exec, s[16:17]
	s_cbranch_vccnz .LBB145_8
.LBB145_5:
	s_mov_b64 s[4:5], 0
	s_andn2_b64 vcc, exec, s[24:25]
	s_cbranch_vccz .LBB145_9
	s_branch .LBB145_10
.LBB145_6:
	s_mov_b64 s[16:17], -1
.LBB145_7:
                                        ; implicit-def: $vgpr0_vgpr1
	s_and_b64 vcc, exec, s[16:17]
	s_cbranch_vccz .LBB145_5
.LBB145_8:
	v_mov_b32_e32 v16, 0
	global_load_dwordx2 v[6:7], v16, s[2:3]
	s_mov_b64 s[24:25], s[10:11]
	s_waitcnt vmcnt(0)
	v_fma_f64 v[0:1], v[6:7], v[6:7], v[4:5]
	v_add_f64 v[0:1], s[14:15], v[0:1]
	s_mov_b32 s14, 0
	s_brev_b32 s15, 8
	v_cmp_gt_f64_e32 vcc, s[14:15], v[0:1]
	s_and_b64 s[14:15], vcc, exec
	s_cselect_b32 s14, 0x100, 0
	v_ldexp_f64 v[0:1], v[0:1], s14
	s_cselect_b32 s14, 0xffffff80, 0
	v_rsq_f64_e32 v[2:3], v[0:1]
	v_mul_f64 v[8:9], v[0:1], v[2:3]
	v_mul_f64 v[2:3], v[2:3], 0.5
	v_fma_f64 v[10:11], -v[2:3], v[8:9], 0.5
	v_fma_f64 v[8:9], v[8:9], v[10:11], v[8:9]
	v_fma_f64 v[2:3], v[2:3], v[10:11], v[2:3]
	v_fma_f64 v[12:13], -v[8:9], v[8:9], v[0:1]
	v_fma_f64 v[8:9], v[12:13], v[2:3], v[8:9]
	v_fma_f64 v[10:11], -v[8:9], v[8:9], v[0:1]
	v_fma_f64 v[2:3], v[10:11], v[2:3], v[8:9]
	v_mov_b32_e32 v8, 0x260
	v_cmp_class_f64_e32 vcc, v[0:1], v8
	v_ldexp_f64 v[2:3], v[2:3], s14
	v_cndmask_b32_e32 v0, v2, v0, vcc
	v_cndmask_b32_e32 v1, v3, v1, vcc
	v_cmp_le_f64_e32 vcc, 0, v[6:7]
	v_xor_b32_e32 v2, 0x80000000, v1
	v_cndmask_b32_e32 v1, v1, v2, vcc
	v_add_f64 v[2:3], v[6:7], -v[0:1]
	v_fma_f64 v[4:5], v[2:3], v[2:3], v[4:5]
	v_div_scale_f64 v[8:9], s[14:15], v[4:5], v[4:5], v[2:3]
	v_rcp_f64_e32 v[10:11], v[8:9]
	v_fma_f64 v[12:13], -v[8:9], v[10:11], 1.0
	v_fma_f64 v[10:11], v[10:11], v[12:13], v[10:11]
	v_fma_f64 v[12:13], -v[8:9], v[10:11], 1.0
	v_fma_f64 v[10:11], v[10:11], v[12:13], v[10:11]
	v_div_scale_f64 v[12:13], vcc, v[2:3], v[4:5], v[2:3]
	v_mul_f64 v[14:15], v[12:13], v[10:11]
	v_fma_f64 v[8:9], -v[8:9], v[14:15], v[12:13]
	s_nop 1
	v_div_fmas_f64 v[8:9], v[8:9], v[10:11], v[14:15]
	v_div_fixup_f64 v[2:3], v[8:9], v[4:5], v[2:3]
	v_div_scale_f64 v[8:9], s[14:15], v[4:5], v[4:5], -s[6:7]
	v_rcp_f64_e32 v[10:11], v[8:9]
	v_fma_f64 v[12:13], -v[8:9], v[10:11], 1.0
	v_fma_f64 v[10:11], v[10:11], v[12:13], v[10:11]
	v_fma_f64 v[12:13], -v[8:9], v[10:11], 1.0
	v_fma_f64 v[10:11], v[10:11], v[12:13], v[10:11]
	v_div_scale_f64 v[12:13], vcc, -s[6:7], v[4:5], -s[6:7]
	v_mul_f64 v[14:15], v[12:13], v[10:11]
	v_fma_f64 v[8:9], -v[8:9], v[14:15], v[12:13]
	s_nop 1
	v_div_fmas_f64 v[8:9], v[8:9], v[10:11], v[14:15]
	v_div_fixup_f64 v[4:5], v[8:9], v[4:5], -s[6:7]
	global_store_dwordx4 v16, v[2:5], s[12:13]
	s_nop 0
	v_add_f64 v[2:3], v[0:1], -v[6:7]
	v_div_scale_f64 v[4:5], s[12:13], v[0:1], v[0:1], v[2:3]
	v_rcp_f64_e32 v[6:7], v[4:5]
	v_fma_f64 v[8:9], -v[4:5], v[6:7], 1.0
	v_fma_f64 v[6:7], v[6:7], v[8:9], v[6:7]
	v_fma_f64 v[8:9], -v[4:5], v[6:7], 1.0
	v_fma_f64 v[6:7], v[6:7], v[8:9], v[6:7]
	v_div_scale_f64 v[8:9], vcc, v[2:3], v[0:1], v[2:3]
	v_mul_f64 v[10:11], v[8:9], v[6:7]
	v_fma_f64 v[4:5], -v[4:5], v[10:11], v[8:9]
	s_nop 1
	v_div_fmas_f64 v[4:5], v[4:5], v[6:7], v[10:11]
	v_div_fixup_f64 v[2:3], v[4:5], v[0:1], v[2:3]
	v_div_scale_f64 v[4:5], s[12:13], v[0:1], v[0:1], -s[6:7]
	v_rcp_f64_e32 v[6:7], v[4:5]
	v_fma_f64 v[8:9], -v[4:5], v[6:7], 1.0
	v_fma_f64 v[6:7], v[6:7], v[8:9], v[6:7]
	v_fma_f64 v[8:9], -v[4:5], v[6:7], 1.0
	v_fma_f64 v[6:7], v[6:7], v[8:9], v[6:7]
	v_div_scale_f64 v[8:9], vcc, -s[6:7], v[0:1], -s[6:7]
	v_mul_f64 v[10:11], v[8:9], v[6:7]
	v_fma_f64 v[4:5], -v[4:5], v[10:11], v[8:9]
	s_nop 1
	v_div_fmas_f64 v[4:5], v[4:5], v[6:7], v[10:11]
	v_div_fixup_f64 v[4:5], v[4:5], v[0:1], -s[6:7]
	global_store_dwordx4 v16, v[2:5], s[8:9]
	s_andn2_b64 vcc, exec, s[24:25]
	s_cbranch_vccnz .LBB145_10
.LBB145_9:
	v_mov_b32_e32 v2, 0
	s_waitcnt vmcnt(0)
	global_store_dwordx2 v2, v[0:1], s[0:1]
	v_mov_b32_e32 v0, 0
	v_mov_b32_e32 v1, 0x3ff00000
	s_mov_b64 s[4:5], -1
.LBB145_10:
	s_andn2_b64 vcc, exec, s[4:5]
	s_cbranch_vccz .LBB145_12
; %bb.11:
	s_endpgm
.LBB145_12:
	v_mov_b32_e32 v2, 0
	v_mov_b32_e32 v3, v2
	s_waitcnt vmcnt(0)
	global_store_dwordx4 v2, v[0:3], s[2:3]
	s_endpgm
	.section	.rodata,"a",@progbits
	.p2align	6, 0x0
	.amdhsa_kernel _ZN9rocsolver6v33100L11set_taubetaI19rocblas_complex_numIdEidPS3_EEvPT_lS6_T2_llPT1_ll
		.amdhsa_group_segment_fixed_size 0
		.amdhsa_private_segment_fixed_size 0
		.amdhsa_kernarg_size 72
		.amdhsa_user_sgpr_count 6
		.amdhsa_user_sgpr_private_segment_buffer 1
		.amdhsa_user_sgpr_dispatch_ptr 0
		.amdhsa_user_sgpr_queue_ptr 0
		.amdhsa_user_sgpr_kernarg_segment_ptr 1
		.amdhsa_user_sgpr_dispatch_id 0
		.amdhsa_user_sgpr_flat_scratch_init 0
		.amdhsa_user_sgpr_private_segment_size 0
		.amdhsa_uses_dynamic_stack 0
		.amdhsa_system_sgpr_private_segment_wavefront_offset 0
		.amdhsa_system_sgpr_workgroup_id_x 1
		.amdhsa_system_sgpr_workgroup_id_y 0
		.amdhsa_system_sgpr_workgroup_id_z 0
		.amdhsa_system_sgpr_workgroup_info 0
		.amdhsa_system_vgpr_workitem_id 0
		.amdhsa_next_free_vgpr 17
		.amdhsa_next_free_sgpr 26
		.amdhsa_reserve_vcc 1
		.amdhsa_reserve_flat_scratch 0
		.amdhsa_float_round_mode_32 0
		.amdhsa_float_round_mode_16_64 0
		.amdhsa_float_denorm_mode_32 3
		.amdhsa_float_denorm_mode_16_64 3
		.amdhsa_dx10_clamp 1
		.amdhsa_ieee_mode 1
		.amdhsa_fp16_overflow 0
		.amdhsa_exception_fp_ieee_invalid_op 0
		.amdhsa_exception_fp_denorm_src 0
		.amdhsa_exception_fp_ieee_div_zero 0
		.amdhsa_exception_fp_ieee_overflow 0
		.amdhsa_exception_fp_ieee_underflow 0
		.amdhsa_exception_fp_ieee_inexact 0
		.amdhsa_exception_int_div_zero 0
	.end_amdhsa_kernel
	.section	.text._ZN9rocsolver6v33100L11set_taubetaI19rocblas_complex_numIdEidPS3_EEvPT_lS6_T2_llPT1_ll,"axG",@progbits,_ZN9rocsolver6v33100L11set_taubetaI19rocblas_complex_numIdEidPS3_EEvPT_lS6_T2_llPT1_ll,comdat
.Lfunc_end145:
	.size	_ZN9rocsolver6v33100L11set_taubetaI19rocblas_complex_numIdEidPS3_EEvPT_lS6_T2_llPT1_ll, .Lfunc_end145-_ZN9rocsolver6v33100L11set_taubetaI19rocblas_complex_numIdEidPS3_EEvPT_lS6_T2_llPT1_ll
                                        ; -- End function
	.set _ZN9rocsolver6v33100L11set_taubetaI19rocblas_complex_numIdEidPS3_EEvPT_lS6_T2_llPT1_ll.num_vgpr, 17
	.set _ZN9rocsolver6v33100L11set_taubetaI19rocblas_complex_numIdEidPS3_EEvPT_lS6_T2_llPT1_ll.num_agpr, 0
	.set _ZN9rocsolver6v33100L11set_taubetaI19rocblas_complex_numIdEidPS3_EEvPT_lS6_T2_llPT1_ll.numbered_sgpr, 26
	.set _ZN9rocsolver6v33100L11set_taubetaI19rocblas_complex_numIdEidPS3_EEvPT_lS6_T2_llPT1_ll.num_named_barrier, 0
	.set _ZN9rocsolver6v33100L11set_taubetaI19rocblas_complex_numIdEidPS3_EEvPT_lS6_T2_llPT1_ll.private_seg_size, 0
	.set _ZN9rocsolver6v33100L11set_taubetaI19rocblas_complex_numIdEidPS3_EEvPT_lS6_T2_llPT1_ll.uses_vcc, 1
	.set _ZN9rocsolver6v33100L11set_taubetaI19rocblas_complex_numIdEidPS3_EEvPT_lS6_T2_llPT1_ll.uses_flat_scratch, 0
	.set _ZN9rocsolver6v33100L11set_taubetaI19rocblas_complex_numIdEidPS3_EEvPT_lS6_T2_llPT1_ll.has_dyn_sized_stack, 0
	.set _ZN9rocsolver6v33100L11set_taubetaI19rocblas_complex_numIdEidPS3_EEvPT_lS6_T2_llPT1_ll.has_recursion, 0
	.set _ZN9rocsolver6v33100L11set_taubetaI19rocblas_complex_numIdEidPS3_EEvPT_lS6_T2_llPT1_ll.has_indirect_call, 0
	.section	.AMDGPU.csdata,"",@progbits
; Kernel info:
; codeLenInByte = 1024
; TotalNumSgprs: 30
; NumVgprs: 17
; ScratchSize: 0
; MemoryBound: 0
; FloatMode: 240
; IeeeMode: 1
; LDSByteSize: 0 bytes/workgroup (compile time only)
; SGPRBlocks: 3
; VGPRBlocks: 4
; NumSGPRsForWavesPerEU: 30
; NumVGPRsForWavesPerEU: 17
; Occupancy: 10
; WaveLimiterHint : 0
; COMPUTE_PGM_RSRC2:SCRATCH_EN: 0
; COMPUTE_PGM_RSRC2:USER_SGPR: 6
; COMPUTE_PGM_RSRC2:TRAP_HANDLER: 0
; COMPUTE_PGM_RSRC2:TGID_X_EN: 1
; COMPUTE_PGM_RSRC2:TGID_Y_EN: 0
; COMPUTE_PGM_RSRC2:TGID_Z_EN: 0
; COMPUTE_PGM_RSRC2:TIDIG_COMP_CNT: 0
	.section	.text._ZN9rocsolver6v33100L13conj_in_placeI19rocblas_complex_numIdEiPS3_TnNSt9enable_ifIX18rocblas_is_complexIT_EEiE4typeELi0EEEvT0_S9_T1_lS9_l,"axG",@progbits,_ZN9rocsolver6v33100L13conj_in_placeI19rocblas_complex_numIdEiPS3_TnNSt9enable_ifIX18rocblas_is_complexIT_EEiE4typeELi0EEEvT0_S9_T1_lS9_l,comdat
	.globl	_ZN9rocsolver6v33100L13conj_in_placeI19rocblas_complex_numIdEiPS3_TnNSt9enable_ifIX18rocblas_is_complexIT_EEiE4typeELi0EEEvT0_S9_T1_lS9_l ; -- Begin function _ZN9rocsolver6v33100L13conj_in_placeI19rocblas_complex_numIdEiPS3_TnNSt9enable_ifIX18rocblas_is_complexIT_EEiE4typeELi0EEEvT0_S9_T1_lS9_l
	.p2align	8
	.type	_ZN9rocsolver6v33100L13conj_in_placeI19rocblas_complex_numIdEiPS3_TnNSt9enable_ifIX18rocblas_is_complexIT_EEiE4typeELi0EEEvT0_S9_T1_lS9_l,@function
_ZN9rocsolver6v33100L13conj_in_placeI19rocblas_complex_numIdEiPS3_TnNSt9enable_ifIX18rocblas_is_complexIT_EEiE4typeELi0EEEvT0_S9_T1_lS9_l: ; @_ZN9rocsolver6v33100L13conj_in_placeI19rocblas_complex_numIdEiPS3_TnNSt9enable_ifIX18rocblas_is_complexIT_EEiE4typeELi0EEEvT0_S9_T1_lS9_l
; %bb.0:
	s_load_dword s2, s[4:5], 0x34
	s_load_dwordx2 s[0:1], s[4:5], 0x0
	s_waitcnt lgkmcnt(0)
	s_lshr_b32 s3, s2, 16
	s_and_b32 s2, s2, 0xffff
	s_mul_i32 s6, s6, s2
	s_mul_i32 s7, s7, s3
	v_add_u32_e32 v0, s6, v0
	v_add_u32_e32 v1, s7, v1
	v_cmp_gt_i32_e32 vcc, s0, v0
	v_cmp_gt_i32_e64 s[0:1], s1, v1
	s_and_b64 s[0:1], vcc, s[0:1]
	s_and_saveexec_b64 s[2:3], s[0:1]
	s_cbranch_execz .LBB146_2
; %bb.1:
	s_load_dwordx2 s[6:7], s[4:5], 0x20
	s_load_dwordx4 s[0:3], s[4:5], 0x8
	s_load_dword s9, s[4:5], 0x18
	s_ashr_i32 s4, s8, 31
	s_waitcnt lgkmcnt(0)
	s_mul_hi_u32 s5, s6, s8
	s_mul_i32 s4, s6, s4
	s_add_i32 s4, s5, s4
	s_mul_i32 s5, s7, s8
	s_add_i32 s5, s4, s5
	s_mul_i32 s4, s6, s8
	s_lshl_b64 s[4:5], s[4:5], 4
	s_add_u32 s4, s0, s4
	s_addc_u32 s5, s1, s5
	s_lshl_b64 s[0:1], s[2:3], 4
	v_mad_i64_i32 v[5:6], s[2:3], v1, s9, 0
	s_add_u32 s0, s4, s0
	s_addc_u32 s1, s5, s1
	v_lshlrev_b64 v[2:3], 4, v[5:6]
	v_ashrrev_i32_e32 v1, 31, v0
	v_mov_b32_e32 v4, s1
	v_add_co_u32_e32 v6, vcc, s0, v2
	v_lshlrev_b64 v[1:2], 4, v[0:1]
	v_addc_co_u32_e32 v3, vcc, v4, v3, vcc
	v_add_co_u32_e32 v1, vcc, v6, v1
	v_addc_co_u32_e32 v2, vcc, v3, v2, vcc
	global_load_dwordx4 v[1:4], v[1:2], off
	v_add_u32_e32 v5, v5, v0
	v_ashrrev_i32_e32 v6, 31, v5
	v_lshlrev_b64 v[5:6], 4, v[5:6]
	v_mov_b32_e32 v0, s1
	v_add_co_u32_e32 v5, vcc, s0, v5
	v_addc_co_u32_e32 v6, vcc, v0, v6, vcc
	s_waitcnt vmcnt(0)
	v_xor_b32_e32 v4, 0x80000000, v4
	global_store_dwordx4 v[5:6], v[1:4], off
.LBB146_2:
	s_endpgm
	.section	.rodata,"a",@progbits
	.p2align	6, 0x0
	.amdhsa_kernel _ZN9rocsolver6v33100L13conj_in_placeI19rocblas_complex_numIdEiPS3_TnNSt9enable_ifIX18rocblas_is_complexIT_EEiE4typeELi0EEEvT0_S9_T1_lS9_l
		.amdhsa_group_segment_fixed_size 0
		.amdhsa_private_segment_fixed_size 0
		.amdhsa_kernarg_size 296
		.amdhsa_user_sgpr_count 6
		.amdhsa_user_sgpr_private_segment_buffer 1
		.amdhsa_user_sgpr_dispatch_ptr 0
		.amdhsa_user_sgpr_queue_ptr 0
		.amdhsa_user_sgpr_kernarg_segment_ptr 1
		.amdhsa_user_sgpr_dispatch_id 0
		.amdhsa_user_sgpr_flat_scratch_init 0
		.amdhsa_user_sgpr_private_segment_size 0
		.amdhsa_uses_dynamic_stack 0
		.amdhsa_system_sgpr_private_segment_wavefront_offset 0
		.amdhsa_system_sgpr_workgroup_id_x 1
		.amdhsa_system_sgpr_workgroup_id_y 1
		.amdhsa_system_sgpr_workgroup_id_z 1
		.amdhsa_system_sgpr_workgroup_info 0
		.amdhsa_system_vgpr_workitem_id 1
		.amdhsa_next_free_vgpr 7
		.amdhsa_next_free_sgpr 10
		.amdhsa_reserve_vcc 1
		.amdhsa_reserve_flat_scratch 0
		.amdhsa_float_round_mode_32 0
		.amdhsa_float_round_mode_16_64 0
		.amdhsa_float_denorm_mode_32 3
		.amdhsa_float_denorm_mode_16_64 3
		.amdhsa_dx10_clamp 1
		.amdhsa_ieee_mode 1
		.amdhsa_fp16_overflow 0
		.amdhsa_exception_fp_ieee_invalid_op 0
		.amdhsa_exception_fp_denorm_src 0
		.amdhsa_exception_fp_ieee_div_zero 0
		.amdhsa_exception_fp_ieee_overflow 0
		.amdhsa_exception_fp_ieee_underflow 0
		.amdhsa_exception_fp_ieee_inexact 0
		.amdhsa_exception_int_div_zero 0
	.end_amdhsa_kernel
	.section	.text._ZN9rocsolver6v33100L13conj_in_placeI19rocblas_complex_numIdEiPS3_TnNSt9enable_ifIX18rocblas_is_complexIT_EEiE4typeELi0EEEvT0_S9_T1_lS9_l,"axG",@progbits,_ZN9rocsolver6v33100L13conj_in_placeI19rocblas_complex_numIdEiPS3_TnNSt9enable_ifIX18rocblas_is_complexIT_EEiE4typeELi0EEEvT0_S9_T1_lS9_l,comdat
.Lfunc_end146:
	.size	_ZN9rocsolver6v33100L13conj_in_placeI19rocblas_complex_numIdEiPS3_TnNSt9enable_ifIX18rocblas_is_complexIT_EEiE4typeELi0EEEvT0_S9_T1_lS9_l, .Lfunc_end146-_ZN9rocsolver6v33100L13conj_in_placeI19rocblas_complex_numIdEiPS3_TnNSt9enable_ifIX18rocblas_is_complexIT_EEiE4typeELi0EEEvT0_S9_T1_lS9_l
                                        ; -- End function
	.set _ZN9rocsolver6v33100L13conj_in_placeI19rocblas_complex_numIdEiPS3_TnNSt9enable_ifIX18rocblas_is_complexIT_EEiE4typeELi0EEEvT0_S9_T1_lS9_l.num_vgpr, 7
	.set _ZN9rocsolver6v33100L13conj_in_placeI19rocblas_complex_numIdEiPS3_TnNSt9enable_ifIX18rocblas_is_complexIT_EEiE4typeELi0EEEvT0_S9_T1_lS9_l.num_agpr, 0
	.set _ZN9rocsolver6v33100L13conj_in_placeI19rocblas_complex_numIdEiPS3_TnNSt9enable_ifIX18rocblas_is_complexIT_EEiE4typeELi0EEEvT0_S9_T1_lS9_l.numbered_sgpr, 10
	.set _ZN9rocsolver6v33100L13conj_in_placeI19rocblas_complex_numIdEiPS3_TnNSt9enable_ifIX18rocblas_is_complexIT_EEiE4typeELi0EEEvT0_S9_T1_lS9_l.num_named_barrier, 0
	.set _ZN9rocsolver6v33100L13conj_in_placeI19rocblas_complex_numIdEiPS3_TnNSt9enable_ifIX18rocblas_is_complexIT_EEiE4typeELi0EEEvT0_S9_T1_lS9_l.private_seg_size, 0
	.set _ZN9rocsolver6v33100L13conj_in_placeI19rocblas_complex_numIdEiPS3_TnNSt9enable_ifIX18rocblas_is_complexIT_EEiE4typeELi0EEEvT0_S9_T1_lS9_l.uses_vcc, 1
	.set _ZN9rocsolver6v33100L13conj_in_placeI19rocblas_complex_numIdEiPS3_TnNSt9enable_ifIX18rocblas_is_complexIT_EEiE4typeELi0EEEvT0_S9_T1_lS9_l.uses_flat_scratch, 0
	.set _ZN9rocsolver6v33100L13conj_in_placeI19rocblas_complex_numIdEiPS3_TnNSt9enable_ifIX18rocblas_is_complexIT_EEiE4typeELi0EEEvT0_S9_T1_lS9_l.has_dyn_sized_stack, 0
	.set _ZN9rocsolver6v33100L13conj_in_placeI19rocblas_complex_numIdEiPS3_TnNSt9enable_ifIX18rocblas_is_complexIT_EEiE4typeELi0EEEvT0_S9_T1_lS9_l.has_recursion, 0
	.set _ZN9rocsolver6v33100L13conj_in_placeI19rocblas_complex_numIdEiPS3_TnNSt9enable_ifIX18rocblas_is_complexIT_EEiE4typeELi0EEEvT0_S9_T1_lS9_l.has_indirect_call, 0
	.section	.AMDGPU.csdata,"",@progbits
; Kernel info:
; codeLenInByte = 260
; TotalNumSgprs: 14
; NumVgprs: 7
; ScratchSize: 0
; MemoryBound: 0
; FloatMode: 240
; IeeeMode: 1
; LDSByteSize: 0 bytes/workgroup (compile time only)
; SGPRBlocks: 1
; VGPRBlocks: 1
; NumSGPRsForWavesPerEU: 14
; NumVGPRsForWavesPerEU: 7
; Occupancy: 10
; WaveLimiterHint : 0
; COMPUTE_PGM_RSRC2:SCRATCH_EN: 0
; COMPUTE_PGM_RSRC2:USER_SGPR: 6
; COMPUTE_PGM_RSRC2:TRAP_HANDLER: 0
; COMPUTE_PGM_RSRC2:TGID_X_EN: 1
; COMPUTE_PGM_RSRC2:TGID_Y_EN: 1
; COMPUTE_PGM_RSRC2:TGID_Z_EN: 1
; COMPUTE_PGM_RSRC2:TIDIG_COMP_CNT: 1
	.section	.text._ZN9rocsolver6v33100L16larf_left_kernelILi1024E19rocblas_complex_numIdEiPS3_EEvT1_S5_T2_lS5_lPKT0_lS6_lS5_l,"axG",@progbits,_ZN9rocsolver6v33100L16larf_left_kernelILi1024E19rocblas_complex_numIdEiPS3_EEvT1_S5_T2_lS5_lPKT0_lS6_lS5_l,comdat
	.globl	_ZN9rocsolver6v33100L16larf_left_kernelILi1024E19rocblas_complex_numIdEiPS3_EEvT1_S5_T2_lS5_lPKT0_lS6_lS5_l ; -- Begin function _ZN9rocsolver6v33100L16larf_left_kernelILi1024E19rocblas_complex_numIdEiPS3_EEvT1_S5_T2_lS5_lPKT0_lS6_lS5_l
	.p2align	8
	.type	_ZN9rocsolver6v33100L16larf_left_kernelILi1024E19rocblas_complex_numIdEiPS3_EEvT1_S5_T2_lS5_lPKT0_lS6_lS5_l,@function
_ZN9rocsolver6v33100L16larf_left_kernelILi1024E19rocblas_complex_numIdEiPS3_EEvT1_S5_T2_lS5_lPKT0_lS6_lS5_l: ; @_ZN9rocsolver6v33100L16larf_left_kernelILi1024E19rocblas_complex_numIdEiPS3_EEvT1_S5_T2_lS5_lPKT0_lS6_lS5_l
; %bb.0:
	s_load_dword s9, s[4:5], 0x0
	s_load_dwordx2 s[10:11], s[4:5], 0x40
	s_load_dword s20, s[4:5], 0x48
	s_load_dwordx2 s[2:3], s[4:5], 0x50
	s_load_dwordx8 s[12:19], s[4:5], 0x20
	s_ashr_i32 s27, s8, 31
	v_mov_b32_e32 v1, 0
	v_mov_b32_e32 v3, 0
	s_waitcnt lgkmcnt(0)
	v_cmp_gt_i32_e64 s[0:1], s9, v0
	v_mov_b32_e32 v2, 0
	s_mul_i32 s25, s2, s27
	s_mul_hi_u32 s26, s2, s8
	s_mul_i32 s24, s3, s8
	s_mul_i32 s6, s2, s8
	s_mul_hi_i32 s21, s7, s20
	v_mov_b32_e32 v4, 0
	s_mul_i32 s20, s7, s20
	s_and_saveexec_b64 s[22:23], s[0:1]
	s_cbranch_execz .LBB147_6
; %bb.1:
	s_load_dword s2, s[4:5], 0x18
	s_load_dwordx4 s[28:31], s[4:5], 0x8
	s_sub_i32 s7, 1, s9
	s_mul_hi_u32 s33, s12, s8
	s_mul_i32 s13, s13, s8
	s_waitcnt lgkmcnt(0)
	s_ashr_i32 s3, s2, 31
	v_cmp_lt_i64_e64 s[4:5], s[2:3], 1
	s_mul_i32 s7, s2, s7
	s_and_b64 s[4:5], s[4:5], exec
	s_cselect_b32 s4, s7, 0
	s_mul_i32 s7, s12, s27
	s_add_i32 s7, s33, s7
	s_ashr_i32 s5, s4, 31
	s_add_i32 s13, s7, s13
	s_mul_i32 s12, s12, s8
	v_lshl_add_u32 v1, v0, 4, 0
	s_lshl_b64 s[12:13], s[12:13], 4
	s_lshl_b64 s[30:31], s[30:31], 4
	;; [unrolled: 1-line block ×3, first 2 shown]
	v_add_u32_e32 v7, 0x100, v1
	v_mad_i64_i32 v[1:2], s[34:35], s2, v0, 0
	s_add_u32 s4, s28, s4
	s_addc_u32 s5, s29, s5
	s_add_u32 s4, s4, s30
	s_addc_u32 s5, s5, s31
	v_lshlrev_b64 v[1:2], 4, v[1:2]
	s_add_u32 s4, s4, s12
	s_addc_u32 s5, s5, s13
	v_mov_b32_e32 v3, s5
	v_add_co_u32_e32 v1, vcc, s4, v1
	s_lshl_b64 s[4:5], s[2:3], 14
	v_addc_co_u32_e32 v2, vcc, v3, v2, vcc
	s_mov_b64 s[2:3], 0
	v_mov_b32_e32 v3, s5
	v_mov_b32_e32 v4, v7
	;; [unrolled: 1-line block ×3, first 2 shown]
.LBB147_2:                              ; =>This Inner Loop Header: Depth=1
	global_load_dwordx4 v[8:11], v[1:2], off
	v_add_co_u32_e32 v1, vcc, s4, v1
	v_add_u32_e32 v5, 0x400, v5
	v_addc_co_u32_e32 v2, vcc, v2, v3, vcc
	v_cmp_le_i32_e32 vcc, s9, v5
	s_or_b64 s[2:3], vcc, s[2:3]
	s_waitcnt vmcnt(0)
	ds_write2_b64 v4, v[8:9], v[10:11] offset1:1
	v_add_u32_e32 v4, 0x4000, v4
	s_andn2_b64 exec, exec, s[2:3]
	s_cbranch_execnz .LBB147_2
; %bb.3:
	s_or_b64 exec, exec, s[2:3]
	s_add_i32 s2, s26, s25
	s_add_i32 s7, s2, s24
	s_lshl_b64 s[2:3], s[6:7], 4
	s_lshl_b64 s[4:5], s[20:21], 4
	s_add_u32 s4, s2, s4
	s_addc_u32 s5, s3, s5
	s_lshl_b64 s[2:3], s[10:11], 4
	s_add_u32 s2, s4, s2
	s_addc_u32 s3, s5, s3
	s_add_u32 s2, s18, s2
	v_lshlrev_b32_e32 v1, 4, v0
	s_addc_u32 s3, s19, s3
	v_mov_b32_e32 v2, s3
	v_add_co_u32_e32 v1, vcc, s2, v1
	v_addc_co_u32_e32 v2, vcc, 0, v2, vcc
	v_add_co_u32_e32 v5, vcc, 8, v1
	v_addc_co_u32_e32 v6, vcc, 0, v2, vcc
	v_mov_b32_e32 v1, 0
	v_mov_b32_e32 v3, 0
	v_mov_b32_e32 v2, 0
	s_mov_b64 s[4:5], 0
	v_mov_b32_e32 v4, 0
	v_mov_b32_e32 v8, v0
.LBB147_4:                              ; =>This Inner Loop Header: Depth=1
	global_load_dwordx4 v[9:12], v[5:6], off offset:-8
	ds_read2_b64 v[13:16], v7 offset1:1
	v_add_u32_e32 v8, 0x400, v8
	v_add_co_u32_e32 v5, vcc, 0x4000, v5
	v_cmp_le_i32_e64 s[2:3], s9, v8
	v_add_u32_e32 v7, 0x4000, v7
	s_or_b64 s[4:5], s[2:3], s[4:5]
	v_addc_co_u32_e32 v6, vcc, 0, v6, vcc
	s_waitcnt vmcnt(0) lgkmcnt(0)
	v_mul_f64 v[17:18], v[11:12], v[15:16]
	v_mul_f64 v[11:12], v[11:12], v[13:14]
	v_fma_f64 v[13:14], v[9:10], v[13:14], v[17:18]
	v_fma_f64 v[9:10], v[9:10], v[15:16], -v[11:12]
	v_add_f64 v[3:4], v[3:4], v[13:14]
	v_add_f64 v[1:2], v[1:2], v[9:10]
	s_andn2_b64 exec, exec, s[4:5]
	s_cbranch_execnz .LBB147_4
; %bb.5:
	s_or_b64 exec, exec, s[4:5]
.LBB147_6:
	s_or_b64 exec, exec, s[22:23]
	v_mbcnt_lo_u32_b32 v5, -1, 0
	v_mbcnt_hi_u32_b32 v9, -1, v5
	v_and_b32_e32 v10, 63, v9
	v_cmp_ne_u32_e32 vcc, 63, v10
	v_addc_co_u32_e32 v5, vcc, 0, v9, vcc
	v_lshlrev_b32_e32 v8, 2, v5
	ds_bpermute_b32 v5, v8, v3
	ds_bpermute_b32 v6, v8, v4
	;; [unrolled: 1-line block ×4, first 2 shown]
	v_cmp_gt_u32_e32 vcc, 62, v10
	s_waitcnt lgkmcnt(2)
	v_add_f64 v[3:4], v[3:4], v[5:6]
	v_cndmask_b32_e64 v5, 0, 2, vcc
	s_waitcnt lgkmcnt(0)
	v_add_f64 v[1:2], v[1:2], v[7:8]
	v_add_lshl_u32 v8, v5, v9, 2
	v_cmp_gt_u32_e32 vcc, 60, v10
	ds_bpermute_b32 v5, v8, v3
	ds_bpermute_b32 v6, v8, v4
	ds_bpermute_b32 v7, v8, v1
	ds_bpermute_b32 v8, v8, v2
	s_waitcnt lgkmcnt(2)
	v_add_f64 v[3:4], v[3:4], v[5:6]
	v_cndmask_b32_e64 v5, 0, 4, vcc
	s_waitcnt lgkmcnt(0)
	v_add_f64 v[1:2], v[1:2], v[7:8]
	v_add_lshl_u32 v8, v5, v9, 2
	v_cmp_gt_u32_e32 vcc, 56, v10
	ds_bpermute_b32 v5, v8, v3
	ds_bpermute_b32 v6, v8, v4
	ds_bpermute_b32 v7, v8, v1
	ds_bpermute_b32 v8, v8, v2
	;; [unrolled: 11-line block ×3, first 2 shown]
	s_waitcnt lgkmcnt(2)
	v_add_f64 v[3:4], v[3:4], v[5:6]
	v_cndmask_b32_e64 v5, 0, 16, vcc
	s_waitcnt lgkmcnt(0)
	v_add_f64 v[1:2], v[1:2], v[7:8]
	v_add_lshl_u32 v8, v5, v9, 2
	ds_bpermute_b32 v5, v8, v3
	ds_bpermute_b32 v6, v8, v4
	;; [unrolled: 1-line block ×4, first 2 shown]
	s_waitcnt lgkmcnt(2)
	v_add_f64 v[3:4], v[3:4], v[5:6]
	s_waitcnt lgkmcnt(0)
	v_add_f64 v[5:6], v[1:2], v[7:8]
	v_mov_b32_e32 v1, 0x80
	v_lshl_or_b32 v8, v9, 2, v1
	ds_bpermute_b32 v1, v8, v3
	ds_bpermute_b32 v2, v8, v4
	;; [unrolled: 1-line block ×4, first 2 shown]
	s_waitcnt lgkmcnt(2)
	v_add_f64 v[1:2], v[3:4], v[1:2]
	s_waitcnt lgkmcnt(0)
	v_add_f64 v[3:4], v[5:6], v[7:8]
	v_and_b32_e32 v5, 63, v0
	v_cmp_eq_u32_e32 vcc, 0, v5
	s_and_saveexec_b64 s[2:3], vcc
; %bb.7:
	v_lshrrev_b32_e32 v5, 2, v0
	v_add_u32_e32 v5, 0, v5
	ds_write2_b64 v5, v[1:2], v[3:4] offset1:1
; %bb.8:
	s_or_b64 exec, exec, s[2:3]
	v_cmp_eq_u32_e32 vcc, 0, v0
	s_waitcnt lgkmcnt(0)
	s_barrier
	s_and_saveexec_b64 s[2:3], vcc
	s_cbranch_execz .LBB147_10
; %bb.9:
	v_mov_b32_e32 v13, 0
	ds_read2_b64 v[5:8], v13 offset0:2 offset1:3
	ds_read2_b64 v[9:12], v13 offset0:4 offset1:5
	s_waitcnt lgkmcnt(1)
	v_add_f64 v[1:2], v[1:2], v[5:6]
	v_add_f64 v[3:4], v[3:4], v[7:8]
	s_waitcnt lgkmcnt(0)
	v_add_f64 v[9:10], v[1:2], v[9:10]
	v_add_f64 v[11:12], v[3:4], v[11:12]
	ds_read2_b64 v[1:4], v13 offset0:6 offset1:7
	ds_read2_b64 v[5:8], v13 offset0:8 offset1:9
	s_waitcnt lgkmcnt(1)
	v_add_f64 v[1:2], v[9:10], v[1:2]
	v_add_f64 v[3:4], v[11:12], v[3:4]
	s_waitcnt lgkmcnt(0)
	v_add_f64 v[9:10], v[1:2], v[5:6]
	v_add_f64 v[11:12], v[3:4], v[7:8]
	;; [unrolled: 8-line block ×7, first 2 shown]
	ds_read2_b64 v[1:4], v13 offset0:30 offset1:31
	s_waitcnt lgkmcnt(0)
	v_add_f64 v[1:2], v[5:6], v[1:2]
	v_add_f64 v[3:4], v[7:8], v[3:4]
	ds_write2_b64 v13, v[1:2], v[3:4] offset1:1
.LBB147_10:
	s_or_b64 exec, exec, s[2:3]
	s_waitcnt lgkmcnt(0)
	s_barrier
	s_and_saveexec_b64 s[2:3], s[0:1]
	s_cbranch_execz .LBB147_13
; %bb.11:
	s_mul_i32 s0, s16, s27
	s_mul_hi_u32 s1, s16, s8
	s_add_i32 s0, s1, s0
	s_mul_i32 s1, s17, s8
	s_add_i32 s1, s0, s1
	s_mul_i32 s0, s16, s8
	s_lshl_b64 s[0:1], s[0:1], 4
	s_add_u32 s4, s14, s0
	s_addc_u32 s5, s15, s1
	v_mov_b32_e32 v1, 0
	s_load_dwordx4 s[0:3], s[4:5], 0x0
	ds_read2_b64 v[1:4], v1 offset1:1
	v_lshlrev_b32_e32 v10, 4, v0
	v_add_u32_e32 v7, 0, v10
	v_add_u32_e32 v7, 0x100, v7
	s_waitcnt lgkmcnt(0)
	v_mul_f64 v[5:6], s[2:3], v[3:4]
	v_mul_f64 v[8:9], s[2:3], v[1:2]
	s_add_i32 s2, s26, s25
	s_add_i32 s7, s2, s24
	s_lshl_b64 s[2:3], s[20:21], 4
	v_fma_f64 v[1:2], v[1:2], -s[0:1], -v[5:6]
	v_fma_f64 v[3:4], s[0:1], v[3:4], -v[8:9]
	s_lshl_b64 s[0:1], s[6:7], 4
	s_add_u32 s2, s0, s2
	s_addc_u32 s3, s1, s3
	s_lshl_b64 s[0:1], s[10:11], 4
	s_add_u32 s0, s2, s0
	s_addc_u32 s1, s3, s1
	s_add_u32 s0, s18, s0
	s_addc_u32 s1, s19, s1
	v_mov_b32_e32 v5, s1
	v_add_co_u32_e32 v6, vcc, s0, v10
	v_addc_co_u32_e32 v8, vcc, 0, v5, vcc
	v_add_co_u32_e32 v5, vcc, 8, v6
	v_addc_co_u32_e32 v6, vcc, 0, v8, vcc
	s_mov_b64 s[0:1], 0
.LBB147_12:                             ; =>This Inner Loop Header: Depth=1
	global_load_dwordx4 v[8:11], v[5:6], off offset:-8
	ds_read2_b64 v[12:15], v7 offset1:1
	v_add_u32_e32 v0, 0x400, v0
	v_cmp_le_i32_e32 vcc, s9, v0
	s_or_b64 s[0:1], vcc, s[0:1]
	v_add_u32_e32 v7, 0x4000, v7
	s_waitcnt lgkmcnt(0)
	v_mul_f64 v[16:17], v[3:4], v[14:15]
	v_mul_f64 v[14:15], v[1:2], v[14:15]
	v_fma_f64 v[16:17], v[1:2], v[12:13], -v[16:17]
	v_fma_f64 v[12:13], v[3:4], v[12:13], v[14:15]
	s_waitcnt vmcnt(0)
	v_add_f64 v[8:9], v[8:9], v[16:17]
	v_add_f64 v[10:11], v[12:13], v[10:11]
	global_store_dwordx4 v[5:6], v[8:11], off offset:-8
	v_add_co_u32_e32 v5, vcc, 0x4000, v5
	v_addc_co_u32_e32 v6, vcc, 0, v6, vcc
	s_andn2_b64 exec, exec, s[0:1]
	s_cbranch_execnz .LBB147_12
.LBB147_13:
	s_endpgm
	.section	.rodata,"a",@progbits
	.p2align	6, 0x0
	.amdhsa_kernel _ZN9rocsolver6v33100L16larf_left_kernelILi1024E19rocblas_complex_numIdEiPS3_EEvT1_S5_T2_lS5_lPKT0_lS6_lS5_l
		.amdhsa_group_segment_fixed_size 0
		.amdhsa_private_segment_fixed_size 0
		.amdhsa_kernarg_size 88
		.amdhsa_user_sgpr_count 6
		.amdhsa_user_sgpr_private_segment_buffer 1
		.amdhsa_user_sgpr_dispatch_ptr 0
		.amdhsa_user_sgpr_queue_ptr 0
		.amdhsa_user_sgpr_kernarg_segment_ptr 1
		.amdhsa_user_sgpr_dispatch_id 0
		.amdhsa_user_sgpr_flat_scratch_init 0
		.amdhsa_user_sgpr_private_segment_size 0
		.amdhsa_uses_dynamic_stack 0
		.amdhsa_system_sgpr_private_segment_wavefront_offset 0
		.amdhsa_system_sgpr_workgroup_id_x 1
		.amdhsa_system_sgpr_workgroup_id_y 1
		.amdhsa_system_sgpr_workgroup_id_z 1
		.amdhsa_system_sgpr_workgroup_info 0
		.amdhsa_system_vgpr_workitem_id 0
		.amdhsa_next_free_vgpr 19
		.amdhsa_next_free_sgpr 36
		.amdhsa_reserve_vcc 1
		.amdhsa_reserve_flat_scratch 0
		.amdhsa_float_round_mode_32 0
		.amdhsa_float_round_mode_16_64 0
		.amdhsa_float_denorm_mode_32 3
		.amdhsa_float_denorm_mode_16_64 3
		.amdhsa_dx10_clamp 1
		.amdhsa_ieee_mode 1
		.amdhsa_fp16_overflow 0
		.amdhsa_exception_fp_ieee_invalid_op 0
		.amdhsa_exception_fp_denorm_src 0
		.amdhsa_exception_fp_ieee_div_zero 0
		.amdhsa_exception_fp_ieee_overflow 0
		.amdhsa_exception_fp_ieee_underflow 0
		.amdhsa_exception_fp_ieee_inexact 0
		.amdhsa_exception_int_div_zero 0
	.end_amdhsa_kernel
	.section	.text._ZN9rocsolver6v33100L16larf_left_kernelILi1024E19rocblas_complex_numIdEiPS3_EEvT1_S5_T2_lS5_lPKT0_lS6_lS5_l,"axG",@progbits,_ZN9rocsolver6v33100L16larf_left_kernelILi1024E19rocblas_complex_numIdEiPS3_EEvT1_S5_T2_lS5_lPKT0_lS6_lS5_l,comdat
.Lfunc_end147:
	.size	_ZN9rocsolver6v33100L16larf_left_kernelILi1024E19rocblas_complex_numIdEiPS3_EEvT1_S5_T2_lS5_lPKT0_lS6_lS5_l, .Lfunc_end147-_ZN9rocsolver6v33100L16larf_left_kernelILi1024E19rocblas_complex_numIdEiPS3_EEvT1_S5_T2_lS5_lPKT0_lS6_lS5_l
                                        ; -- End function
	.set _ZN9rocsolver6v33100L16larf_left_kernelILi1024E19rocblas_complex_numIdEiPS3_EEvT1_S5_T2_lS5_lPKT0_lS6_lS5_l.num_vgpr, 19
	.set _ZN9rocsolver6v33100L16larf_left_kernelILi1024E19rocblas_complex_numIdEiPS3_EEvT1_S5_T2_lS5_lPKT0_lS6_lS5_l.num_agpr, 0
	.set _ZN9rocsolver6v33100L16larf_left_kernelILi1024E19rocblas_complex_numIdEiPS3_EEvT1_S5_T2_lS5_lPKT0_lS6_lS5_l.numbered_sgpr, 36
	.set _ZN9rocsolver6v33100L16larf_left_kernelILi1024E19rocblas_complex_numIdEiPS3_EEvT1_S5_T2_lS5_lPKT0_lS6_lS5_l.num_named_barrier, 0
	.set _ZN9rocsolver6v33100L16larf_left_kernelILi1024E19rocblas_complex_numIdEiPS3_EEvT1_S5_T2_lS5_lPKT0_lS6_lS5_l.private_seg_size, 0
	.set _ZN9rocsolver6v33100L16larf_left_kernelILi1024E19rocblas_complex_numIdEiPS3_EEvT1_S5_T2_lS5_lPKT0_lS6_lS5_l.uses_vcc, 1
	.set _ZN9rocsolver6v33100L16larf_left_kernelILi1024E19rocblas_complex_numIdEiPS3_EEvT1_S5_T2_lS5_lPKT0_lS6_lS5_l.uses_flat_scratch, 0
	.set _ZN9rocsolver6v33100L16larf_left_kernelILi1024E19rocblas_complex_numIdEiPS3_EEvT1_S5_T2_lS5_lPKT0_lS6_lS5_l.has_dyn_sized_stack, 0
	.set _ZN9rocsolver6v33100L16larf_left_kernelILi1024E19rocblas_complex_numIdEiPS3_EEvT1_S5_T2_lS5_lPKT0_lS6_lS5_l.has_recursion, 0
	.set _ZN9rocsolver6v33100L16larf_left_kernelILi1024E19rocblas_complex_numIdEiPS3_EEvT1_S5_T2_lS5_lPKT0_lS6_lS5_l.has_indirect_call, 0
	.section	.AMDGPU.csdata,"",@progbits
; Kernel info:
; codeLenInByte = 1832
; TotalNumSgprs: 40
; NumVgprs: 19
; ScratchSize: 0
; MemoryBound: 0
; FloatMode: 240
; IeeeMode: 1
; LDSByteSize: 0 bytes/workgroup (compile time only)
; SGPRBlocks: 4
; VGPRBlocks: 4
; NumSGPRsForWavesPerEU: 40
; NumVGPRsForWavesPerEU: 19
; Occupancy: 10
; WaveLimiterHint : 0
; COMPUTE_PGM_RSRC2:SCRATCH_EN: 0
; COMPUTE_PGM_RSRC2:USER_SGPR: 6
; COMPUTE_PGM_RSRC2:TRAP_HANDLER: 0
; COMPUTE_PGM_RSRC2:TGID_X_EN: 1
; COMPUTE_PGM_RSRC2:TGID_Y_EN: 1
; COMPUTE_PGM_RSRC2:TGID_Z_EN: 1
; COMPUTE_PGM_RSRC2:TIDIG_COMP_CNT: 0
	.section	.text._ZN9rocsolver6v33100L17larf_right_kernelILi1024E19rocblas_complex_numIdEiPS3_EEvT1_S5_T2_lS5_lPKT0_lS6_lS5_l,"axG",@progbits,_ZN9rocsolver6v33100L17larf_right_kernelILi1024E19rocblas_complex_numIdEiPS3_EEvT1_S5_T2_lS5_lPKT0_lS6_lS5_l,comdat
	.globl	_ZN9rocsolver6v33100L17larf_right_kernelILi1024E19rocblas_complex_numIdEiPS3_EEvT1_S5_T2_lS5_lPKT0_lS6_lS5_l ; -- Begin function _ZN9rocsolver6v33100L17larf_right_kernelILi1024E19rocblas_complex_numIdEiPS3_EEvT1_S5_T2_lS5_lPKT0_lS6_lS5_l
	.p2align	8
	.type	_ZN9rocsolver6v33100L17larf_right_kernelILi1024E19rocblas_complex_numIdEiPS3_EEvT1_S5_T2_lS5_lPKT0_lS6_lS5_l,@function
_ZN9rocsolver6v33100L17larf_right_kernelILi1024E19rocblas_complex_numIdEiPS3_EEvT1_S5_T2_lS5_lPKT0_lS6_lS5_l: ; @_ZN9rocsolver6v33100L17larf_right_kernelILi1024E19rocblas_complex_numIdEiPS3_EEvT1_S5_T2_lS5_lPKT0_lS6_lS5_l
; %bb.0:
	s_load_dword s9, s[4:5], 0x4
	s_load_dwordx8 s[12:19], s[4:5], 0x20
	s_load_dwordx2 s[20:21], s[4:5], 0x40
	s_load_dword s6, s[4:5], 0x48
	s_load_dwordx2 s[0:1], s[4:5], 0x50
	s_ashr_i32 s29, s8, 31
	v_mov_b32_e32 v1, 0
	v_mov_b32_e32 v3, 0
	s_mov_b32 s10, s7
	s_ashr_i32 s11, s7, 31
	s_waitcnt lgkmcnt(0)
	v_cmp_gt_i32_e32 vcc, s9, v0
	v_mov_b32_e32 v2, 0
	v_lshl_add_u32 v7, v0, 4, 0
	s_mul_i32 s26, s0, s29
	s_mul_hi_u32 s27, s0, s8
	s_mul_i32 s28, s1, s8
	v_mov_b32_e32 v4, 0
	s_mul_i32 s22, s0, s8
	s_and_saveexec_b64 s[24:25], vcc
	s_cbranch_execz .LBB148_6
; %bb.1:
	s_load_dword s30, s[4:5], 0x18
	s_load_dwordx4 s[0:3], s[4:5], 0x8
	s_sub_i32 s7, 1, s9
	s_mul_i32 s23, s12, s29
	s_mul_i32 s13, s13, s8
	s_waitcnt lgkmcnt(0)
	s_ashr_i32 s31, s30, 31
	v_cmp_lt_i64_e64 s[4:5], s[30:31], 1
	s_mul_i32 s7, s30, s7
	s_and_b64 s[4:5], s[4:5], exec
	s_cselect_b32 s4, s7, 0
	s_mul_hi_u32 s7, s12, s8
	s_add_i32 s7, s7, s23
	s_ashr_i32 s5, s4, 31
	s_add_i32 s13, s7, s13
	s_mul_i32 s12, s12, s8
	s_lshl_b64 s[12:13], s[12:13], 4
	s_lshl_b64 s[2:3], s[2:3], 4
	;; [unrolled: 1-line block ×3, first 2 shown]
	v_mad_i64_i32 v[1:2], s[34:35], s30, v0, 0
	s_add_u32 s0, s0, s4
	s_addc_u32 s1, s1, s5
	s_add_u32 s0, s0, s2
	s_addc_u32 s1, s1, s3
	v_lshlrev_b64 v[1:2], 4, v[1:2]
	s_add_u32 s0, s0, s12
	s_addc_u32 s1, s1, s13
	v_add_u32_e32 v8, 0x100, v7
	v_mov_b32_e32 v3, s1
	v_add_co_u32_e64 v1, s[0:1], s0, v1
	s_lshl_b64 s[4:5], s[30:31], 14
	v_addc_co_u32_e64 v2, s[0:1], v3, v2, s[0:1]
	s_mov_b64 s[2:3], 0
	v_mov_b32_e32 v3, s5
	v_mov_b32_e32 v4, v8
	;; [unrolled: 1-line block ×3, first 2 shown]
.LBB148_2:                              ; =>This Inner Loop Header: Depth=1
	global_load_dwordx4 v[9:12], v[1:2], off
	v_add_co_u32_e64 v1, s[0:1], s4, v1
	v_add_u32_e32 v5, 0x400, v5
	v_addc_co_u32_e64 v2, s[0:1], v2, v3, s[0:1]
	v_cmp_le_i32_e64 s[0:1], s9, v5
	s_or_b64 s[2:3], s[0:1], s[2:3]
	s_waitcnt vmcnt(0)
	ds_write2_b64 v4, v[9:10], v[11:12] offset1:1
	v_add_u32_e32 v4, 0x4000, v4
	s_andn2_b64 exec, exec, s[2:3]
	s_cbranch_execnz .LBB148_2
; %bb.3:
	s_or_b64 exec, exec, s[2:3]
	v_mad_i64_i32 v[1:2], s[0:1], s6, v0, 0
	s_add_i32 s0, s27, s26
	s_add_i32 s23, s0, s28
	s_ashr_i32 s7, s6, 31
	s_lshl_b64 s[0:1], s[22:23], 4
	s_lshl_b64 s[2:3], s[20:21], 4
	;; [unrolled: 1-line block ×3, first 2 shown]
	s_add_u32 s4, s18, s4
	s_addc_u32 s5, s19, s5
	s_add_u32 s2, s4, s2
	s_addc_u32 s3, s5, s3
	v_lshlrev_b64 v[1:2], 4, v[1:2]
	s_add_u32 s0, s2, s0
	s_addc_u32 s1, s3, s1
	v_mov_b32_e32 v3, s1
	v_add_co_u32_e64 v1, s[0:1], s0, v1
	v_addc_co_u32_e64 v2, s[0:1], v3, v2, s[0:1]
	v_add_co_u32_e64 v5, s[0:1], 8, v1
	v_addc_co_u32_e64 v6, s[0:1], 0, v2, s[0:1]
	s_lshl_b64 s[4:5], s[6:7], 14
	v_mov_b32_e32 v1, 0
	v_mov_b32_e32 v3, 0
	;; [unrolled: 1-line block ×3, first 2 shown]
	s_mov_b64 s[12:13], 0
	v_mov_b32_e32 v9, s5
	v_mov_b32_e32 v4, 0
	;; [unrolled: 1-line block ×3, first 2 shown]
.LBB148_4:                              ; =>This Inner Loop Header: Depth=1
	global_load_dwordx4 v[11:14], v[5:6], off offset:-8
	ds_read2_b64 v[15:18], v8 offset1:1
	v_add_u32_e32 v10, 0x400, v10
	v_add_co_u32_e64 v5, s[0:1], s4, v5
	v_cmp_le_i32_e64 s[2:3], s9, v10
	v_add_u32_e32 v8, 0x4000, v8
	s_or_b64 s[12:13], s[2:3], s[12:13]
	v_addc_co_u32_e64 v6, s[0:1], v6, v9, s[0:1]
	s_waitcnt vmcnt(0) lgkmcnt(0)
	v_mul_f64 v[19:20], v[17:18], v[13:14]
	v_mul_f64 v[13:14], v[15:16], v[13:14]
	v_fma_f64 v[19:20], v[15:16], v[11:12], -v[19:20]
	v_fma_f64 v[11:12], v[17:18], v[11:12], v[13:14]
	v_add_f64 v[3:4], v[3:4], v[19:20]
	v_add_f64 v[1:2], v[1:2], v[11:12]
	s_andn2_b64 exec, exec, s[12:13]
	s_cbranch_execnz .LBB148_4
; %bb.5:
	s_or_b64 exec, exec, s[12:13]
.LBB148_6:
	s_or_b64 exec, exec, s[24:25]
	v_mbcnt_lo_u32_b32 v5, -1, 0
	v_mbcnt_hi_u32_b32 v10, -1, v5
	v_and_b32_e32 v11, 63, v10
	v_cmp_ne_u32_e64 s[0:1], 63, v11
	v_addc_co_u32_e64 v5, s[0:1], 0, v10, s[0:1]
	v_lshlrev_b32_e32 v9, 2, v5
	ds_bpermute_b32 v5, v9, v3
	ds_bpermute_b32 v6, v9, v4
	;; [unrolled: 1-line block ×4, first 2 shown]
	v_cmp_gt_u32_e64 s[0:1], 62, v11
	s_waitcnt lgkmcnt(2)
	v_add_f64 v[3:4], v[3:4], v[5:6]
	v_cndmask_b32_e64 v5, 0, 2, s[0:1]
	s_waitcnt lgkmcnt(0)
	v_add_f64 v[1:2], v[1:2], v[8:9]
	v_add_lshl_u32 v9, v5, v10, 2
	v_cmp_gt_u32_e64 s[0:1], 60, v11
	ds_bpermute_b32 v5, v9, v3
	ds_bpermute_b32 v6, v9, v4
	ds_bpermute_b32 v8, v9, v1
	ds_bpermute_b32 v9, v9, v2
	s_waitcnt lgkmcnt(2)
	v_add_f64 v[3:4], v[3:4], v[5:6]
	v_cndmask_b32_e64 v5, 0, 4, s[0:1]
	s_waitcnt lgkmcnt(0)
	v_add_f64 v[1:2], v[1:2], v[8:9]
	v_add_lshl_u32 v9, v5, v10, 2
	v_cmp_gt_u32_e64 s[0:1], 56, v11
	ds_bpermute_b32 v5, v9, v3
	ds_bpermute_b32 v6, v9, v4
	ds_bpermute_b32 v8, v9, v1
	ds_bpermute_b32 v9, v9, v2
	;; [unrolled: 11-line block ×3, first 2 shown]
	s_waitcnt lgkmcnt(2)
	v_add_f64 v[3:4], v[3:4], v[5:6]
	v_cndmask_b32_e64 v5, 0, 16, s[0:1]
	s_waitcnt lgkmcnt(0)
	v_add_f64 v[1:2], v[1:2], v[8:9]
	v_add_lshl_u32 v9, v5, v10, 2
	ds_bpermute_b32 v5, v9, v3
	ds_bpermute_b32 v6, v9, v4
	;; [unrolled: 1-line block ×4, first 2 shown]
	s_waitcnt lgkmcnt(2)
	v_add_f64 v[3:4], v[3:4], v[5:6]
	s_waitcnt lgkmcnt(0)
	v_add_f64 v[5:6], v[1:2], v[8:9]
	v_mov_b32_e32 v1, 0x80
	v_lshl_or_b32 v9, v10, 2, v1
	ds_bpermute_b32 v1, v9, v3
	ds_bpermute_b32 v2, v9, v4
	;; [unrolled: 1-line block ×4, first 2 shown]
	s_waitcnt lgkmcnt(2)
	v_add_f64 v[1:2], v[3:4], v[1:2]
	s_waitcnt lgkmcnt(0)
	v_add_f64 v[3:4], v[5:6], v[8:9]
	v_and_b32_e32 v5, 63, v0
	v_cmp_eq_u32_e64 s[0:1], 0, v5
	s_and_saveexec_b64 s[2:3], s[0:1]
; %bb.7:
	v_lshrrev_b32_e32 v5, 2, v0
	v_add_u32_e32 v5, 0, v5
	ds_write2_b64 v5, v[1:2], v[3:4] offset1:1
; %bb.8:
	s_or_b64 exec, exec, s[2:3]
	v_cmp_eq_u32_e64 s[0:1], 0, v0
	s_waitcnt lgkmcnt(0)
	s_barrier
	s_and_saveexec_b64 s[2:3], s[0:1]
	s_cbranch_execz .LBB148_10
; %bb.9:
	v_mov_b32_e32 v16, 0
	ds_read2_b64 v[8:11], v16 offset0:2 offset1:3
	ds_read2_b64 v[12:15], v16 offset0:4 offset1:5
	s_waitcnt lgkmcnt(1)
	v_add_f64 v[1:2], v[1:2], v[8:9]
	v_add_f64 v[3:4], v[3:4], v[10:11]
	s_waitcnt lgkmcnt(0)
	v_add_f64 v[5:6], v[1:2], v[12:13]
	v_add_f64 v[12:13], v[3:4], v[14:15]
	ds_read2_b64 v[1:4], v16 offset0:6 offset1:7
	ds_read2_b64 v[8:11], v16 offset0:8 offset1:9
	s_waitcnt lgkmcnt(1)
	v_add_f64 v[1:2], v[5:6], v[1:2]
	v_add_f64 v[3:4], v[12:13], v[3:4]
	s_waitcnt lgkmcnt(0)
	v_add_f64 v[5:6], v[1:2], v[8:9]
	v_add_f64 v[12:13], v[3:4], v[10:11]
	;; [unrolled: 8-line block ×7, first 2 shown]
	ds_read2_b64 v[1:4], v16 offset0:30 offset1:31
	s_waitcnt lgkmcnt(0)
	v_add_f64 v[1:2], v[5:6], v[1:2]
	v_add_f64 v[3:4], v[8:9], v[3:4]
	ds_write2_b64 v16, v[1:2], v[3:4] offset1:1
.LBB148_10:
	s_or_b64 exec, exec, s[2:3]
	s_waitcnt lgkmcnt(0)
	s_barrier
	s_and_saveexec_b64 s[0:1], vcc
	s_cbranch_execz .LBB148_13
; %bb.11:
	s_mul_i32 s0, s16, s29
	s_mul_hi_u32 s1, s16, s8
	s_add_i32 s0, s1, s0
	s_mul_i32 s1, s17, s8
	s_add_i32 s1, s0, s1
	s_mul_i32 s0, s16, s8
	s_lshl_b64 s[0:1], s[0:1], 4
	s_add_u32 s4, s14, s0
	s_addc_u32 s5, s15, s1
	v_mov_b32_e32 v1, 0
	s_load_dwordx4 s[0:3], s[4:5], 0x0
	ds_read2_b64 v[3:6], v1 offset1:1
	s_ashr_i32 s7, s6, 31
	s_lshl_b64 s[4:5], s[10:11], 4
	v_add_u32_e32 v7, 0x100, v7
	s_waitcnt lgkmcnt(0)
	v_mul_f64 v[1:2], s[0:1], v[3:4]
	v_mul_f64 v[8:9], s[0:1], v[5:6]
	v_mad_i64_i32 v[10:11], s[0:1], s6, v0, 0
	s_add_i32 s0, s27, s26
	s_add_i32 s23, s0, s28
	s_lshl_b64 s[0:1], s[22:23], 4
	v_fma_f64 v[1:2], s[2:3], v[5:6], -v[1:2]
	v_fma_f64 v[3:4], v[3:4], -s[2:3], -v[8:9]
	s_lshl_b64 s[2:3], s[20:21], 4
	s_add_u32 s4, s18, s4
	s_addc_u32 s5, s19, s5
	s_add_u32 s2, s4, s2
	s_addc_u32 s3, s5, s3
	v_lshlrev_b64 v[5:6], 4, v[10:11]
	s_add_u32 s0, s2, s0
	s_addc_u32 s1, s3, s1
	v_mov_b32_e32 v8, s1
	v_add_co_u32_e32 v5, vcc, s0, v5
	v_addc_co_u32_e32 v6, vcc, v8, v6, vcc
	v_add_co_u32_e32 v5, vcc, 8, v5
	s_lshl_b64 s[0:1], s[6:7], 14
	v_addc_co_u32_e32 v6, vcc, 0, v6, vcc
	s_mov_b64 s[2:3], 0
	v_mov_b32_e32 v8, s1
.LBB148_12:                             ; =>This Inner Loop Header: Depth=1
	ds_read2_b64 v[9:12], v7 offset1:1
	v_add_u32_e32 v0, 0x400, v0
	v_cmp_le_i32_e32 vcc, s9, v0
	s_or_b64 s[2:3], vcc, s[2:3]
	v_add_u32_e32 v7, 0x4000, v7
	s_waitcnt lgkmcnt(0)
	v_mul_f64 v[13:14], v[3:4], v[11:12]
	v_mul_f64 v[11:12], v[1:2], v[11:12]
	v_fma_f64 v[13:14], v[1:2], v[9:10], v[13:14]
	v_fma_f64 v[15:16], v[3:4], v[9:10], -v[11:12]
	global_load_dwordx4 v[9:12], v[5:6], off offset:-8
	s_waitcnt vmcnt(0)
	v_add_f64 v[9:10], v[9:10], v[13:14]
	v_add_f64 v[11:12], v[15:16], v[11:12]
	global_store_dwordx4 v[5:6], v[9:12], off offset:-8
	v_add_co_u32_e32 v5, vcc, s0, v5
	v_addc_co_u32_e32 v6, vcc, v6, v8, vcc
	s_andn2_b64 exec, exec, s[2:3]
	s_cbranch_execnz .LBB148_12
.LBB148_13:
	s_endpgm
	.section	.rodata,"a",@progbits
	.p2align	6, 0x0
	.amdhsa_kernel _ZN9rocsolver6v33100L17larf_right_kernelILi1024E19rocblas_complex_numIdEiPS3_EEvT1_S5_T2_lS5_lPKT0_lS6_lS5_l
		.amdhsa_group_segment_fixed_size 0
		.amdhsa_private_segment_fixed_size 0
		.amdhsa_kernarg_size 88
		.amdhsa_user_sgpr_count 6
		.amdhsa_user_sgpr_private_segment_buffer 1
		.amdhsa_user_sgpr_dispatch_ptr 0
		.amdhsa_user_sgpr_queue_ptr 0
		.amdhsa_user_sgpr_kernarg_segment_ptr 1
		.amdhsa_user_sgpr_dispatch_id 0
		.amdhsa_user_sgpr_flat_scratch_init 0
		.amdhsa_user_sgpr_private_segment_size 0
		.amdhsa_uses_dynamic_stack 0
		.amdhsa_system_sgpr_private_segment_wavefront_offset 0
		.amdhsa_system_sgpr_workgroup_id_x 1
		.amdhsa_system_sgpr_workgroup_id_y 1
		.amdhsa_system_sgpr_workgroup_id_z 1
		.amdhsa_system_sgpr_workgroup_info 0
		.amdhsa_system_vgpr_workitem_id 0
		.amdhsa_next_free_vgpr 21
		.amdhsa_next_free_sgpr 36
		.amdhsa_reserve_vcc 1
		.amdhsa_reserve_flat_scratch 0
		.amdhsa_float_round_mode_32 0
		.amdhsa_float_round_mode_16_64 0
		.amdhsa_float_denorm_mode_32 3
		.amdhsa_float_denorm_mode_16_64 3
		.amdhsa_dx10_clamp 1
		.amdhsa_ieee_mode 1
		.amdhsa_fp16_overflow 0
		.amdhsa_exception_fp_ieee_invalid_op 0
		.amdhsa_exception_fp_denorm_src 0
		.amdhsa_exception_fp_ieee_div_zero 0
		.amdhsa_exception_fp_ieee_overflow 0
		.amdhsa_exception_fp_ieee_underflow 0
		.amdhsa_exception_fp_ieee_inexact 0
		.amdhsa_exception_int_div_zero 0
	.end_amdhsa_kernel
	.section	.text._ZN9rocsolver6v33100L17larf_right_kernelILi1024E19rocblas_complex_numIdEiPS3_EEvT1_S5_T2_lS5_lPKT0_lS6_lS5_l,"axG",@progbits,_ZN9rocsolver6v33100L17larf_right_kernelILi1024E19rocblas_complex_numIdEiPS3_EEvT1_S5_T2_lS5_lPKT0_lS6_lS5_l,comdat
.Lfunc_end148:
	.size	_ZN9rocsolver6v33100L17larf_right_kernelILi1024E19rocblas_complex_numIdEiPS3_EEvT1_S5_T2_lS5_lPKT0_lS6_lS5_l, .Lfunc_end148-_ZN9rocsolver6v33100L17larf_right_kernelILi1024E19rocblas_complex_numIdEiPS3_EEvT1_S5_T2_lS5_lPKT0_lS6_lS5_l
                                        ; -- End function
	.set _ZN9rocsolver6v33100L17larf_right_kernelILi1024E19rocblas_complex_numIdEiPS3_EEvT1_S5_T2_lS5_lPKT0_lS6_lS5_l.num_vgpr, 21
	.set _ZN9rocsolver6v33100L17larf_right_kernelILi1024E19rocblas_complex_numIdEiPS3_EEvT1_S5_T2_lS5_lPKT0_lS6_lS5_l.num_agpr, 0
	.set _ZN9rocsolver6v33100L17larf_right_kernelILi1024E19rocblas_complex_numIdEiPS3_EEvT1_S5_T2_lS5_lPKT0_lS6_lS5_l.numbered_sgpr, 36
	.set _ZN9rocsolver6v33100L17larf_right_kernelILi1024E19rocblas_complex_numIdEiPS3_EEvT1_S5_T2_lS5_lPKT0_lS6_lS5_l.num_named_barrier, 0
	.set _ZN9rocsolver6v33100L17larf_right_kernelILi1024E19rocblas_complex_numIdEiPS3_EEvT1_S5_T2_lS5_lPKT0_lS6_lS5_l.private_seg_size, 0
	.set _ZN9rocsolver6v33100L17larf_right_kernelILi1024E19rocblas_complex_numIdEiPS3_EEvT1_S5_T2_lS5_lPKT0_lS6_lS5_l.uses_vcc, 1
	.set _ZN9rocsolver6v33100L17larf_right_kernelILi1024E19rocblas_complex_numIdEiPS3_EEvT1_S5_T2_lS5_lPKT0_lS6_lS5_l.uses_flat_scratch, 0
	.set _ZN9rocsolver6v33100L17larf_right_kernelILi1024E19rocblas_complex_numIdEiPS3_EEvT1_S5_T2_lS5_lPKT0_lS6_lS5_l.has_dyn_sized_stack, 0
	.set _ZN9rocsolver6v33100L17larf_right_kernelILi1024E19rocblas_complex_numIdEiPS3_EEvT1_S5_T2_lS5_lPKT0_lS6_lS5_l.has_recursion, 0
	.set _ZN9rocsolver6v33100L17larf_right_kernelILi1024E19rocblas_complex_numIdEiPS3_EEvT1_S5_T2_lS5_lPKT0_lS6_lS5_l.has_indirect_call, 0
	.section	.AMDGPU.csdata,"",@progbits
; Kernel info:
; codeLenInByte = 1940
; TotalNumSgprs: 40
; NumVgprs: 21
; ScratchSize: 0
; MemoryBound: 0
; FloatMode: 240
; IeeeMode: 1
; LDSByteSize: 0 bytes/workgroup (compile time only)
; SGPRBlocks: 4
; VGPRBlocks: 5
; NumSGPRsForWavesPerEU: 40
; NumVGPRsForWavesPerEU: 21
; Occupancy: 10
; WaveLimiterHint : 0
; COMPUTE_PGM_RSRC2:SCRATCH_EN: 0
; COMPUTE_PGM_RSRC2:USER_SGPR: 6
; COMPUTE_PGM_RSRC2:TRAP_HANDLER: 0
; COMPUTE_PGM_RSRC2:TGID_X_EN: 1
; COMPUTE_PGM_RSRC2:TGID_Y_EN: 1
; COMPUTE_PGM_RSRC2:TGID_Z_EN: 1
; COMPUTE_PGM_RSRC2:TIDIG_COMP_CNT: 0
	.section	.text._ZN9rocsolver6v33100L12restore_diagI19rocblas_complex_numIdEidPS3_EEvPT1_llT2_lT0_lS8_,"axG",@progbits,_ZN9rocsolver6v33100L12restore_diagI19rocblas_complex_numIdEidPS3_EEvPT1_llT2_lT0_lS8_,comdat
	.globl	_ZN9rocsolver6v33100L12restore_diagI19rocblas_complex_numIdEidPS3_EEvPT1_llT2_lT0_lS8_ ; -- Begin function _ZN9rocsolver6v33100L12restore_diagI19rocblas_complex_numIdEidPS3_EEvPT1_llT2_lT0_lS8_
	.p2align	8
	.type	_ZN9rocsolver6v33100L12restore_diagI19rocblas_complex_numIdEidPS3_EEvPT1_llT2_lT0_lS8_,@function
_ZN9rocsolver6v33100L12restore_diagI19rocblas_complex_numIdEidPS3_EEvPT1_llT2_lT0_lS8_: ; @_ZN9rocsolver6v33100L12restore_diagI19rocblas_complex_numIdEidPS3_EEvPT1_llT2_lT0_lS8_
; %bb.0:
	s_load_dword s0, s[4:5], 0x4c
	s_load_dword s1, s[4:5], 0x38
	s_waitcnt lgkmcnt(0)
	s_lshr_b32 s0, s0, 16
	s_mul_i32 s7, s7, s0
	v_add_u32_e32 v0, s7, v1
	v_cmp_gt_i32_e32 vcc, s1, v0
	s_and_saveexec_b64 s[0:1], vcc
	s_cbranch_execz .LBB149_2
; %bb.1:
	s_load_dwordx2 s[0:1], s[4:5], 0x30
	s_load_dwordx2 s[2:3], s[4:5], 0x20
	s_load_dword s7, s[4:5], 0x28
	s_load_dwordx8 s[8:15], s[4:5], 0x0
	s_ashr_i32 s4, s6, 31
	s_waitcnt lgkmcnt(0)
	s_mul_hi_u32 s5, s0, s6
	s_mul_i32 s16, s0, s4
	s_add_i32 s5, s5, s16
	s_mul_i32 s1, s1, s6
	s_add_i32 s1, s5, s1
	s_mul_i32 s0, s0, s6
	s_lshl_b64 s[0:1], s[0:1], 4
	s_add_u32 s5, s14, s0
	s_addc_u32 s14, s15, s1
	s_lshl_b64 s[0:1], s[2:3], 4
	s_add_u32 s2, s5, s0
	s_addc_u32 s3, s14, s1
	s_mul_hi_u32 s0, s12, s6
	s_mul_i32 s1, s12, s4
	s_add_i32 s0, s0, s1
	s_mul_i32 s1, s13, s6
	s_add_i32 s1, s0, s1
	s_mul_i32 s0, s12, s6
	s_lshl_b64 s[0:1], s[0:1], 3
	s_add_u32 s4, s8, s0
	s_addc_u32 s5, s9, s1
	s_lshl_b64 s[0:1], s[10:11], 3
	s_add_u32 s4, s4, s0
	s_addc_u32 s5, s5, s1
	v_mad_u64_u32 v[2:3], s[0:1], v0, s7, v[0:1]
	v_ashrrev_i32_e32 v1, 31, v0
	v_lshlrev_b64 v[0:1], 3, v[0:1]
	v_mov_b32_e32 v3, s5
	v_add_co_u32_e32 v0, vcc, s4, v0
	v_addc_co_u32_e32 v1, vcc, v3, v1, vcc
	global_load_dwordx2 v[0:1], v[0:1], off
	v_ashrrev_i32_e32 v3, 31, v2
	v_lshlrev_b64 v[2:3], 4, v[2:3]
	v_mov_b32_e32 v5, s3
	v_add_co_u32_e32 v4, vcc, s2, v2
	v_mov_b32_e32 v2, 0
	v_addc_co_u32_e32 v5, vcc, v5, v3, vcc
	v_mov_b32_e32 v3, v2
	s_waitcnt vmcnt(0)
	global_store_dwordx4 v[4:5], v[0:3], off
.LBB149_2:
	s_endpgm
	.section	.rodata,"a",@progbits
	.p2align	6, 0x0
	.amdhsa_kernel _ZN9rocsolver6v33100L12restore_diagI19rocblas_complex_numIdEidPS3_EEvPT1_llT2_lT0_lS8_
		.amdhsa_group_segment_fixed_size 0
		.amdhsa_private_segment_fixed_size 0
		.amdhsa_kernarg_size 320
		.amdhsa_user_sgpr_count 6
		.amdhsa_user_sgpr_private_segment_buffer 1
		.amdhsa_user_sgpr_dispatch_ptr 0
		.amdhsa_user_sgpr_queue_ptr 0
		.amdhsa_user_sgpr_kernarg_segment_ptr 1
		.amdhsa_user_sgpr_dispatch_id 0
		.amdhsa_user_sgpr_flat_scratch_init 0
		.amdhsa_user_sgpr_private_segment_size 0
		.amdhsa_uses_dynamic_stack 0
		.amdhsa_system_sgpr_private_segment_wavefront_offset 0
		.amdhsa_system_sgpr_workgroup_id_x 1
		.amdhsa_system_sgpr_workgroup_id_y 1
		.amdhsa_system_sgpr_workgroup_id_z 0
		.amdhsa_system_sgpr_workgroup_info 0
		.amdhsa_system_vgpr_workitem_id 1
		.amdhsa_next_free_vgpr 6
		.amdhsa_next_free_sgpr 17
		.amdhsa_reserve_vcc 1
		.amdhsa_reserve_flat_scratch 0
		.amdhsa_float_round_mode_32 0
		.amdhsa_float_round_mode_16_64 0
		.amdhsa_float_denorm_mode_32 3
		.amdhsa_float_denorm_mode_16_64 3
		.amdhsa_dx10_clamp 1
		.amdhsa_ieee_mode 1
		.amdhsa_fp16_overflow 0
		.amdhsa_exception_fp_ieee_invalid_op 0
		.amdhsa_exception_fp_denorm_src 0
		.amdhsa_exception_fp_ieee_div_zero 0
		.amdhsa_exception_fp_ieee_overflow 0
		.amdhsa_exception_fp_ieee_underflow 0
		.amdhsa_exception_fp_ieee_inexact 0
		.amdhsa_exception_int_div_zero 0
	.end_amdhsa_kernel
	.section	.text._ZN9rocsolver6v33100L12restore_diagI19rocblas_complex_numIdEidPS3_EEvPT1_llT2_lT0_lS8_,"axG",@progbits,_ZN9rocsolver6v33100L12restore_diagI19rocblas_complex_numIdEidPS3_EEvPT1_llT2_lT0_lS8_,comdat
.Lfunc_end149:
	.size	_ZN9rocsolver6v33100L12restore_diagI19rocblas_complex_numIdEidPS3_EEvPT1_llT2_lT0_lS8_, .Lfunc_end149-_ZN9rocsolver6v33100L12restore_diagI19rocblas_complex_numIdEidPS3_EEvPT1_llT2_lT0_lS8_
                                        ; -- End function
	.set _ZN9rocsolver6v33100L12restore_diagI19rocblas_complex_numIdEidPS3_EEvPT1_llT2_lT0_lS8_.num_vgpr, 6
	.set _ZN9rocsolver6v33100L12restore_diagI19rocblas_complex_numIdEidPS3_EEvPT1_llT2_lT0_lS8_.num_agpr, 0
	.set _ZN9rocsolver6v33100L12restore_diagI19rocblas_complex_numIdEidPS3_EEvPT1_llT2_lT0_lS8_.numbered_sgpr, 17
	.set _ZN9rocsolver6v33100L12restore_diagI19rocblas_complex_numIdEidPS3_EEvPT1_llT2_lT0_lS8_.num_named_barrier, 0
	.set _ZN9rocsolver6v33100L12restore_diagI19rocblas_complex_numIdEidPS3_EEvPT1_llT2_lT0_lS8_.private_seg_size, 0
	.set _ZN9rocsolver6v33100L12restore_diagI19rocblas_complex_numIdEidPS3_EEvPT1_llT2_lT0_lS8_.uses_vcc, 1
	.set _ZN9rocsolver6v33100L12restore_diagI19rocblas_complex_numIdEidPS3_EEvPT1_llT2_lT0_lS8_.uses_flat_scratch, 0
	.set _ZN9rocsolver6v33100L12restore_diagI19rocblas_complex_numIdEidPS3_EEvPT1_llT2_lT0_lS8_.has_dyn_sized_stack, 0
	.set _ZN9rocsolver6v33100L12restore_diagI19rocblas_complex_numIdEidPS3_EEvPT1_llT2_lT0_lS8_.has_recursion, 0
	.set _ZN9rocsolver6v33100L12restore_diagI19rocblas_complex_numIdEidPS3_EEvPT1_llT2_lT0_lS8_.has_indirect_call, 0
	.section	.AMDGPU.csdata,"",@progbits
; Kernel info:
; codeLenInByte = 268
; TotalNumSgprs: 21
; NumVgprs: 6
; ScratchSize: 0
; MemoryBound: 0
; FloatMode: 240
; IeeeMode: 1
; LDSByteSize: 0 bytes/workgroup (compile time only)
; SGPRBlocks: 2
; VGPRBlocks: 1
; NumSGPRsForWavesPerEU: 21
; NumVGPRsForWavesPerEU: 6
; Occupancy: 10
; WaveLimiterHint : 0
; COMPUTE_PGM_RSRC2:SCRATCH_EN: 0
; COMPUTE_PGM_RSRC2:USER_SGPR: 6
; COMPUTE_PGM_RSRC2:TRAP_HANDLER: 0
; COMPUTE_PGM_RSRC2:TGID_X_EN: 1
; COMPUTE_PGM_RSRC2:TGID_Y_EN: 1
; COMPUTE_PGM_RSRC2:TGID_Z_EN: 0
; COMPUTE_PGM_RSRC2:TIDIG_COMP_CNT: 1
	.section	.text._ZN9rocsolver6v33100L14set_triangularI19rocblas_complex_numIdEPS3_TnNSt9enable_ifIX18rocblas_is_complexIT_EEiE4typeELi0EEEviiT0_iilPS6_lSA_il15rocblas_direct_15rocblas_storev_b,"axG",@progbits,_ZN9rocsolver6v33100L14set_triangularI19rocblas_complex_numIdEPS3_TnNSt9enable_ifIX18rocblas_is_complexIT_EEiE4typeELi0EEEviiT0_iilPS6_lSA_il15rocblas_direct_15rocblas_storev_b,comdat
	.globl	_ZN9rocsolver6v33100L14set_triangularI19rocblas_complex_numIdEPS3_TnNSt9enable_ifIX18rocblas_is_complexIT_EEiE4typeELi0EEEviiT0_iilPS6_lSA_il15rocblas_direct_15rocblas_storev_b ; -- Begin function _ZN9rocsolver6v33100L14set_triangularI19rocblas_complex_numIdEPS3_TnNSt9enable_ifIX18rocblas_is_complexIT_EEiE4typeELi0EEEviiT0_iilPS6_lSA_il15rocblas_direct_15rocblas_storev_b
	.p2align	8
	.type	_ZN9rocsolver6v33100L14set_triangularI19rocblas_complex_numIdEPS3_TnNSt9enable_ifIX18rocblas_is_complexIT_EEiE4typeELi0EEEviiT0_iilPS6_lSA_il15rocblas_direct_15rocblas_storev_b,@function
_ZN9rocsolver6v33100L14set_triangularI19rocblas_complex_numIdEPS3_TnNSt9enable_ifIX18rocblas_is_complexIT_EEiE4typeELi0EEEviiT0_iilPS6_lSA_il15rocblas_direct_15rocblas_storev_b: ; @_ZN9rocsolver6v33100L14set_triangularI19rocblas_complex_numIdEPS3_TnNSt9enable_ifIX18rocblas_is_complexIT_EEiE4typeELi0EEEviiT0_iilPS6_lSA_il15rocblas_direct_15rocblas_storev_b
; %bb.0:
	s_load_dword s0, s[4:5], 0x64
	s_load_dwordx2 s[10:11], s[4:5], 0x0
	s_waitcnt lgkmcnt(0)
	s_lshr_b32 s1, s0, 16
	s_and_b32 s0, s0, 0xffff
	s_mul_i32 s6, s6, s0
	s_mul_i32 s7, s7, s1
	v_add_u32_e32 v6, s6, v0
	v_add_u32_e32 v0, s7, v1
	v_max_u32_e32 v1, v6, v0
	v_cmp_gt_u32_e32 vcc, s11, v1
	s_and_saveexec_b64 s[0:1], vcc
	s_cbranch_execz .LBB150_36
; %bb.1:
	s_load_dwordx8 s[12:19], s[4:5], 0x18
	s_load_dword s20, s[4:5], 0x38
	s_load_dwordx2 s[0:1], s[4:5], 0x40
	v_cmp_ne_u32_e32 vcc, v0, v6
	s_waitcnt lgkmcnt(0)
	s_mul_i32 s3, s17, s8
	s_mul_hi_u32 s6, s16, s8
	s_mul_i32 s2, s16, s8
	s_add_i32 s3, s6, s3
	s_lshl_b64 s[2:3], s[2:3], 4
	s_add_u32 s21, s14, s2
	s_mul_i32 s1, s1, s8
	s_mul_hi_u32 s2, s0, s8
	s_addc_u32 s22, s15, s3
	s_add_i32 s1, s2, s1
	s_mul_i32 s0, s0, s8
	s_lshl_b64 s[0:1], s[0:1], 4
	s_add_u32 s14, s18, s0
	s_addc_u32 s15, s19, s1
	s_and_saveexec_b64 s[0:1], vcc
	s_xor_b64 s[6:7], exec, s[0:1]
	s_cbranch_execz .LBB150_34
; %bb.2:
	s_load_dwordx4 s[0:3], s[4:5], 0x8
	s_load_dwordx4 s[16:19], s[4:5], 0x48
	s_mul_i32 s9, s13, s8
	s_mul_hi_u32 s13, s12, s8
	s_add_i32 s9, s13, s9
	s_mul_i32 s8, s12, s8
	s_waitcnt lgkmcnt(0)
	s_ashr_i32 s5, s2, 31
	s_lshl_b64 s[8:9], s[8:9], 4
	s_mov_b32 s4, s2
	s_add_u32 s2, s0, s8
	s_addc_u32 s8, s1, s9
	s_lshl_b64 s[0:1], s[4:5], 4
	s_add_u32 s2, s2, s0
	s_addc_u32 s12, s8, s1
	s_bitcmp1_b32 s18, 0
	s_cselect_b64 s[0:1], -1, 0
	s_xor_b64 s[0:1], s[0:1], -1
	s_mov_b64 s[4:5], -1
	s_cmpk_lg_i32 s16, 0xab
	v_mov_b32_e32 v7, 0
	s_cbranch_scc0 .LBB150_18
; %bb.3:
	v_cmp_le_u32_e32 vcc, v0, v6
	s_and_saveexec_b64 s[4:5], vcc
	s_xor_b64 s[4:5], exec, s[4:5]
	s_cbranch_execz .LBB150_5
; %bb.4:
	v_mad_u64_u32 v[2:3], s[8:9], v6, s20, 0
	s_ashr_i32 s8, s20, 31
	v_mov_b32_e32 v1, v3
	v_mad_u64_u32 v[3:4], s[8:9], v6, s8, v[1:2]
	v_mov_b32_e32 v1, 0
	v_mov_b32_e32 v4, s15
	v_lshlrev_b64 v[2:3], 4, v[2:3]
	v_add_co_u32_e32 v5, vcc, s14, v2
	v_addc_co_u32_e32 v4, vcc, v4, v3, vcc
	v_lshlrev_b64 v[2:3], 4, v[0:1]
	v_add_co_u32_e32 v8, vcc, v5, v2
	v_addc_co_u32_e32 v9, vcc, v4, v3, vcc
	v_mov_b32_e32 v2, v1
	v_mov_b32_e32 v3, v1
	;; [unrolled: 1-line block ×4, first 2 shown]
	global_store_dwordx4 v[8:9], v[2:5], off
.LBB150_5:
	s_andn2_saveexec_b64 s[4:5], s[4:5]
	s_cbranch_execz .LBB150_17
; %bb.6:
	v_lshlrev_b64 v[1:2], 4, v[6:7]
	v_mov_b32_e32 v3, s22
	v_add_co_u32_e32 v1, vcc, s21, v1
	v_addc_co_u32_e32 v2, vcc, v3, v2, vcc
	global_load_dwordx4 v[2:5], v[1:2], off
	s_cmpk_lg_i32 s17, 0xb5
	s_mov_b64 s[8:9], -1
	s_cbranch_scc0 .LBB150_12
; %bb.7:
	v_mov_b32_e32 v1, 0
	v_lshlrev_b64 v[8:9], 4, v[0:1]
	s_andn2_b64 vcc, exec, s[0:1]
	s_cbranch_vccnz .LBB150_9
; %bb.8:
	s_sub_i32 s8, s10, s11
	v_add_u32_e32 v12, s8, v6
	v_mad_u64_u32 v[10:11], s[8:9], v12, s3, 0
	s_ashr_i32 s8, s3, 31
	v_mov_b32_e32 v1, v11
	s_waitcnt vmcnt(0)
	v_mad_u64_u32 v[11:12], s[8:9], v12, s8, v[1:2]
	v_mov_b32_e32 v1, s12
	v_mad_u64_u32 v[18:19], s[8:9], v6, s20, 0
	v_lshlrev_b64 v[10:11], 4, v[10:11]
	s_ashr_i32 s8, s20, 31
	v_add_co_u32_e32 v10, vcc, s2, v10
	v_addc_co_u32_e32 v1, vcc, v1, v11, vcc
	v_add_co_u32_e32 v10, vcc, v10, v8
	v_addc_co_u32_e32 v11, vcc, v1, v9, vcc
	global_load_dwordx4 v[10:13], v[10:11], off
	v_mov_b32_e32 v1, v19
	s_waitcnt vmcnt(0)
	v_mul_f64 v[14:15], v[2:3], v[10:11]
	v_mul_f64 v[16:17], v[2:3], v[12:13]
	v_fma_f64 v[12:13], v[4:5], v[12:13], -v[14:15]
	v_fma_f64 v[14:15], v[10:11], -v[4:5], -v[16:17]
	v_mad_u64_u32 v[10:11], s[8:9], v6, s8, v[1:2]
	v_mov_b32_e32 v1, s15
	s_mov_b64 s[8:9], 0
	v_mov_b32_e32 v19, v10
	v_lshlrev_b64 v[10:11], 4, v[18:19]
	v_add_co_u32_e32 v10, vcc, s14, v10
	v_addc_co_u32_e32 v1, vcc, v1, v11, vcc
	v_add_co_u32_e32 v10, vcc, v10, v8
	v_addc_co_u32_e32 v11, vcc, v1, v9, vcc
	global_store_dwordx4 v[10:11], v[12:15], off
.LBB150_9:
	s_andn2_b64 vcc, exec, s[8:9]
	s_cbranch_vccnz .LBB150_11
; %bb.10:
	v_mad_u64_u32 v[10:11], s[8:9], v6, s20, 0
	s_ashr_i32 s8, s20, 31
	v_mov_b32_e32 v1, v11
	s_waitcnt vmcnt(0)
	v_mad_u64_u32 v[11:12], s[8:9], v6, s8, v[1:2]
	s_sub_i32 s8, s10, s11
	v_add_u32_e32 v14, s8, v6
	v_mad_u64_u32 v[12:13], s[8:9], v14, s3, 0
	v_lshlrev_b64 v[10:11], 4, v[10:11]
	v_mov_b32_e32 v1, s15
	v_add_co_u32_e32 v15, vcc, s14, v10
	v_addc_co_u32_e32 v17, vcc, v1, v11, vcc
	s_ashr_i32 s8, s3, 31
	v_mov_b32_e32 v1, v13
	v_mad_u64_u32 v[10:11], s[8:9], v14, s8, v[1:2]
	v_add_co_u32_e32 v16, vcc, v15, v8
	v_mov_b32_e32 v13, v10
	v_lshlrev_b64 v[10:11], 4, v[12:13]
	v_addc_co_u32_e32 v17, vcc, v17, v9, vcc
	v_mov_b32_e32 v1, s12
	v_add_co_u32_e32 v10, vcc, s2, v10
	v_addc_co_u32_e32 v1, vcc, v1, v11, vcc
	v_add_co_u32_e32 v18, vcc, v10, v8
	v_addc_co_u32_e32 v19, vcc, v1, v9, vcc
	global_load_dwordx4 v[8:11], v[16:17], off
	global_load_dwordx4 v[12:15], v[18:19], off
	s_waitcnt vmcnt(0)
	v_add_f64 v[12:13], v[12:13], v[8:9]
	v_add_f64 v[8:9], v[14:15], v[10:11]
	v_mul_f64 v[10:11], v[2:3], v[12:13]
	v_mul_f64 v[14:15], v[2:3], v[8:9]
	v_fma_f64 v[8:9], v[4:5], v[8:9], -v[10:11]
	v_fma_f64 v[10:11], v[12:13], -v[4:5], -v[14:15]
	global_store_dwordx4 v[16:17], v[8:11], off
.LBB150_11:
	s_mov_b64 s[8:9], 0
.LBB150_12:
	s_andn2_b64 vcc, exec, s[8:9]
	s_cbranch_vccnz .LBB150_17
; %bb.13:
	s_andn2_b64 vcc, exec, s[0:1]
	s_mov_b64 s[8:9], -1
	s_cbranch_vccnz .LBB150_15
; %bb.14:
	v_mad_u64_u32 v[8:9], s[8:9], v0, s3, 0
	s_ashr_i32 s8, s3, 31
	v_mov_b32_e32 v12, 0
	v_mov_b32_e32 v1, v9
	s_waitcnt vmcnt(0)
	v_mad_u64_u32 v[9:10], s[8:9], v0, s8, v[1:2]
	s_sub_i32 s8, s10, s11
	v_add_u32_e32 v11, s8, v6
	v_lshlrev_b64 v[8:9], 4, v[8:9]
	v_mov_b32_e32 v1, s12
	v_add_co_u32_e32 v10, vcc, s2, v8
	v_addc_co_u32_e32 v1, vcc, v1, v9, vcc
	v_lshlrev_b64 v[8:9], 4, v[11:12]
	v_mov_b32_e32 v17, s15
	v_add_co_u32_e32 v8, vcc, v10, v8
	v_addc_co_u32_e32 v9, vcc, v1, v9, vcc
	global_load_dwordx4 v[8:11], v[8:9], off
	s_waitcnt vmcnt(0)
	v_mul_f64 v[13:14], v[4:5], v[10:11]
	v_mul_f64 v[15:16], v[4:5], v[8:9]
	v_fma_f64 v[8:9], v[8:9], -v[2:3], -v[13:14]
	v_mad_u64_u32 v[13:14], s[8:9], v6, s20, 0
	s_ashr_i32 s8, s20, 31
	v_fma_f64 v[10:11], v[2:3], v[10:11], -v[15:16]
	v_mov_b32_e32 v1, v14
	v_mad_u64_u32 v[14:15], s[8:9], v6, s8, v[1:2]
	v_mov_b32_e32 v1, v12
	v_lshlrev_b64 v[15:16], 4, v[0:1]
	v_lshlrev_b64 v[12:13], 4, v[13:14]
	s_mov_b64 s[8:9], 0
	v_add_co_u32_e32 v1, vcc, s14, v12
	v_addc_co_u32_e32 v13, vcc, v17, v13, vcc
	v_add_co_u32_e32 v12, vcc, v1, v15
	v_addc_co_u32_e32 v13, vcc, v13, v16, vcc
	global_store_dwordx4 v[12:13], v[8:11], off
.LBB150_15:
	s_andn2_b64 vcc, exec, s[8:9]
	s_cbranch_vccnz .LBB150_17
; %bb.16:
	v_mad_u64_u32 v[8:9], s[8:9], v6, s20, 0
	s_ashr_i32 s8, s20, 31
	v_mov_b32_e32 v1, v9
	s_waitcnt vmcnt(0)
	v_mad_u64_u32 v[9:10], s[8:9], v6, s8, v[1:2]
	v_mov_b32_e32 v10, s15
	v_mov_b32_e32 v1, 0
	v_lshlrev_b64 v[8:9], 4, v[8:9]
	v_add_co_u32_e32 v12, vcc, s14, v8
	v_addc_co_u32_e32 v13, vcc, v10, v9, vcc
	v_mad_u64_u32 v[10:11], s[8:9], v0, s3, 0
	v_lshlrev_b64 v[8:9], 4, v[0:1]
	s_ashr_i32 s8, s3, 31
	v_add_co_u32_e32 v16, vcc, v12, v8
	v_mov_b32_e32 v8, v11
	v_addc_co_u32_e32 v17, vcc, v13, v9, vcc
	v_mad_u64_u32 v[8:9], s[8:9], v0, s8, v[8:9]
	s_sub_i32 s8, s10, s11
	v_add_u32_e32 v12, s8, v6
	v_mov_b32_e32 v11, v8
	v_lshlrev_b64 v[8:9], 4, v[10:11]
	v_mov_b32_e32 v13, v1
	v_mov_b32_e32 v1, s12
	v_add_co_u32_e32 v10, vcc, s2, v8
	v_addc_co_u32_e32 v1, vcc, v1, v9, vcc
	v_lshlrev_b64 v[8:9], 4, v[12:13]
	v_add_co_u32_e32 v18, vcc, v10, v8
	v_addc_co_u32_e32 v19, vcc, v1, v9, vcc
	global_load_dwordx4 v[8:11], v[18:19], off
	global_load_dwordx4 v[12:15], v[16:17], off
	s_waitcnt vmcnt(0)
	v_add_f64 v[8:9], v[8:9], v[12:13]
	v_add_f64 v[10:11], v[14:15], -v[10:11]
	v_mul_f64 v[12:13], v[2:3], v[8:9]
	v_mul_f64 v[14:15], v[2:3], v[10:11]
	v_fma_f64 v[1:2], v[4:5], v[10:11], -v[12:13]
	v_fma_f64 v[3:4], v[8:9], -v[4:5], -v[14:15]
	global_store_dwordx4 v[16:17], v[1:4], off
.LBB150_17:
	s_or_b64 exec, exec, s[4:5]
	s_mov_b64 s[4:5], 0
.LBB150_18:
	s_andn2_b64 vcc, exec, s[4:5]
	s_cbranch_vccnz .LBB150_34
; %bb.19:
	v_cmp_ge_u32_e32 vcc, v0, v6
	s_and_saveexec_b64 s[4:5], vcc
	s_xor_b64 s[4:5], exec, s[4:5]
	s_cbranch_execz .LBB150_21
; %bb.20:
	s_waitcnt vmcnt(0)
	v_mad_u64_u32 v[2:3], s[8:9], v6, s20, 0
	s_ashr_i32 s8, s20, 31
	v_mov_b32_e32 v1, v3
	v_mad_u64_u32 v[3:4], s[8:9], v6, s8, v[1:2]
	v_mov_b32_e32 v1, 0
	v_mov_b32_e32 v4, s15
	v_lshlrev_b64 v[2:3], 4, v[2:3]
	v_add_co_u32_e32 v5, vcc, s14, v2
	v_addc_co_u32_e32 v6, vcc, v4, v3, vcc
	v_lshlrev_b64 v[2:3], 4, v[0:1]
	v_mov_b32_e32 v0, v1
	v_add_co_u32_e32 v4, vcc, v5, v2
	v_addc_co_u32_e32 v5, vcc, v6, v3, vcc
	v_mov_b32_e32 v2, v1
	v_mov_b32_e32 v3, v1
	global_store_dwordx4 v[4:5], v[0:3], off
                                        ; implicit-def: $vgpr6_vgpr7
                                        ; implicit-def: $vgpr0
.LBB150_21:
	s_andn2_saveexec_b64 s[4:5], s[4:5]
	s_cbranch_execz .LBB150_33
; %bb.22:
	v_lshlrev_b64 v[7:8], 4, v[6:7]
	s_waitcnt vmcnt(0)
	v_mov_b32_e32 v2, s22
	v_add_co_u32_e32 v1, vcc, s21, v7
	v_addc_co_u32_e32 v2, vcc, v2, v8, vcc
	global_load_dwordx4 v[2:5], v[1:2], off
	v_cndmask_b32_e64 v1, 0, 1, s[0:1]
	s_cmpk_lg_i32 s17, 0xb5
	s_mov_b64 s[8:9], -1
	v_cmp_ne_u32_e64 s[0:1], 1, v1
	s_cbranch_scc0 .LBB150_28
; %bb.23:
	v_mov_b32_e32 v1, 0
	v_lshlrev_b64 v[9:10], 4, v[0:1]
	s_and_b64 vcc, exec, s[0:1]
	s_cbranch_vccnz .LBB150_25
; %bb.24:
	v_mad_u64_u32 v[11:12], s[8:9], v6, s3, 0
	s_ashr_i32 s8, s3, 31
	v_mov_b32_e32 v1, v12
	s_waitcnt vmcnt(0)
	v_mad_u64_u32 v[12:13], s[8:9], v6, s8, v[1:2]
	v_mov_b32_e32 v1, s12
	v_mad_u64_u32 v[19:20], s[8:9], v6, s20, 0
	v_lshlrev_b64 v[11:12], 4, v[11:12]
	s_ashr_i32 s8, s20, 31
	v_add_co_u32_e32 v11, vcc, s2, v11
	v_addc_co_u32_e32 v1, vcc, v1, v12, vcc
	v_add_co_u32_e32 v11, vcc, v11, v9
	v_addc_co_u32_e32 v12, vcc, v1, v10, vcc
	global_load_dwordx4 v[11:14], v[11:12], off
	v_mov_b32_e32 v1, v20
	s_waitcnt vmcnt(0)
	v_mul_f64 v[15:16], v[2:3], v[11:12]
	v_mul_f64 v[17:18], v[2:3], v[13:14]
	v_fma_f64 v[13:14], v[4:5], v[13:14], -v[15:16]
	v_fma_f64 v[15:16], v[11:12], -v[4:5], -v[17:18]
	v_mad_u64_u32 v[11:12], s[8:9], v6, s8, v[1:2]
	v_mov_b32_e32 v1, s15
	s_mov_b64 s[8:9], 0
	v_mov_b32_e32 v20, v11
	v_lshlrev_b64 v[11:12], 4, v[19:20]
	v_add_co_u32_e32 v11, vcc, s14, v11
	v_addc_co_u32_e32 v1, vcc, v1, v12, vcc
	v_add_co_u32_e32 v11, vcc, v11, v9
	v_addc_co_u32_e32 v12, vcc, v1, v10, vcc
	global_store_dwordx4 v[11:12], v[13:16], off
.LBB150_25:
	s_andn2_b64 vcc, exec, s[8:9]
	s_cbranch_vccnz .LBB150_27
; %bb.26:
	v_mad_u64_u32 v[11:12], s[8:9], v6, s20, 0
	s_ashr_i32 s8, s20, 31
	v_mov_b32_e32 v1, v12
	s_waitcnt vmcnt(0)
	v_mad_u64_u32 v[12:13], s[8:9], v6, s8, v[1:2]
	v_mad_u64_u32 v[13:14], s[8:9], v6, s3, 0
	v_lshlrev_b64 v[11:12], 4, v[11:12]
	v_mov_b32_e32 v1, s15
	v_add_co_u32_e32 v15, vcc, s14, v11
	v_addc_co_u32_e32 v16, vcc, v1, v12, vcc
	s_ashr_i32 s8, s3, 31
	v_mov_b32_e32 v1, v14
	v_mad_u64_u32 v[11:12], s[8:9], v6, s8, v[1:2]
	v_add_co_u32_e32 v17, vcc, v15, v9
	v_mov_b32_e32 v14, v11
	v_lshlrev_b64 v[11:12], 4, v[13:14]
	v_addc_co_u32_e32 v18, vcc, v16, v10, vcc
	v_mov_b32_e32 v1, s12
	v_add_co_u32_e32 v11, vcc, s2, v11
	v_addc_co_u32_e32 v1, vcc, v1, v12, vcc
	v_add_co_u32_e32 v19, vcc, v11, v9
	v_addc_co_u32_e32 v20, vcc, v1, v10, vcc
	global_load_dwordx4 v[9:12], v[19:20], off
	global_load_dwordx4 v[13:16], v[17:18], off
	s_waitcnt vmcnt(0)
	v_add_f64 v[13:14], v[9:10], v[13:14]
	v_add_f64 v[9:10], v[11:12], v[15:16]
	v_mul_f64 v[11:12], v[2:3], v[13:14]
	v_mul_f64 v[15:16], v[2:3], v[9:10]
	v_fma_f64 v[9:10], v[4:5], v[9:10], -v[11:12]
	v_fma_f64 v[11:12], v[13:14], -v[4:5], -v[15:16]
	global_store_dwordx4 v[17:18], v[9:12], off
.LBB150_27:
	s_mov_b64 s[8:9], 0
.LBB150_28:
	s_andn2_b64 vcc, exec, s[8:9]
	s_cbranch_vccnz .LBB150_33
; %bb.29:
	v_mov_b32_e32 v1, 0
	v_lshlrev_b64 v[9:10], 4, v[0:1]
	s_and_b64 vcc, exec, s[0:1]
	s_mov_b64 s[0:1], -1
	s_cbranch_vccnz .LBB150_31
; %bb.30:
	v_mad_u64_u32 v[11:12], s[0:1], v0, s3, 0
	s_ashr_i32 s0, s3, 31
	v_mov_b32_e32 v1, v12
	s_waitcnt vmcnt(0)
	v_mad_u64_u32 v[12:13], s[0:1], v0, s0, v[1:2]
	v_mov_b32_e32 v1, s12
	v_lshlrev_b64 v[11:12], 4, v[11:12]
	v_add_co_u32_e32 v11, vcc, s2, v11
	v_addc_co_u32_e32 v1, vcc, v1, v12, vcc
	v_add_co_u32_e32 v11, vcc, v11, v7
	v_addc_co_u32_e32 v12, vcc, v1, v8, vcc
	global_load_dwordx4 v[11:14], v[11:12], off
	s_waitcnt vmcnt(0)
	v_mul_f64 v[15:16], v[4:5], v[13:14]
	v_mul_f64 v[17:18], v[4:5], v[11:12]
	v_fma_f64 v[11:12], v[11:12], -v[2:3], -v[15:16]
	v_mad_u64_u32 v[15:16], s[0:1], v6, s20, 0
	s_ashr_i32 s0, s20, 31
	v_fma_f64 v[13:14], v[2:3], v[13:14], -v[17:18]
	v_mov_b32_e32 v1, v16
	v_mad_u64_u32 v[16:17], s[0:1], v6, s0, v[1:2]
	v_mov_b32_e32 v1, s15
	s_mov_b64 s[0:1], 0
	v_lshlrev_b64 v[15:16], 4, v[15:16]
	v_add_co_u32_e32 v15, vcc, s14, v15
	v_addc_co_u32_e32 v1, vcc, v1, v16, vcc
	v_add_co_u32_e32 v15, vcc, v15, v9
	v_addc_co_u32_e32 v16, vcc, v1, v10, vcc
	global_store_dwordx4 v[15:16], v[11:14], off
.LBB150_31:
	s_andn2_b64 vcc, exec, s[0:1]
	s_cbranch_vccnz .LBB150_33
; %bb.32:
	v_mad_u64_u32 v[11:12], s[0:1], v6, s20, 0
	s_ashr_i32 s0, s20, 31
	v_mov_b32_e32 v1, v12
	s_waitcnt vmcnt(0)
	v_mad_u64_u32 v[12:13], s[0:1], v6, s0, v[1:2]
	v_mad_u64_u32 v[13:14], s[0:1], v0, s3, 0
	v_lshlrev_b64 v[11:12], 4, v[11:12]
	v_mov_b32_e32 v1, s15
	v_add_co_u32_e32 v6, vcc, s14, v11
	v_addc_co_u32_e32 v11, vcc, v1, v12, vcc
	s_ashr_i32 s0, s3, 31
	v_mov_b32_e32 v1, v14
	v_mad_u64_u32 v[0:1], s[0:1], v0, s0, v[1:2]
	v_add_co_u32_e32 v15, vcc, v6, v9
	v_mov_b32_e32 v14, v0
	v_lshlrev_b64 v[0:1], 4, v[13:14]
	v_addc_co_u32_e32 v16, vcc, v11, v10, vcc
	v_mov_b32_e32 v6, s12
	v_add_co_u32_e32 v0, vcc, s2, v0
	v_addc_co_u32_e32 v1, vcc, v6, v1, vcc
	v_add_co_u32_e32 v0, vcc, v0, v7
	v_addc_co_u32_e32 v1, vcc, v1, v8, vcc
	global_load_dwordx4 v[6:9], v[0:1], off
	global_load_dwordx4 v[10:13], v[15:16], off
	s_waitcnt vmcnt(0)
	v_add_f64 v[6:7], v[6:7], v[10:11]
	v_add_f64 v[0:1], v[12:13], -v[8:9]
	v_mul_f64 v[8:9], v[2:3], v[6:7]
	v_mul_f64 v[2:3], v[2:3], v[0:1]
	v_fma_f64 v[0:1], v[4:5], v[0:1], -v[8:9]
	v_fma_f64 v[2:3], v[6:7], -v[4:5], -v[2:3]
	global_store_dwordx4 v[15:16], v[0:3], off
.LBB150_33:
	s_or_b64 exec, exec, s[4:5]
                                        ; implicit-def: $vgpr6
.LBB150_34:
	s_andn2_saveexec_b64 s[0:1], s[6:7]
	s_cbranch_execz .LBB150_36
; %bb.35:
	v_mov_b32_e32 v7, 0
	s_waitcnt vmcnt(0)
	v_lshlrev_b64 v[4:5], 4, v[6:7]
	v_mov_b32_e32 v1, s22
	v_add_co_u32_e32 v0, vcc, s21, v4
	v_addc_co_u32_e32 v1, vcc, v1, v5, vcc
	global_load_dwordx4 v[0:3], v[0:1], off
	v_mad_u64_u32 v[7:8], s[0:1], v6, s20, 0
	s_ashr_i32 s0, s20, 31
	v_mad_u64_u32 v[8:9], s[0:1], v6, s0, v[8:9]
	v_lshlrev_b64 v[6:7], 4, v[7:8]
	v_mov_b32_e32 v8, s15
	v_add_co_u32_e32 v6, vcc, s14, v6
	v_addc_co_u32_e32 v7, vcc, v8, v7, vcc
	v_add_co_u32_e32 v4, vcc, v6, v4
	v_addc_co_u32_e32 v5, vcc, v7, v5, vcc
	s_waitcnt vmcnt(0)
	global_store_dwordx4 v[4:5], v[0:3], off
.LBB150_36:
	s_endpgm
	.section	.rodata,"a",@progbits
	.p2align	6, 0x0
	.amdhsa_kernel _ZN9rocsolver6v33100L14set_triangularI19rocblas_complex_numIdEPS3_TnNSt9enable_ifIX18rocblas_is_complexIT_EEiE4typeELi0EEEviiT0_iilPS6_lSA_il15rocblas_direct_15rocblas_storev_b
		.amdhsa_group_segment_fixed_size 0
		.amdhsa_private_segment_fixed_size 0
		.amdhsa_kernarg_size 344
		.amdhsa_user_sgpr_count 6
		.amdhsa_user_sgpr_private_segment_buffer 1
		.amdhsa_user_sgpr_dispatch_ptr 0
		.amdhsa_user_sgpr_queue_ptr 0
		.amdhsa_user_sgpr_kernarg_segment_ptr 1
		.amdhsa_user_sgpr_dispatch_id 0
		.amdhsa_user_sgpr_flat_scratch_init 0
		.amdhsa_user_sgpr_private_segment_size 0
		.amdhsa_uses_dynamic_stack 0
		.amdhsa_system_sgpr_private_segment_wavefront_offset 0
		.amdhsa_system_sgpr_workgroup_id_x 1
		.amdhsa_system_sgpr_workgroup_id_y 1
		.amdhsa_system_sgpr_workgroup_id_z 1
		.amdhsa_system_sgpr_workgroup_info 0
		.amdhsa_system_vgpr_workitem_id 1
		.amdhsa_next_free_vgpr 21
		.amdhsa_next_free_sgpr 23
		.amdhsa_reserve_vcc 1
		.amdhsa_reserve_flat_scratch 0
		.amdhsa_float_round_mode_32 0
		.amdhsa_float_round_mode_16_64 0
		.amdhsa_float_denorm_mode_32 3
		.amdhsa_float_denorm_mode_16_64 3
		.amdhsa_dx10_clamp 1
		.amdhsa_ieee_mode 1
		.amdhsa_fp16_overflow 0
		.amdhsa_exception_fp_ieee_invalid_op 0
		.amdhsa_exception_fp_denorm_src 0
		.amdhsa_exception_fp_ieee_div_zero 0
		.amdhsa_exception_fp_ieee_overflow 0
		.amdhsa_exception_fp_ieee_underflow 0
		.amdhsa_exception_fp_ieee_inexact 0
		.amdhsa_exception_int_div_zero 0
	.end_amdhsa_kernel
	.section	.text._ZN9rocsolver6v33100L14set_triangularI19rocblas_complex_numIdEPS3_TnNSt9enable_ifIX18rocblas_is_complexIT_EEiE4typeELi0EEEviiT0_iilPS6_lSA_il15rocblas_direct_15rocblas_storev_b,"axG",@progbits,_ZN9rocsolver6v33100L14set_triangularI19rocblas_complex_numIdEPS3_TnNSt9enable_ifIX18rocblas_is_complexIT_EEiE4typeELi0EEEviiT0_iilPS6_lSA_il15rocblas_direct_15rocblas_storev_b,comdat
.Lfunc_end150:
	.size	_ZN9rocsolver6v33100L14set_triangularI19rocblas_complex_numIdEPS3_TnNSt9enable_ifIX18rocblas_is_complexIT_EEiE4typeELi0EEEviiT0_iilPS6_lSA_il15rocblas_direct_15rocblas_storev_b, .Lfunc_end150-_ZN9rocsolver6v33100L14set_triangularI19rocblas_complex_numIdEPS3_TnNSt9enable_ifIX18rocblas_is_complexIT_EEiE4typeELi0EEEviiT0_iilPS6_lSA_il15rocblas_direct_15rocblas_storev_b
                                        ; -- End function
	.set _ZN9rocsolver6v33100L14set_triangularI19rocblas_complex_numIdEPS3_TnNSt9enable_ifIX18rocblas_is_complexIT_EEiE4typeELi0EEEviiT0_iilPS6_lSA_il15rocblas_direct_15rocblas_storev_b.num_vgpr, 21
	.set _ZN9rocsolver6v33100L14set_triangularI19rocblas_complex_numIdEPS3_TnNSt9enable_ifIX18rocblas_is_complexIT_EEiE4typeELi0EEEviiT0_iilPS6_lSA_il15rocblas_direct_15rocblas_storev_b.num_agpr, 0
	.set _ZN9rocsolver6v33100L14set_triangularI19rocblas_complex_numIdEPS3_TnNSt9enable_ifIX18rocblas_is_complexIT_EEiE4typeELi0EEEviiT0_iilPS6_lSA_il15rocblas_direct_15rocblas_storev_b.numbered_sgpr, 23
	.set _ZN9rocsolver6v33100L14set_triangularI19rocblas_complex_numIdEPS3_TnNSt9enable_ifIX18rocblas_is_complexIT_EEiE4typeELi0EEEviiT0_iilPS6_lSA_il15rocblas_direct_15rocblas_storev_b.num_named_barrier, 0
	.set _ZN9rocsolver6v33100L14set_triangularI19rocblas_complex_numIdEPS3_TnNSt9enable_ifIX18rocblas_is_complexIT_EEiE4typeELi0EEEviiT0_iilPS6_lSA_il15rocblas_direct_15rocblas_storev_b.private_seg_size, 0
	.set _ZN9rocsolver6v33100L14set_triangularI19rocblas_complex_numIdEPS3_TnNSt9enable_ifIX18rocblas_is_complexIT_EEiE4typeELi0EEEviiT0_iilPS6_lSA_il15rocblas_direct_15rocblas_storev_b.uses_vcc, 1
	.set _ZN9rocsolver6v33100L14set_triangularI19rocblas_complex_numIdEPS3_TnNSt9enable_ifIX18rocblas_is_complexIT_EEiE4typeELi0EEEviiT0_iilPS6_lSA_il15rocblas_direct_15rocblas_storev_b.uses_flat_scratch, 0
	.set _ZN9rocsolver6v33100L14set_triangularI19rocblas_complex_numIdEPS3_TnNSt9enable_ifIX18rocblas_is_complexIT_EEiE4typeELi0EEEviiT0_iilPS6_lSA_il15rocblas_direct_15rocblas_storev_b.has_dyn_sized_stack, 0
	.set _ZN9rocsolver6v33100L14set_triangularI19rocblas_complex_numIdEPS3_TnNSt9enable_ifIX18rocblas_is_complexIT_EEiE4typeELi0EEEviiT0_iilPS6_lSA_il15rocblas_direct_15rocblas_storev_b.has_recursion, 0
	.set _ZN9rocsolver6v33100L14set_triangularI19rocblas_complex_numIdEPS3_TnNSt9enable_ifIX18rocblas_is_complexIT_EEiE4typeELi0EEEviiT0_iilPS6_lSA_il15rocblas_direct_15rocblas_storev_b.has_indirect_call, 0
	.section	.AMDGPU.csdata,"",@progbits
; Kernel info:
; codeLenInByte = 2340
; TotalNumSgprs: 27
; NumVgprs: 21
; ScratchSize: 0
; MemoryBound: 1
; FloatMode: 240
; IeeeMode: 1
; LDSByteSize: 0 bytes/workgroup (compile time only)
; SGPRBlocks: 3
; VGPRBlocks: 5
; NumSGPRsForWavesPerEU: 27
; NumVGPRsForWavesPerEU: 21
; Occupancy: 10
; WaveLimiterHint : 0
; COMPUTE_PGM_RSRC2:SCRATCH_EN: 0
; COMPUTE_PGM_RSRC2:USER_SGPR: 6
; COMPUTE_PGM_RSRC2:TRAP_HANDLER: 0
; COMPUTE_PGM_RSRC2:TGID_X_EN: 1
; COMPUTE_PGM_RSRC2:TGID_Y_EN: 1
; COMPUTE_PGM_RSRC2:TGID_Z_EN: 1
; COMPUTE_PGM_RSRC2:TIDIG_COMP_CNT: 1
	.section	.text._ZN9rocsolver6v33100L7set_tauI19rocblas_complex_numIdEEEviPT_l,"axG",@progbits,_ZN9rocsolver6v33100L7set_tauI19rocblas_complex_numIdEEEviPT_l,comdat
	.globl	_ZN9rocsolver6v33100L7set_tauI19rocblas_complex_numIdEEEviPT_l ; -- Begin function _ZN9rocsolver6v33100L7set_tauI19rocblas_complex_numIdEEEviPT_l
	.p2align	8
	.type	_ZN9rocsolver6v33100L7set_tauI19rocblas_complex_numIdEEEviPT_l,@function
_ZN9rocsolver6v33100L7set_tauI19rocblas_complex_numIdEEEviPT_l: ; @_ZN9rocsolver6v33100L7set_tauI19rocblas_complex_numIdEEEviPT_l
; %bb.0:
	s_load_dword s0, s[4:5], 0x24
	s_load_dword s1, s[4:5], 0x0
	s_waitcnt lgkmcnt(0)
	s_and_b32 s0, s0, 0xffff
	s_mul_i32 s6, s6, s0
	v_add_u32_e32 v0, s6, v0
	v_cmp_gt_u32_e32 vcc, s1, v0
	s_and_saveexec_b64 s[0:1], vcc
	s_cbranch_execz .LBB151_2
; %bb.1:
	s_load_dwordx4 s[0:3], s[4:5], 0x8
	v_mov_b32_e32 v1, 0
	v_lshlrev_b64 v[0:1], 4, v[0:1]
	s_waitcnt lgkmcnt(0)
	s_mul_i32 s3, s3, s7
	s_mul_hi_u32 s4, s2, s7
	s_mul_i32 s2, s2, s7
	s_add_i32 s3, s4, s3
	s_lshl_b64 s[2:3], s[2:3], 4
	s_add_u32 s0, s0, s2
	s_addc_u32 s1, s1, s3
	v_mov_b32_e32 v2, s1
	v_add_co_u32_e32 v4, vcc, s0, v0
	v_addc_co_u32_e32 v5, vcc, v2, v1, vcc
	global_load_dwordx4 v[0:3], v[4:5], off
	s_waitcnt vmcnt(0)
	v_xor_b32_e32 v1, 0x80000000, v1
	v_xor_b32_e32 v3, 0x80000000, v3
	global_store_dwordx4 v[4:5], v[0:3], off
.LBB151_2:
	s_endpgm
	.section	.rodata,"a",@progbits
	.p2align	6, 0x0
	.amdhsa_kernel _ZN9rocsolver6v33100L7set_tauI19rocblas_complex_numIdEEEviPT_l
		.amdhsa_group_segment_fixed_size 0
		.amdhsa_private_segment_fixed_size 0
		.amdhsa_kernarg_size 280
		.amdhsa_user_sgpr_count 6
		.amdhsa_user_sgpr_private_segment_buffer 1
		.amdhsa_user_sgpr_dispatch_ptr 0
		.amdhsa_user_sgpr_queue_ptr 0
		.amdhsa_user_sgpr_kernarg_segment_ptr 1
		.amdhsa_user_sgpr_dispatch_id 0
		.amdhsa_user_sgpr_flat_scratch_init 0
		.amdhsa_user_sgpr_private_segment_size 0
		.amdhsa_uses_dynamic_stack 0
		.amdhsa_system_sgpr_private_segment_wavefront_offset 0
		.amdhsa_system_sgpr_workgroup_id_x 1
		.amdhsa_system_sgpr_workgroup_id_y 1
		.amdhsa_system_sgpr_workgroup_id_z 0
		.amdhsa_system_sgpr_workgroup_info 0
		.amdhsa_system_vgpr_workitem_id 0
		.amdhsa_next_free_vgpr 6
		.amdhsa_next_free_sgpr 8
		.amdhsa_reserve_vcc 1
		.amdhsa_reserve_flat_scratch 0
		.amdhsa_float_round_mode_32 0
		.amdhsa_float_round_mode_16_64 0
		.amdhsa_float_denorm_mode_32 3
		.amdhsa_float_denorm_mode_16_64 3
		.amdhsa_dx10_clamp 1
		.amdhsa_ieee_mode 1
		.amdhsa_fp16_overflow 0
		.amdhsa_exception_fp_ieee_invalid_op 0
		.amdhsa_exception_fp_denorm_src 0
		.amdhsa_exception_fp_ieee_div_zero 0
		.amdhsa_exception_fp_ieee_overflow 0
		.amdhsa_exception_fp_ieee_underflow 0
		.amdhsa_exception_fp_ieee_inexact 0
		.amdhsa_exception_int_div_zero 0
	.end_amdhsa_kernel
	.section	.text._ZN9rocsolver6v33100L7set_tauI19rocblas_complex_numIdEEEviPT_l,"axG",@progbits,_ZN9rocsolver6v33100L7set_tauI19rocblas_complex_numIdEEEviPT_l,comdat
.Lfunc_end151:
	.size	_ZN9rocsolver6v33100L7set_tauI19rocblas_complex_numIdEEEviPT_l, .Lfunc_end151-_ZN9rocsolver6v33100L7set_tauI19rocblas_complex_numIdEEEviPT_l
                                        ; -- End function
	.set _ZN9rocsolver6v33100L7set_tauI19rocblas_complex_numIdEEEviPT_l.num_vgpr, 6
	.set _ZN9rocsolver6v33100L7set_tauI19rocblas_complex_numIdEEEviPT_l.num_agpr, 0
	.set _ZN9rocsolver6v33100L7set_tauI19rocblas_complex_numIdEEEviPT_l.numbered_sgpr, 8
	.set _ZN9rocsolver6v33100L7set_tauI19rocblas_complex_numIdEEEviPT_l.num_named_barrier, 0
	.set _ZN9rocsolver6v33100L7set_tauI19rocblas_complex_numIdEEEviPT_l.private_seg_size, 0
	.set _ZN9rocsolver6v33100L7set_tauI19rocblas_complex_numIdEEEviPT_l.uses_vcc, 1
	.set _ZN9rocsolver6v33100L7set_tauI19rocblas_complex_numIdEEEviPT_l.uses_flat_scratch, 0
	.set _ZN9rocsolver6v33100L7set_tauI19rocblas_complex_numIdEEEviPT_l.has_dyn_sized_stack, 0
	.set _ZN9rocsolver6v33100L7set_tauI19rocblas_complex_numIdEEEviPT_l.has_recursion, 0
	.set _ZN9rocsolver6v33100L7set_tauI19rocblas_complex_numIdEEEviPT_l.has_indirect_call, 0
	.section	.AMDGPU.csdata,"",@progbits
; Kernel info:
; codeLenInByte = 152
; TotalNumSgprs: 12
; NumVgprs: 6
; ScratchSize: 0
; MemoryBound: 0
; FloatMode: 240
; IeeeMode: 1
; LDSByteSize: 0 bytes/workgroup (compile time only)
; SGPRBlocks: 1
; VGPRBlocks: 1
; NumSGPRsForWavesPerEU: 12
; NumVGPRsForWavesPerEU: 6
; Occupancy: 10
; WaveLimiterHint : 0
; COMPUTE_PGM_RSRC2:SCRATCH_EN: 0
; COMPUTE_PGM_RSRC2:USER_SGPR: 6
; COMPUTE_PGM_RSRC2:TRAP_HANDLER: 0
; COMPUTE_PGM_RSRC2:TGID_X_EN: 1
; COMPUTE_PGM_RSRC2:TGID_Y_EN: 1
; COMPUTE_PGM_RSRC2:TGID_Z_EN: 0
; COMPUTE_PGM_RSRC2:TIDIG_COMP_CNT: 0
	.section	.text._ZN9rocsolver6v33100L20larft_kernel_forwardI19rocblas_complex_numIdEPS3_EEv15rocblas_storev_iiT0_iilPT_lS8_il,"axG",@progbits,_ZN9rocsolver6v33100L20larft_kernel_forwardI19rocblas_complex_numIdEPS3_EEv15rocblas_storev_iiT0_iilPT_lS8_il,comdat
	.globl	_ZN9rocsolver6v33100L20larft_kernel_forwardI19rocblas_complex_numIdEPS3_EEv15rocblas_storev_iiT0_iilPT_lS8_il ; -- Begin function _ZN9rocsolver6v33100L20larft_kernel_forwardI19rocblas_complex_numIdEPS3_EEv15rocblas_storev_iiT0_iilPT_lS8_il
	.p2align	8
	.type	_ZN9rocsolver6v33100L20larft_kernel_forwardI19rocblas_complex_numIdEPS3_EEv15rocblas_storev_iiT0_iilPT_lS8_il,@function
_ZN9rocsolver6v33100L20larft_kernel_forwardI19rocblas_complex_numIdEPS3_EEv15rocblas_storev_iiT0_iilPT_lS8_il: ; @_ZN9rocsolver6v33100L20larft_kernel_forwardI19rocblas_complex_numIdEPS3_EEv15rocblas_storev_iiT0_iilPT_lS8_il
; %bb.0:
	s_load_dword s2, s[4:5], 0x5c
	s_load_dword s33, s[4:5], 0x40
	s_load_dwordx2 s[0:1], s[4:5], 0x48
	s_load_dwordx4 s[16:19], s[4:5], 0x0
	s_load_dwordx8 s[8:15], s[4:5], 0x20
	s_ashr_i32 s6, s7, 31
	s_waitcnt lgkmcnt(0)
	s_and_b32 s19, s2, 0xffff
	s_mul_hi_u32 s2, s0, s7
	s_mul_i32 s3, s0, s6
	s_add_i32 s2, s2, s3
	s_mul_i32 s1, s1, s7
	s_add_i32 s1, s2, s1
	s_mul_i32 s0, s0, s7
	s_lshl_b64 s[0:1], s[0:1], 4
	s_add_u32 s38, s14, s0
	s_addc_u32 s39, s15, s1
	v_cmp_gt_i32_e64 s[0:1], s18, v0
	v_lshlrev_b32_e32 v10, 4, v0
	s_and_saveexec_b64 s[2:3], s[0:1]
	s_cbranch_execz .LBB152_5
; %bb.1:
	v_add_u32_e32 v1, 16, v10
	v_mul_lo_u32 v1, s18, v1
	s_lshl_b32 s22, s18, 4
	s_add_i32 s23, s22, 16
	s_add_i32 s24, s33, 1
	v_add3_u32 v4, v1, v10, 0
	v_mad_u64_u32 v[1:2], s[14:15], v0, s33, v[0:1]
	s_mul_i32 s23, s23, s19
	s_mul_i32 s24, s24, s19
	s_mov_b64 s[14:15], 0
	v_mov_b32_e32 v5, s39
	v_mov_b32_e32 v6, v0
.LBB152_2:                              ; =>This Loop Header: Depth=1
                                        ;     Child Loop BB152_3 Depth 2
	s_mov_b64 s[20:21], 0
	v_mov_b32_e32 v2, v1
	v_mov_b32_e32 v7, v4
	;; [unrolled: 1-line block ×3, first 2 shown]
.LBB152_3:                              ;   Parent Loop BB152_2 Depth=1
                                        ; =>  This Inner Loop Header: Depth=2
	v_ashrrev_i32_e32 v3, 31, v2
	v_lshlrev_b64 v[11:12], 4, v[2:3]
	v_add_u32_e32 v8, 1, v8
	v_add_co_u32_e32 v11, vcc, s38, v11
	v_addc_co_u32_e32 v12, vcc, v5, v12, vcc
	global_load_dwordx4 v[11:14], v[11:12], off
	v_cmp_le_i32_e32 vcc, s18, v8
	v_add_u32_e32 v2, s33, v2
	s_or_b64 s[20:21], vcc, s[20:21]
	s_waitcnt vmcnt(0)
	ds_write2_b64 v7, v[11:12], v[13:14] offset1:1
	v_add_u32_e32 v7, s22, v7
	s_andn2_b64 exec, exec, s[20:21]
	s_cbranch_execnz .LBB152_3
; %bb.4:                                ;   in Loop: Header=BB152_2 Depth=1
	s_or_b64 exec, exec, s[20:21]
	v_add_u32_e32 v6, s19, v6
	v_cmp_le_i32_e32 vcc, s18, v6
	v_add_u32_e32 v4, s23, v4
	s_or_b64 s[14:15], vcc, s[14:15]
	v_add_u32_e32 v1, s24, v1
	s_andn2_b64 exec, exec, s[14:15]
	s_cbranch_execnz .LBB152_2
.LBB152_5:
	s_or_b64 exec, exec, s[2:3]
	s_cmp_lt_i32 s18, 2
	s_waitcnt lgkmcnt(0)
	s_barrier
	s_cbranch_scc1 .LBB152_31
; %bb.6:
	s_load_dwordx4 s[20:23], s[4:5], 0x10
	s_mul_i32 s2, s12, s6
	s_mul_hi_u32 s3, s12, s7
	s_add_i32 s4, s3, s2
	s_mul_i32 s5, s13, s7
	s_add_i32 s5, s4, s5
	s_mul_i32 s4, s12, s7
	s_waitcnt lgkmcnt(0)
	s_ashr_i32 s3, s22, 31
	s_lshl_b64 s[4:5], s[4:5], 4
	s_mov_b32 s2, s22
	s_add_u32 s22, s10, s4
	s_addc_u32 s40, s11, s5
	s_lshl_b32 s41, s18, 4
	s_add_i32 s42, s41, 0
	s_cmpk_lg_i32 s16, 0xb5
	s_mul_i32 s4, s8, s6
	s_mul_hi_u32 s5, s8, s7
	s_cselect_b64 s[12:13], -1, 0
	s_add_i32 s4, s5, s4
	s_mul_i32 s5, s9, s7
	s_add_i32 s5, s4, s5
	s_mul_i32 s4, s8, s7
	s_add_i32 s16, s17, -2
	s_lshl_b64 s[4:5], s[4:5], 4
	s_lshl_b64 s[2:3], s[2:3], 4
	s_add_u32 s2, s4, s2
	s_addc_u32 s3, s5, s3
	s_add_u32 s43, s20, s2
	v_add_u32_e32 v3, 16, v10
	s_addc_u32 s44, s21, s3
	s_ashr_i32 s3, s23, 31
	s_mov_b32 s2, s23
	v_mul_lo_u32 v3, s18, v3
	s_lshl_b32 s8, s23, 1
	s_lshl_b64 s[14:15], s[2:3], 4
	s_lshl_b32 s45, s19, 4
	s_add_u32 s20, s43, 40
	s_addc_u32 s21, s44, 0
	s_add_i32 s47, s41, 16
	s_mov_b32 s11, 0
	s_mov_b32 s10, 1
	v_or_b32_e32 v1, 8, v10
	v_mov_b32_e32 v2, 0
	s_mul_i32 s46, s23, s19
	v_add3_u32 v11, v3, v10, 0
	s_mul_i32 s47, s47, s19
	v_add_u32_e32 v12, 0, v10
	s_mov_b64 s[24:25], 0
	s_mov_b32 s26, s23
	s_branch .LBB152_8
.LBB152_7:                              ;   in Loop: Header=BB152_8 Depth=1
	s_or_b64 exec, exec, s[2:3]
	s_add_i32 s10, s10, 1
	s_add_i32 s16, s16, -1
	s_add_u32 s24, s24, 16
	s_addc_u32 s25, s25, 0
	s_add_i32 s8, s8, s23
	s_add_u32 s20, s20, 16
	s_addc_u32 s21, s21, 0
	s_add_i32 s26, s26, s23
	s_cmp_eq_u32 s10, s18
	s_waitcnt lgkmcnt(0)
	s_barrier
	s_cbranch_scc1 .LBB152_31
.LBB152_8:                              ; =>This Loop Header: Depth=1
                                        ;     Child Loop BB152_13 Depth 2
                                        ;       Child Loop BB152_15 Depth 3
                                        ;     Child Loop BB152_22 Depth 2
                                        ;       Child Loop BB152_24 Depth 3
	;; [unrolled: 2-line block ×3, first 2 shown]
	s_not_b32 s2, s10
	s_add_i32 s49, s17, s2
	s_mul_i32 s2, s10, s18
	s_lshl_b32 s2, s2, 4
	s_add_i32 s48, s42, s2
	s_mov_b64 s[4:5], -1
	s_and_b64 vcc, exec, s[12:13]
	v_cmp_gt_u32_e64 s[2:3], s10, v0
	s_cbranch_vccz .LBB152_17
; %bb.9:                                ;   in Loop: Header=BB152_8 Depth=1
	s_and_saveexec_b64 s[28:29], s[2:3]
	s_cbranch_execz .LBB152_16
; %bb.10:                               ;   in Loop: Header=BB152_8 Depth=1
	s_ashr_i32 s9, s8, 31
	s_lshl_b64 s[2:3], s[8:9], 4
	s_add_u32 s30, s43, s2
	s_addc_u32 s31, s44, s3
	s_cmp_gt_i32 s49, 0
	s_cselect_b64 s[2:3], -1, 0
	s_lshl_b64 s[4:5], s[10:11], 4
	s_add_u32 s34, s22, s4
	s_addc_u32 s35, s40, s5
	s_load_dwordx4 s[4:7], s[34:35], 0x0
	v_cndmask_b32_e64 v3, 0, 1, s[2:3]
	v_cmp_ne_u32_e64 s[2:3], 1, v3
	v_mov_b32_e32 v4, v2
	s_mov_b64 s[34:35], 0
	v_mov_b32_e32 v3, v1
	v_mov_b32_e32 v9, v0
	s_branch .LBB152_13
.LBB152_11:                             ;   in Loop: Header=BB152_13 Depth=2
	v_mov_b32_e32 v7, 0
	v_mov_b32_e32 v8, 0
.LBB152_12:                             ;   in Loop: Header=BB152_13 Depth=2
	s_waitcnt lgkmcnt(0)
	v_mul_f64 v[13:14], v[5:6], s[6:7]
	v_mul_f64 v[15:16], v[7:8], s[6:7]
	v_lshlrev_b32_e32 v17, 4, v9
	v_add_u32_e32 v9, s19, v9
	v_cmp_le_u32_e32 vcc, s10, v9
	s_or_b64 s[34:35], vcc, s[34:35]
	v_add_co_u32_e32 v3, vcc, s45, v3
	v_fma_f64 v[13:14], v[7:8], s[4:5], -v[13:14]
	v_fma_f64 v[15:16], v[5:6], s[4:5], v[15:16]
	v_add_u32_e32 v5, s48, v17
	ds_read2_b64 v[5:8], v5 offset1:1
	v_addc_co_u32_e32 v4, vcc, 0, v4, vcc
	s_waitcnt lgkmcnt(0)
	v_add_f64 v[5:6], v[5:6], v[13:14]
	v_add_f64 v[7:8], v[7:8], v[15:16]
	v_add_u32_e32 v13, 0, v17
	ds_write2_b64 v13, v[5:6], v[7:8] offset1:1
	s_andn2_b64 exec, exec, s[34:35]
	s_cbranch_execz .LBB152_16
.LBB152_13:                             ;   Parent Loop BB152_8 Depth=1
                                        ; =>  This Loop Header: Depth=2
                                        ;       Child Loop BB152_15 Depth 3
	v_mov_b32_e32 v5, 0
	v_mov_b32_e32 v6, 0
	s_and_b64 vcc, exec, s[2:3]
	s_cbranch_vccnz .LBB152_11
; %bb.14:                               ;   in Loop: Header=BB152_13 Depth=2
	v_mov_b32_e32 v7, 0
	s_mov_b32 s9, 0
	v_mov_b32_e32 v8, 0
	s_mov_b64 s[36:37], s[30:31]
.LBB152_15:                             ;   Parent Loop BB152_8 Depth=1
                                        ;     Parent Loop BB152_13 Depth=2
                                        ; =>    This Inner Loop Header: Depth=3
	v_mov_b32_e32 v14, s37
	v_add_co_u32_e32 v13, vcc, s36, v3
	v_addc_co_u32_e32 v14, vcc, v14, v4, vcc
	global_load_dwordx4 v[13:16], v[13:14], off offset:-8
	s_add_u32 s50, s36, s24
	s_addc_u32 s51, s37, s25
	s_load_dwordx4 s[52:55], s[50:51], 0x10
	s_add_i32 s9, s9, 1
	s_add_u32 s36, s36, s14
	s_addc_u32 s37, s37, s15
	s_cmp_eq_u32 s16, s9
	s_waitcnt vmcnt(0) lgkmcnt(0)
	v_mul_f64 v[17:18], s[54:55], v[15:16]
	v_mul_f64 v[19:20], s[54:55], v[13:14]
	v_fma_f64 v[13:14], s[52:53], v[13:14], v[17:18]
	v_fma_f64 v[15:16], s[52:53], v[15:16], -v[19:20]
	v_add_f64 v[7:8], v[7:8], v[13:14]
	v_add_f64 v[5:6], v[5:6], v[15:16]
	s_cbranch_scc0 .LBB152_15
	s_branch .LBB152_12
.LBB152_16:                             ;   in Loop: Header=BB152_8 Depth=1
	s_or_b64 exec, exec, s[28:29]
	s_mov_b64 s[4:5], 0
.LBB152_17:                             ;   in Loop: Header=BB152_8 Depth=1
	s_andn2_b64 vcc, exec, s[4:5]
	s_cbranch_vccnz .LBB152_26
; %bb.18:                               ;   in Loop: Header=BB152_8 Depth=1
	v_cmp_gt_u32_e32 vcc, s10, v0
	s_and_saveexec_b64 s[2:3], vcc
	s_cbranch_execz .LBB152_25
; %bb.19:                               ;   in Loop: Header=BB152_8 Depth=1
	s_ashr_i32 s27, s26, 31
	s_lshl_b64 s[28:29], s[26:27], 4
	s_cmp_gt_i32 s49, 0
	s_cselect_b64 s[30:31], -1, 0
	s_lshl_b64 s[4:5], s[10:11], 4
	s_add_u32 s34, s22, s4
	s_addc_u32 s35, s40, s5
	s_load_dwordx4 s[4:7], s[34:35], 0x0
	v_mul_lo_u32 v3, v0, s23
	s_mov_b64 s[34:35], 0
	v_mov_b32_e32 v13, v0
	s_branch .LBB152_22
.LBB152_20:                             ;   in Loop: Header=BB152_22 Depth=2
	v_mov_b32_e32 v4, 0
	v_mov_b32_e32 v6, 0
	;; [unrolled: 1-line block ×4, first 2 shown]
.LBB152_21:                             ;   in Loop: Header=BB152_22 Depth=2
	s_waitcnt lgkmcnt(0)
	v_mul_f64 v[8:9], v[4:5], s[6:7]
	v_mul_f64 v[14:15], v[6:7], s[6:7]
	v_lshlrev_b32_e32 v16, 4, v13
	v_add_u32_e32 v13, s19, v13
	v_cmp_le_u32_e32 vcc, s10, v13
	s_or_b64 s[34:35], vcc, s[34:35]
	v_add_u32_e32 v3, s46, v3
	v_fma_f64 v[8:9], v[6:7], s[4:5], -v[8:9]
	v_fma_f64 v[14:15], v[4:5], s[4:5], v[14:15]
	v_add_u32_e32 v4, s48, v16
	ds_read2_b64 v[4:7], v4 offset1:1
	s_waitcnt lgkmcnt(0)
	v_add_f64 v[4:5], v[4:5], v[8:9]
	v_add_f64 v[6:7], v[6:7], v[14:15]
	v_add_u32_e32 v8, 0, v16
	ds_write2_b64 v8, v[4:5], v[6:7] offset1:1
	s_andn2_b64 exec, exec, s[34:35]
	s_cbranch_execz .LBB152_25
.LBB152_22:                             ;   Parent Loop BB152_8 Depth=1
                                        ; =>  This Loop Header: Depth=2
                                        ;       Child Loop BB152_24 Depth 3
	s_andn2_b64 vcc, exec, s[30:31]
	s_cbranch_vccnz .LBB152_20
; %bb.23:                               ;   in Loop: Header=BB152_22 Depth=2
	v_ashrrev_i32_e32 v4, 31, v3
	v_lshlrev_b64 v[8:9], 4, v[3:4]
	v_mov_b32_e32 v4, 0
	v_mov_b32_e32 v6, 0
	v_mov_b32_e32 v5, 0
	s_mov_b32 s9, 0
	v_mov_b32_e32 v7, 0
	s_mov_b64 s[36:37], s[20:21]
.LBB152_24:                             ;   Parent Loop BB152_8 Depth=1
                                        ;     Parent Loop BB152_22 Depth=2
                                        ; =>    This Inner Loop Header: Depth=3
	v_mov_b32_e32 v15, s37
	v_add_co_u32_e32 v14, vcc, s36, v8
	v_addc_co_u32_e32 v15, vcc, v15, v9, vcc
	global_load_dwordx4 v[14:17], v[14:15], off offset:-8
	s_add_u32 s27, s36, s28
	s_addc_u32 s49, s37, s29
	s_add_u32 s50, s27, -8
	s_addc_u32 s51, s49, -1
	s_load_dwordx4 s[52:55], s[50:51], 0x0
	s_add_i32 s9, s9, 1
	s_add_u32 s36, s36, 16
	s_addc_u32 s37, s37, 0
	s_cmp_eq_u32 s16, s9
	s_waitcnt vmcnt(0) lgkmcnt(0)
	v_mul_f64 v[18:19], v[16:17], s[54:55]
	v_mul_f64 v[16:17], v[16:17], s[52:53]
	v_fma_f64 v[18:19], v[14:15], s[52:53], v[18:19]
	v_fma_f64 v[14:15], v[14:15], s[54:55], -v[16:17]
	v_add_f64 v[6:7], v[6:7], v[18:19]
	v_add_f64 v[4:5], v[4:5], v[14:15]
	s_cbranch_scc0 .LBB152_24
	s_branch .LBB152_21
.LBB152_25:                             ;   in Loop: Header=BB152_8 Depth=1
	s_or_b64 exec, exec, s[2:3]
.LBB152_26:                             ;   in Loop: Header=BB152_8 Depth=1
	v_cmp_gt_u32_e32 vcc, s10, v0
	s_waitcnt lgkmcnt(0)
	s_barrier
	s_and_saveexec_b64 s[2:3], vcc
	s_cbranch_execz .LBB152_7
; %bb.27:                               ;   in Loop: Header=BB152_8 Depth=1
	s_mov_b64 s[4:5], 0
	v_mov_b32_e32 v7, v12
	v_mov_b32_e32 v8, v11
	;; [unrolled: 1-line block ×3, first 2 shown]
.LBB152_28:                             ;   Parent Loop BB152_8 Depth=1
                                        ; =>  This Loop Header: Depth=2
                                        ;       Child Loop BB152_29 Depth 3
	v_mov_b32_e32 v3, 0
	v_mov_b32_e32 v5, 0
	;; [unrolled: 1-line block ×3, first 2 shown]
	s_mov_b64 s[6:7], 0
	v_mov_b32_e32 v13, v7
	v_mov_b32_e32 v14, v8
	;; [unrolled: 1-line block ×4, first 2 shown]
.LBB152_29:                             ;   Parent Loop BB152_8 Depth=1
                                        ;     Parent Loop BB152_28 Depth=2
                                        ; =>    This Inner Loop Header: Depth=3
	ds_read2_b64 v[16:19], v13 offset1:1
	ds_read2_b64 v[20:23], v14 offset1:1
	v_add_u32_e32 v15, 1, v15
	v_cmp_le_u32_e32 vcc, s10, v15
	v_add_u32_e32 v14, s41, v14
	s_or_b64 s[6:7], vcc, s[6:7]
	s_waitcnt lgkmcnt(0)
	v_mul_f64 v[24:25], v[18:19], v[22:23]
	v_mul_f64 v[22:23], v[16:17], v[22:23]
	v_add_u32_e32 v13, 16, v13
	v_fma_f64 v[16:17], v[16:17], v[20:21], -v[24:25]
	v_fma_f64 v[18:19], v[18:19], v[20:21], v[22:23]
	v_add_f64 v[3:4], v[3:4], v[16:17]
	v_add_f64 v[5:6], v[5:6], v[18:19]
	s_andn2_b64 exec, exec, s[6:7]
	s_cbranch_execnz .LBB152_29
; %bb.30:                               ;   in Loop: Header=BB152_28 Depth=2
	s_or_b64 exec, exec, s[6:7]
	v_lshl_add_u32 v13, v9, 4, s48
	v_add_u32_e32 v9, s19, v9
	v_cmp_le_u32_e32 vcc, s10, v9
	v_add_u32_e32 v8, s47, v8
	s_or_b64 s[4:5], vcc, s[4:5]
	v_add_u32_e32 v7, s45, v7
	ds_write2_b64 v13, v[3:4], v[5:6] offset1:1
	s_andn2_b64 exec, exec, s[4:5]
	s_cbranch_execnz .LBB152_28
	s_branch .LBB152_7
.LBB152_31:
	s_and_saveexec_b64 s[2:3], s[0:1]
	s_cbranch_execz .LBB152_36
; %bb.32:
	v_add_u32_e32 v1, 16, v10
	v_mul_lo_u32 v3, s18, v1
	v_mad_u64_u32 v[1:2], s[0:1], v0, s33, v[0:1]
	s_lshl_b32 s5, s18, 4
	s_add_i32 s4, s33, 1
	s_add_i32 s6, s5, 16
	s_mul_i32 s4, s4, s19
	v_add3_u32 v4, v3, v10, 0
	s_mul_i32 s6, s6, s19
	s_mov_b64 s[0:1], 0
	v_mov_b32_e32 v5, s39
.LBB152_33:                             ; =>This Loop Header: Depth=1
                                        ;     Child Loop BB152_34 Depth 2
	s_mov_b64 s[2:3], 0
	v_mov_b32_e32 v6, v4
	v_mov_b32_e32 v2, v1
	;; [unrolled: 1-line block ×3, first 2 shown]
.LBB152_34:                             ;   Parent Loop BB152_33 Depth=1
                                        ; =>  This Inner Loop Header: Depth=2
	v_ashrrev_i32_e32 v3, 31, v2
	ds_read2_b64 v[8:11], v6 offset1:1
	v_add_u32_e32 v7, 1, v7
	v_lshlrev_b64 v[12:13], 4, v[2:3]
	v_cmp_le_i32_e32 vcc, s18, v7
	s_or_b64 s[2:3], vcc, s[2:3]
	v_add_co_u32_e32 v12, vcc, s38, v12
	v_add_u32_e32 v6, s5, v6
	v_add_u32_e32 v2, s33, v2
	v_addc_co_u32_e32 v13, vcc, v5, v13, vcc
	s_waitcnt lgkmcnt(0)
	global_store_dwordx4 v[12:13], v[8:11], off
	s_andn2_b64 exec, exec, s[2:3]
	s_cbranch_execnz .LBB152_34
; %bb.35:                               ;   in Loop: Header=BB152_33 Depth=1
	s_or_b64 exec, exec, s[2:3]
	v_add_u32_e32 v0, s19, v0
	v_cmp_le_i32_e32 vcc, s18, v0
	v_add_u32_e32 v1, s4, v1
	s_or_b64 s[0:1], vcc, s[0:1]
	v_add_u32_e32 v4, s6, v4
	s_andn2_b64 exec, exec, s[0:1]
	s_cbranch_execnz .LBB152_33
.LBB152_36:
	s_endpgm
	.section	.rodata,"a",@progbits
	.p2align	6, 0x0
	.amdhsa_kernel _ZN9rocsolver6v33100L20larft_kernel_forwardI19rocblas_complex_numIdEPS3_EEv15rocblas_storev_iiT0_iilPT_lS8_il
		.amdhsa_group_segment_fixed_size 0
		.amdhsa_private_segment_fixed_size 0
		.amdhsa_kernarg_size 336
		.amdhsa_user_sgpr_count 6
		.amdhsa_user_sgpr_private_segment_buffer 1
		.amdhsa_user_sgpr_dispatch_ptr 0
		.amdhsa_user_sgpr_queue_ptr 0
		.amdhsa_user_sgpr_kernarg_segment_ptr 1
		.amdhsa_user_sgpr_dispatch_id 0
		.amdhsa_user_sgpr_flat_scratch_init 0
		.amdhsa_user_sgpr_private_segment_size 0
		.amdhsa_uses_dynamic_stack 0
		.amdhsa_system_sgpr_private_segment_wavefront_offset 0
		.amdhsa_system_sgpr_workgroup_id_x 1
		.amdhsa_system_sgpr_workgroup_id_y 1
		.amdhsa_system_sgpr_workgroup_id_z 0
		.amdhsa_system_sgpr_workgroup_info 0
		.amdhsa_system_vgpr_workitem_id 0
		.amdhsa_next_free_vgpr 26
		.amdhsa_next_free_sgpr 56
		.amdhsa_reserve_vcc 1
		.amdhsa_reserve_flat_scratch 0
		.amdhsa_float_round_mode_32 0
		.amdhsa_float_round_mode_16_64 0
		.amdhsa_float_denorm_mode_32 3
		.amdhsa_float_denorm_mode_16_64 3
		.amdhsa_dx10_clamp 1
		.amdhsa_ieee_mode 1
		.amdhsa_fp16_overflow 0
		.amdhsa_exception_fp_ieee_invalid_op 0
		.amdhsa_exception_fp_denorm_src 0
		.amdhsa_exception_fp_ieee_div_zero 0
		.amdhsa_exception_fp_ieee_overflow 0
		.amdhsa_exception_fp_ieee_underflow 0
		.amdhsa_exception_fp_ieee_inexact 0
		.amdhsa_exception_int_div_zero 0
	.end_amdhsa_kernel
	.section	.text._ZN9rocsolver6v33100L20larft_kernel_forwardI19rocblas_complex_numIdEPS3_EEv15rocblas_storev_iiT0_iilPT_lS8_il,"axG",@progbits,_ZN9rocsolver6v33100L20larft_kernel_forwardI19rocblas_complex_numIdEPS3_EEv15rocblas_storev_iiT0_iilPT_lS8_il,comdat
.Lfunc_end152:
	.size	_ZN9rocsolver6v33100L20larft_kernel_forwardI19rocblas_complex_numIdEPS3_EEv15rocblas_storev_iiT0_iilPT_lS8_il, .Lfunc_end152-_ZN9rocsolver6v33100L20larft_kernel_forwardI19rocblas_complex_numIdEPS3_EEv15rocblas_storev_iiT0_iilPT_lS8_il
                                        ; -- End function
	.set _ZN9rocsolver6v33100L20larft_kernel_forwardI19rocblas_complex_numIdEPS3_EEv15rocblas_storev_iiT0_iilPT_lS8_il.num_vgpr, 26
	.set _ZN9rocsolver6v33100L20larft_kernel_forwardI19rocblas_complex_numIdEPS3_EEv15rocblas_storev_iiT0_iilPT_lS8_il.num_agpr, 0
	.set _ZN9rocsolver6v33100L20larft_kernel_forwardI19rocblas_complex_numIdEPS3_EEv15rocblas_storev_iiT0_iilPT_lS8_il.numbered_sgpr, 56
	.set _ZN9rocsolver6v33100L20larft_kernel_forwardI19rocblas_complex_numIdEPS3_EEv15rocblas_storev_iiT0_iilPT_lS8_il.num_named_barrier, 0
	.set _ZN9rocsolver6v33100L20larft_kernel_forwardI19rocblas_complex_numIdEPS3_EEv15rocblas_storev_iiT0_iilPT_lS8_il.private_seg_size, 0
	.set _ZN9rocsolver6v33100L20larft_kernel_forwardI19rocblas_complex_numIdEPS3_EEv15rocblas_storev_iiT0_iilPT_lS8_il.uses_vcc, 1
	.set _ZN9rocsolver6v33100L20larft_kernel_forwardI19rocblas_complex_numIdEPS3_EEv15rocblas_storev_iiT0_iilPT_lS8_il.uses_flat_scratch, 0
	.set _ZN9rocsolver6v33100L20larft_kernel_forwardI19rocblas_complex_numIdEPS3_EEv15rocblas_storev_iiT0_iilPT_lS8_il.has_dyn_sized_stack, 0
	.set _ZN9rocsolver6v33100L20larft_kernel_forwardI19rocblas_complex_numIdEPS3_EEv15rocblas_storev_iiT0_iilPT_lS8_il.has_recursion, 0
	.set _ZN9rocsolver6v33100L20larft_kernel_forwardI19rocblas_complex_numIdEPS3_EEv15rocblas_storev_iiT0_iilPT_lS8_il.has_indirect_call, 0
	.section	.AMDGPU.csdata,"",@progbits
; Kernel info:
; codeLenInByte = 1744
; TotalNumSgprs: 60
; NumVgprs: 26
; ScratchSize: 0
; MemoryBound: 0
; FloatMode: 240
; IeeeMode: 1
; LDSByteSize: 0 bytes/workgroup (compile time only)
; SGPRBlocks: 7
; VGPRBlocks: 6
; NumSGPRsForWavesPerEU: 60
; NumVGPRsForWavesPerEU: 26
; Occupancy: 9
; WaveLimiterHint : 0
; COMPUTE_PGM_RSRC2:SCRATCH_EN: 0
; COMPUTE_PGM_RSRC2:USER_SGPR: 6
; COMPUTE_PGM_RSRC2:TRAP_HANDLER: 0
; COMPUTE_PGM_RSRC2:TGID_X_EN: 1
; COMPUTE_PGM_RSRC2:TGID_Y_EN: 1
; COMPUTE_PGM_RSRC2:TGID_Z_EN: 0
; COMPUTE_PGM_RSRC2:TIDIG_COMP_CNT: 0
	.section	.text._ZN9rocsolver6v33100L21larft_kernel_backwardI19rocblas_complex_numIdEPS3_EEv15rocblas_storev_iiT0_iilPT_lS8_il,"axG",@progbits,_ZN9rocsolver6v33100L21larft_kernel_backwardI19rocblas_complex_numIdEPS3_EEv15rocblas_storev_iiT0_iilPT_lS8_il,comdat
	.globl	_ZN9rocsolver6v33100L21larft_kernel_backwardI19rocblas_complex_numIdEPS3_EEv15rocblas_storev_iiT0_iilPT_lS8_il ; -- Begin function _ZN9rocsolver6v33100L21larft_kernel_backwardI19rocblas_complex_numIdEPS3_EEv15rocblas_storev_iiT0_iilPT_lS8_il
	.p2align	8
	.type	_ZN9rocsolver6v33100L21larft_kernel_backwardI19rocblas_complex_numIdEPS3_EEv15rocblas_storev_iiT0_iilPT_lS8_il,@function
_ZN9rocsolver6v33100L21larft_kernel_backwardI19rocblas_complex_numIdEPS3_EEv15rocblas_storev_iiT0_iilPT_lS8_il: ; @_ZN9rocsolver6v33100L21larft_kernel_backwardI19rocblas_complex_numIdEPS3_EEv15rocblas_storev_iiT0_iilPT_lS8_il
; %bb.0:
	s_load_dword s2, s[4:5], 0x5c
	s_load_dword s30, s[4:5], 0x40
	s_load_dwordx2 s[0:1], s[4:5], 0x48
	s_load_dwordx4 s[16:19], s[4:5], 0x0
	s_load_dwordx8 s[8:15], s[4:5], 0x20
	s_ashr_i32 s6, s7, 31
	s_waitcnt lgkmcnt(0)
	s_and_b32 s19, s2, 0xffff
	s_mul_hi_u32 s2, s0, s7
	s_mul_i32 s3, s0, s6
	s_add_i32 s2, s2, s3
	s_mul_i32 s1, s1, s7
	s_add_i32 s1, s2, s1
	s_mul_i32 s0, s0, s7
	s_lshl_b64 s[0:1], s[0:1], 4
	s_add_u32 s31, s14, s0
	s_addc_u32 s33, s15, s1
	v_cmp_gt_i32_e64 s[0:1], s18, v0
	v_add_u32_e32 v10, 1, v0
	s_and_saveexec_b64 s[2:3], s[0:1]
	s_cbranch_execz .LBB153_5
; %bb.1:
	s_lshl_b32 s22, s18, 4
	s_add_i32 s14, s22, 0
	v_add_u32_e32 v3, 1, v0
	v_lshl_add_u32 v4, v0, 4, s14
	s_lshl_b32 s23, s19, 4
	s_mov_b64 s[14:15], 0
	v_mov_b32_e32 v5, s33
	v_mov_b32_e32 v6, v0
.LBB153_2:                              ; =>This Loop Header: Depth=1
                                        ;     Child Loop BB153_3 Depth 2
	s_mov_b64 s[20:21], 0
	v_mov_b32_e32 v1, v6
	v_mov_b32_e32 v7, v4
	s_mov_b32 s24, 0
.LBB153_3:                              ;   Parent Loop BB153_2 Depth=1
                                        ; =>  This Inner Loop Header: Depth=2
	v_ashrrev_i32_e32 v2, 31, v1
	v_lshlrev_b64 v[8:9], 4, v[1:2]
	s_add_i32 s24, s24, 1
	v_add_co_u32_e32 v8, vcc, s31, v8
	v_addc_co_u32_e32 v9, vcc, v5, v9, vcc
	global_load_dwordx4 v[11:14], v[8:9], off
	v_cmp_eq_u32_e32 vcc, s24, v3
	v_add_u32_e32 v1, s30, v1
	s_or_b64 s[20:21], vcc, s[20:21]
	s_waitcnt vmcnt(0)
	ds_write2_b64 v7, v[11:12], v[13:14] offset1:1
	v_add_u32_e32 v7, s22, v7
	s_andn2_b64 exec, exec, s[20:21]
	s_cbranch_execnz .LBB153_3
; %bb.4:                                ;   in Loop: Header=BB153_2 Depth=1
	s_or_b64 exec, exec, s[20:21]
	v_add_u32_e32 v6, s19, v6
	v_cmp_le_i32_e32 vcc, s18, v6
	v_add_u32_e32 v3, s19, v3
	s_or_b64 s[14:15], vcc, s[14:15]
	v_add_u32_e32 v4, s23, v4
	s_andn2_b64 exec, exec, s[14:15]
	s_cbranch_execnz .LBB153_2
.LBB153_5:
	s_or_b64 exec, exec, s[2:3]
	s_cmp_lt_i32 s18, 2
	s_waitcnt lgkmcnt(0)
	s_barrier
	s_cbranch_scc1 .LBB153_31
; %bb.6:
	s_load_dwordx4 s[20:23], s[4:5], 0x10
	s_mul_i32 s2, s12, s6
	s_mul_hi_u32 s3, s12, s7
	s_add_i32 s4, s3, s2
	s_mul_i32 s5, s13, s7
	s_add_i32 s5, s4, s5
	s_mul_i32 s4, s12, s7
	s_waitcnt lgkmcnt(0)
	s_ashr_i32 s3, s22, 31
	s_lshl_b64 s[4:5], s[4:5], 4
	s_mov_b32 s2, s22
	s_add_u32 s22, s10, s4
	s_addc_u32 s34, s11, s5
	s_lshl_b32 s35, s18, 4
	s_add_i32 s36, s35, 0
	s_add_i32 s10, s18, -2
	s_sub_i32 s37, s17, s18
	s_cmpk_lg_i32 s16, 0xb5
	s_mul_i32 s4, s8, s6
	s_mul_hi_u32 s5, s8, s7
	s_cselect_b64 s[12:13], -1, 0
	s_add_i32 s4, s5, s4
	s_mul_i32 s5, s9, s7
	s_add_i32 s5, s4, s5
	s_mul_i32 s4, s8, s7
	s_add_i32 s38, s17, -2
	s_lshl_b64 s[4:5], s[4:5], 4
	s_lshl_b64 s[2:3], s[2:3], 4
	s_mov_b32 s11, 0
	s_add_u32 s6, s4, s2
	s_addc_u32 s7, s5, s3
	s_lshl_b64 s[2:3], s[10:11], 4
	s_add_u32 s4, s20, s2
	s_addc_u32 s5, s21, s3
	s_add_u32 s4, s4, s6
	v_lshlrev_b32_e32 v3, 4, v0
	s_addc_u32 s5, s5, s7
	v_mov_b32_e32 v1, s5
	v_add_co_u32_e32 v2, vcc, s4, v3
	s_ashr_i32 s5, s23, 31
	s_mov_b32 s4, s23
	s_lshl_b32 s39, s19, 4
	s_lshl_b64 s[8:9], s[4:5], 4
	s_add_u32 s2, s6, s2
	s_addc_u32 s3, s7, s3
	s_add_u32 s2, s20, s2
	s_addc_u32 s3, s21, s3
	;; [unrolled: 2-line block ×5, first 2 shown]
	s_add_i32 s2, s18, -1
	s_mul_i32 s16, s23, s2
	s_add_i32 s2, s35, 16
	v_addc_co_u32_e32 v4, vcc, 0, v1, vcc
	s_mul_i32 s2, s18, s2
	v_add_co_u32_e32 v1, vcc, 24, v2
	s_add_i32 s2, s2, 0
	v_addc_co_u32_e32 v2, vcc, 0, v4, vcc
	s_mul_i32 s14, s23, s10
	s_mul_i32 s44, s23, s19
	v_add3_u32 v11, s2, v3, -16
	s_xor_b32 s45, s35, -16
	s_branch .LBB153_8
.LBB153_7:                              ;   in Loop: Header=BB153_8 Depth=1
	s_or_b64 exec, exec, s[2:3]
	s_add_i32 s2, s10, -1
	s_add_i32 s38, s38, -1
	s_add_u32 s40, s40, -16
	v_add_co_u32_e32 v1, vcc, -16, v1
	s_addc_u32 s41, s41, -1
	s_sub_i32 s14, s14, s23
	s_sub_i32 s16, s16, s23
	v_addc_co_u32_e32 v2, vcc, -1, v2, vcc
	v_add_u32_e32 v11, s45, v11
	s_cmp_lt_i32 s10, 1
	s_mov_b32 s10, s2
	s_waitcnt lgkmcnt(0)
	s_barrier
	s_cbranch_scc1 .LBB153_31
.LBB153_8:                              ; =>This Loop Header: Depth=1
                                        ;     Child Loop BB153_13 Depth 2
                                        ;       Child Loop BB153_15 Depth 3
                                        ;     Child Loop BB153_22 Depth 2
                                        ;       Child Loop BB153_24 Depth 3
	;; [unrolled: 2-line block ×3, first 2 shown]
	s_not_b32 s2, s10
	s_add_i32 s46, s18, s2
	s_lshl_b32 s2, s10, 4
	s_add_i32 s47, s36, s2
	s_mul_i32 s2, s10, s18
	s_lshl_b32 s2, s2, 4
	s_add_i32 s28, s10, s37
	s_add_i32 s47, s47, s2
	s_mov_b64 s[4:5], -1
	s_and_b64 vcc, exec, s[12:13]
	v_cmp_gt_i32_e64 s[2:3], s46, v0
	s_cbranch_vccz .LBB153_17
; %bb.9:                                ;   in Loop: Header=BB153_8 Depth=1
	s_and_saveexec_b64 s[20:21], s[2:3]
	s_cbranch_execz .LBB153_16
; %bb.10:                               ;   in Loop: Header=BB153_8 Depth=1
	s_cmp_gt_i32 s28, 0
	s_cselect_b64 s[2:3], -1, 0
	s_lshl_b64 s[4:5], s[10:11], 4
	s_add_u32 s24, s22, s4
	s_addc_u32 s25, s34, s5
	s_load_dwordx4 s[4:7], s[24:25], 0x0
	v_cndmask_b32_e64 v3, 0, 1, s[2:3]
	v_cmp_ne_u32_e64 s[2:3], 1, v3
	v_mov_b32_e32 v4, v2
	s_mov_b64 s[24:25], 0
	v_mov_b32_e32 v3, v1
	v_mov_b32_e32 v9, v0
	s_branch .LBB153_13
.LBB153_11:                             ;   in Loop: Header=BB153_13 Depth=2
	v_mov_b32_e32 v7, 0
	v_mov_b32_e32 v8, 0
.LBB153_12:                             ;   in Loop: Header=BB153_13 Depth=2
	s_waitcnt lgkmcnt(0)
	v_mul_f64 v[12:13], v[5:6], s[6:7]
	v_mul_f64 v[14:15], v[7:8], s[6:7]
	v_lshlrev_b32_e32 v16, 4, v9
	v_add_u32_e32 v9, s19, v9
	v_cmp_le_i32_e32 vcc, s46, v9
	s_or_b64 s[24:25], vcc, s[24:25]
	v_add_co_u32_e32 v3, vcc, s39, v3
	v_fma_f64 v[12:13], v[7:8], s[4:5], -v[12:13]
	v_fma_f64 v[14:15], v[5:6], s[4:5], v[14:15]
	v_add_u32_e32 v5, s47, v16
	ds_read2_b64 v[5:8], v5 offset0:2 offset1:3
	v_addc_co_u32_e32 v4, vcc, 0, v4, vcc
	s_waitcnt lgkmcnt(0)
	v_add_f64 v[5:6], v[5:6], v[12:13]
	v_add_f64 v[7:8], v[7:8], v[14:15]
	v_add_u32_e32 v12, 0, v16
	ds_write2_b64 v12, v[5:6], v[7:8] offset1:1
	s_andn2_b64 exec, exec, s[24:25]
	s_cbranch_execz .LBB153_16
.LBB153_13:                             ;   Parent Loop BB153_8 Depth=1
                                        ; =>  This Loop Header: Depth=2
                                        ;       Child Loop BB153_15 Depth 3
	v_mov_b32_e32 v5, 0
	v_mov_b32_e32 v6, 0
	s_and_b64 vcc, exec, s[2:3]
	s_cbranch_vccnz .LBB153_11
; %bb.14:                               ;   in Loop: Header=BB153_13 Depth=2
	v_mov_b32_e32 v7, 0
	s_mov_b32 s15, 0
	v_mov_b32_e32 v8, 0
	s_mov_b64 s[26:27], 0
.LBB153_15:                             ;   Parent Loop BB153_8 Depth=1
                                        ;     Parent Loop BB153_13 Depth=2
                                        ; =>    This Inner Loop Header: Depth=3
	v_mov_b32_e32 v13, s27
	v_add_co_u32_e32 v12, vcc, s26, v3
	v_addc_co_u32_e32 v13, vcc, v4, v13, vcc
	global_load_dwordx4 v[12:15], v[12:13], off offset:-8
	s_add_u32 s17, s40, s26
	s_addc_u32 s29, s41, s27
	s_add_u32 s52, s17, -8
	s_addc_u32 s53, s29, -1
	s_load_dwordx4 s[48:51], s[52:53], 0x0
	s_add_i32 s15, s15, 1
	s_add_u32 s26, s26, s8
	s_addc_u32 s27, s27, s9
	s_cmp_eq_u32 s38, s15
	s_waitcnt vmcnt(0) lgkmcnt(0)
	v_mul_f64 v[16:17], s[50:51], v[14:15]
	v_mul_f64 v[18:19], s[50:51], v[12:13]
	v_fma_f64 v[12:13], s[48:49], v[12:13], v[16:17]
	v_fma_f64 v[14:15], s[48:49], v[14:15], -v[18:19]
	v_add_f64 v[7:8], v[7:8], v[12:13]
	v_add_f64 v[5:6], v[5:6], v[14:15]
	s_cbranch_scc0 .LBB153_15
	s_branch .LBB153_12
.LBB153_16:                             ;   in Loop: Header=BB153_8 Depth=1
	s_or_b64 exec, exec, s[20:21]
	s_mov_b64 s[4:5], 0
.LBB153_17:                             ;   in Loop: Header=BB153_8 Depth=1
	s_andn2_b64 vcc, exec, s[4:5]
	s_cbranch_vccnz .LBB153_26
; %bb.18:                               ;   in Loop: Header=BB153_8 Depth=1
	v_cmp_gt_i32_e32 vcc, s46, v0
	s_and_saveexec_b64 s[2:3], vcc
	s_cbranch_execz .LBB153_25
; %bb.19:                               ;   in Loop: Header=BB153_8 Depth=1
	s_ashr_i32 s15, s14, 31
	s_lshl_b64 s[4:5], s[14:15], 4
	s_add_u32 s20, s42, s4
	s_addc_u32 s21, s43, s5
	s_ashr_i32 s17, s16, 31
	s_lshl_b64 s[26:27], s[16:17], 4
	s_cmp_gt_i32 s28, 0
	s_cselect_b64 s[24:25], -1, 0
	s_lshl_b64 s[4:5], s[10:11], 4
	s_add_u32 s28, s22, s4
	s_addc_u32 s29, s34, s5
	s_load_dwordx4 s[4:7], s[28:29], 0x0
	v_mul_lo_u32 v3, v0, s23
	s_add_u32 s15, s42, s26
	s_addc_u32 s17, s43, s27
	s_mov_b64 s[26:27], 0
	v_mov_b32_e32 v12, v0
	s_branch .LBB153_22
.LBB153_20:                             ;   in Loop: Header=BB153_22 Depth=2
	v_mov_b32_e32 v4, 0
	v_mov_b32_e32 v6, 0
	;; [unrolled: 1-line block ×4, first 2 shown]
.LBB153_21:                             ;   in Loop: Header=BB153_22 Depth=2
	s_waitcnt lgkmcnt(0)
	v_mul_f64 v[8:9], v[4:5], s[6:7]
	v_mul_f64 v[13:14], v[6:7], s[6:7]
	v_lshlrev_b32_e32 v15, 4, v12
	v_add_u32_e32 v12, s19, v12
	v_cmp_le_i32_e32 vcc, s46, v12
	s_or_b64 s[26:27], vcc, s[26:27]
	v_add_u32_e32 v3, s44, v3
	v_fma_f64 v[8:9], v[6:7], s[4:5], -v[8:9]
	v_fma_f64 v[13:14], v[4:5], s[4:5], v[13:14]
	v_add_u32_e32 v4, s47, v15
	ds_read2_b64 v[4:7], v4 offset0:2 offset1:3
	s_waitcnt lgkmcnt(0)
	v_add_f64 v[4:5], v[4:5], v[8:9]
	v_add_f64 v[6:7], v[6:7], v[13:14]
	v_add_u32_e32 v8, 0, v15
	ds_write2_b64 v8, v[4:5], v[6:7] offset1:1
	s_andn2_b64 exec, exec, s[26:27]
	s_cbranch_execz .LBB153_25
.LBB153_22:                             ;   Parent Loop BB153_8 Depth=1
                                        ; =>  This Loop Header: Depth=2
                                        ;       Child Loop BB153_24 Depth 3
	s_andn2_b64 vcc, exec, s[24:25]
	s_cbranch_vccnz .LBB153_20
; %bb.23:                               ;   in Loop: Header=BB153_22 Depth=2
	v_ashrrev_i32_e32 v4, 31, v3
	v_lshlrev_b64 v[4:5], 4, v[3:4]
	v_mov_b32_e32 v6, s17
	v_add_co_u32_e32 v8, vcc, s15, v4
	v_addc_co_u32_e32 v9, vcc, v6, v5, vcc
	v_mov_b32_e32 v4, 0
	v_mov_b32_e32 v6, 0
	;; [unrolled: 1-line block ×3, first 2 shown]
	s_mov_b32 s48, 0
	v_mov_b32_e32 v7, 0
	s_mov_b64 s[28:29], s[20:21]
.LBB153_24:                             ;   Parent Loop BB153_8 Depth=1
                                        ;     Parent Loop BB153_22 Depth=2
                                        ; =>    This Inner Loop Header: Depth=3
	global_load_dwordx4 v[13:16], v[8:9], off offset:-8
	s_add_u32 s50, s28, -8
	s_addc_u32 s51, s29, -1
	s_load_dwordx4 s[52:55], s[50:51], 0x0
	s_add_i32 s48, s48, 1
	s_add_u32 s28, s28, 16
	v_add_co_u32_e32 v8, vcc, 16, v8
	s_addc_u32 s29, s29, 0
	s_cmp_eq_u32 s38, s48
	v_addc_co_u32_e32 v9, vcc, 0, v9, vcc
	s_waitcnt vmcnt(0) lgkmcnt(0)
	v_mul_f64 v[17:18], v[15:16], s[54:55]
	v_mul_f64 v[15:16], v[15:16], s[52:53]
	v_fma_f64 v[17:18], v[13:14], s[52:53], v[17:18]
	v_fma_f64 v[13:14], v[13:14], s[54:55], -v[15:16]
	v_add_f64 v[6:7], v[6:7], v[17:18]
	v_add_f64 v[4:5], v[4:5], v[13:14]
	s_cbranch_scc0 .LBB153_24
	s_branch .LBB153_21
.LBB153_25:                             ;   in Loop: Header=BB153_8 Depth=1
	s_or_b64 exec, exec, s[2:3]
.LBB153_26:                             ;   in Loop: Header=BB153_8 Depth=1
	v_cmp_gt_i32_e32 vcc, s46, v0
	s_waitcnt lgkmcnt(0)
	s_barrier
	s_and_saveexec_b64 s[2:3], vcc
	s_cbranch_execz .LBB153_7
; %bb.27:                               ;   in Loop: Header=BB153_8 Depth=1
	s_mov_b64 s[4:5], 0
	v_mov_b32_e32 v7, v11
	v_mov_b32_e32 v8, v0
.LBB153_28:                             ;   Parent Loop BB153_8 Depth=1
                                        ; =>  This Loop Header: Depth=2
                                        ;       Child Loop BB153_29 Depth 3
	v_mov_b32_e32 v3, 0
	v_mov_b32_e32 v5, 0
	v_mov_b32_e32 v4, 0
	s_mov_b32 s15, -1
	s_mov_b32 s17, 0
	s_mov_b64 s[6:7], 0
	v_mov_b32_e32 v6, 0
	v_mov_b32_e32 v9, v7
.LBB153_29:                             ;   Parent Loop BB153_8 Depth=1
                                        ;     Parent Loop BB153_28 Depth=2
                                        ; =>    This Inner Loop Header: Depth=3
	v_mov_b32_e32 v16, s17
	ds_read2_b64 v[12:15], v9 offset1:1
	ds_read2_b64 v[16:19], v16 offset1:1
	s_add_i32 s15, s15, 1
	s_add_i32 s17, s17, 16
	v_cmp_eq_u32_e32 vcc, s15, v8
	s_or_b64 s[6:7], vcc, s[6:7]
	s_waitcnt lgkmcnt(0)
	v_mul_f64 v[20:21], v[18:19], v[14:15]
	v_mul_f64 v[14:15], v[16:17], v[14:15]
	v_add_u32_e32 v9, s35, v9
	v_fma_f64 v[16:17], v[16:17], v[12:13], -v[20:21]
	v_fma_f64 v[12:13], v[18:19], v[12:13], v[14:15]
	v_add_f64 v[3:4], v[3:4], v[16:17]
	v_add_f64 v[5:6], v[5:6], v[12:13]
	s_andn2_b64 exec, exec, s[6:7]
	s_cbranch_execnz .LBB153_29
; %bb.30:                               ;   in Loop: Header=BB153_28 Depth=2
	s_or_b64 exec, exec, s[6:7]
	v_lshl_add_u32 v9, v8, 4, s47
	v_add_u32_e32 v8, s19, v8
	v_cmp_le_i32_e32 vcc, s46, v8
	s_or_b64 s[4:5], vcc, s[4:5]
	v_add_u32_e32 v7, s39, v7
	ds_write2_b64 v9, v[3:4], v[5:6] offset0:2 offset1:3
	s_andn2_b64 exec, exec, s[4:5]
	s_cbranch_execnz .LBB153_28
	s_branch .LBB153_7
.LBB153_31:
	s_and_saveexec_b64 s[2:3], s[0:1]
	s_cbranch_execz .LBB153_36
; %bb.32:
	s_lshl_b32 s4, s18, 4
	s_add_i32 s0, s4, 0
	v_lshl_add_u32 v3, v0, 4, s0
	s_lshl_b32 s5, s19, 4
	s_mov_b64 s[0:1], 0
	v_mov_b32_e32 v4, s33
.LBB153_33:                             ; =>This Loop Header: Depth=1
                                        ;     Child Loop BB153_34 Depth 2
	s_mov_b64 s[2:3], 0
	v_mov_b32_e32 v5, v3
	v_mov_b32_e32 v1, v0
	s_mov_b32 s6, 0
.LBB153_34:                             ;   Parent Loop BB153_33 Depth=1
                                        ; =>  This Inner Loop Header: Depth=2
	v_ashrrev_i32_e32 v2, 31, v1
	ds_read2_b64 v[6:9], v5 offset1:1
	s_add_i32 s6, s6, 1
	v_lshlrev_b64 v[11:12], 4, v[1:2]
	v_cmp_eq_u32_e32 vcc, s6, v10
	s_or_b64 s[2:3], vcc, s[2:3]
	v_add_co_u32_e32 v11, vcc, s31, v11
	v_add_u32_e32 v5, s4, v5
	v_add_u32_e32 v1, s30, v1
	v_addc_co_u32_e32 v12, vcc, v4, v12, vcc
	s_waitcnt lgkmcnt(0)
	global_store_dwordx4 v[11:12], v[6:9], off
	s_andn2_b64 exec, exec, s[2:3]
	s_cbranch_execnz .LBB153_34
; %bb.35:                               ;   in Loop: Header=BB153_33 Depth=1
	s_or_b64 exec, exec, s[2:3]
	v_add_u32_e32 v0, s19, v0
	v_cmp_le_i32_e32 vcc, s18, v0
	v_add_u32_e32 v10, s19, v10
	s_or_b64 s[0:1], vcc, s[0:1]
	v_add_u32_e32 v3, s5, v3
	s_andn2_b64 exec, exec, s[0:1]
	s_cbranch_execnz .LBB153_33
.LBB153_36:
	s_endpgm
	.section	.rodata,"a",@progbits
	.p2align	6, 0x0
	.amdhsa_kernel _ZN9rocsolver6v33100L21larft_kernel_backwardI19rocblas_complex_numIdEPS3_EEv15rocblas_storev_iiT0_iilPT_lS8_il
		.amdhsa_group_segment_fixed_size 0
		.amdhsa_private_segment_fixed_size 0
		.amdhsa_kernarg_size 336
		.amdhsa_user_sgpr_count 6
		.amdhsa_user_sgpr_private_segment_buffer 1
		.amdhsa_user_sgpr_dispatch_ptr 0
		.amdhsa_user_sgpr_queue_ptr 0
		.amdhsa_user_sgpr_kernarg_segment_ptr 1
		.amdhsa_user_sgpr_dispatch_id 0
		.amdhsa_user_sgpr_flat_scratch_init 0
		.amdhsa_user_sgpr_private_segment_size 0
		.amdhsa_uses_dynamic_stack 0
		.amdhsa_system_sgpr_private_segment_wavefront_offset 0
		.amdhsa_system_sgpr_workgroup_id_x 1
		.amdhsa_system_sgpr_workgroup_id_y 1
		.amdhsa_system_sgpr_workgroup_id_z 0
		.amdhsa_system_sgpr_workgroup_info 0
		.amdhsa_system_vgpr_workitem_id 0
		.amdhsa_next_free_vgpr 22
		.amdhsa_next_free_sgpr 56
		.amdhsa_reserve_vcc 1
		.amdhsa_reserve_flat_scratch 0
		.amdhsa_float_round_mode_32 0
		.amdhsa_float_round_mode_16_64 0
		.amdhsa_float_denorm_mode_32 3
		.amdhsa_float_denorm_mode_16_64 3
		.amdhsa_dx10_clamp 1
		.amdhsa_ieee_mode 1
		.amdhsa_fp16_overflow 0
		.amdhsa_exception_fp_ieee_invalid_op 0
		.amdhsa_exception_fp_denorm_src 0
		.amdhsa_exception_fp_ieee_div_zero 0
		.amdhsa_exception_fp_ieee_overflow 0
		.amdhsa_exception_fp_ieee_underflow 0
		.amdhsa_exception_fp_ieee_inexact 0
		.amdhsa_exception_int_div_zero 0
	.end_amdhsa_kernel
	.section	.text._ZN9rocsolver6v33100L21larft_kernel_backwardI19rocblas_complex_numIdEPS3_EEv15rocblas_storev_iiT0_iilPT_lS8_il,"axG",@progbits,_ZN9rocsolver6v33100L21larft_kernel_backwardI19rocblas_complex_numIdEPS3_EEv15rocblas_storev_iiT0_iilPT_lS8_il,comdat
.Lfunc_end153:
	.size	_ZN9rocsolver6v33100L21larft_kernel_backwardI19rocblas_complex_numIdEPS3_EEv15rocblas_storev_iiT0_iilPT_lS8_il, .Lfunc_end153-_ZN9rocsolver6v33100L21larft_kernel_backwardI19rocblas_complex_numIdEPS3_EEv15rocblas_storev_iiT0_iilPT_lS8_il
                                        ; -- End function
	.set _ZN9rocsolver6v33100L21larft_kernel_backwardI19rocblas_complex_numIdEPS3_EEv15rocblas_storev_iiT0_iilPT_lS8_il.num_vgpr, 22
	.set _ZN9rocsolver6v33100L21larft_kernel_backwardI19rocblas_complex_numIdEPS3_EEv15rocblas_storev_iiT0_iilPT_lS8_il.num_agpr, 0
	.set _ZN9rocsolver6v33100L21larft_kernel_backwardI19rocblas_complex_numIdEPS3_EEv15rocblas_storev_iiT0_iilPT_lS8_il.numbered_sgpr, 56
	.set _ZN9rocsolver6v33100L21larft_kernel_backwardI19rocblas_complex_numIdEPS3_EEv15rocblas_storev_iiT0_iilPT_lS8_il.num_named_barrier, 0
	.set _ZN9rocsolver6v33100L21larft_kernel_backwardI19rocblas_complex_numIdEPS3_EEv15rocblas_storev_iiT0_iilPT_lS8_il.private_seg_size, 0
	.set _ZN9rocsolver6v33100L21larft_kernel_backwardI19rocblas_complex_numIdEPS3_EEv15rocblas_storev_iiT0_iilPT_lS8_il.uses_vcc, 1
	.set _ZN9rocsolver6v33100L21larft_kernel_backwardI19rocblas_complex_numIdEPS3_EEv15rocblas_storev_iiT0_iilPT_lS8_il.uses_flat_scratch, 0
	.set _ZN9rocsolver6v33100L21larft_kernel_backwardI19rocblas_complex_numIdEPS3_EEv15rocblas_storev_iiT0_iilPT_lS8_il.has_dyn_sized_stack, 0
	.set _ZN9rocsolver6v33100L21larft_kernel_backwardI19rocblas_complex_numIdEPS3_EEv15rocblas_storev_iiT0_iilPT_lS8_il.has_recursion, 0
	.set _ZN9rocsolver6v33100L21larft_kernel_backwardI19rocblas_complex_numIdEPS3_EEv15rocblas_storev_iiT0_iilPT_lS8_il.has_indirect_call, 0
	.section	.AMDGPU.csdata,"",@progbits
; Kernel info:
; codeLenInByte = 1780
; TotalNumSgprs: 60
; NumVgprs: 22
; ScratchSize: 0
; MemoryBound: 1
; FloatMode: 240
; IeeeMode: 1
; LDSByteSize: 0 bytes/workgroup (compile time only)
; SGPRBlocks: 7
; VGPRBlocks: 5
; NumSGPRsForWavesPerEU: 60
; NumVGPRsForWavesPerEU: 22
; Occupancy: 10
; WaveLimiterHint : 0
; COMPUTE_PGM_RSRC2:SCRATCH_EN: 0
; COMPUTE_PGM_RSRC2:USER_SGPR: 6
; COMPUTE_PGM_RSRC2:TRAP_HANDLER: 0
; COMPUTE_PGM_RSRC2:TGID_X_EN: 1
; COMPUTE_PGM_RSRC2:TGID_Y_EN: 1
; COMPUTE_PGM_RSRC2:TGID_Z_EN: 0
; COMPUTE_PGM_RSRC2:TIDIG_COMP_CNT: 0
	.section	.text._ZN9rocsolver6v33100L9copymatA1I19rocblas_complex_numIdEPS3_EEviiT0_iilPT_,"axG",@progbits,_ZN9rocsolver6v33100L9copymatA1I19rocblas_complex_numIdEPS3_EEviiT0_iilPT_,comdat
	.globl	_ZN9rocsolver6v33100L9copymatA1I19rocblas_complex_numIdEPS3_EEviiT0_iilPT_ ; -- Begin function _ZN9rocsolver6v33100L9copymatA1I19rocblas_complex_numIdEPS3_EEviiT0_iilPT_
	.p2align	8
	.type	_ZN9rocsolver6v33100L9copymatA1I19rocblas_complex_numIdEPS3_EEviiT0_iilPT_,@function
_ZN9rocsolver6v33100L9copymatA1I19rocblas_complex_numIdEPS3_EEviiT0_iilPT_: ; @_ZN9rocsolver6v33100L9copymatA1I19rocblas_complex_numIdEPS3_EEviiT0_iilPT_
; %bb.0:
	s_load_dword s0, s[4:5], 0x34
	s_load_dwordx2 s[2:3], s[4:5], 0x0
	s_waitcnt lgkmcnt(0)
	s_lshr_b32 s1, s0, 16
	s_and_b32 s0, s0, 0xffff
	s_mul_i32 s6, s6, s0
	s_mul_i32 s7, s7, s1
	v_add_u32_e32 v2, s6, v0
	v_add_u32_e32 v0, s7, v1
	v_cmp_gt_u32_e32 vcc, s2, v0
	v_cmp_gt_u32_e64 s[0:1], s3, v2
	s_and_b64 s[0:1], s[0:1], vcc
	s_and_saveexec_b64 s[6:7], s[0:1]
	s_cbranch_execz .LBB154_2
; %bb.1:
	s_ashr_i32 s0, s2, 31
	s_load_dwordx8 s[12:19], s[4:5], 0x8
	s_mul_hi_u32 s4, s2, s8
	s_mul_i32 s0, s0, s8
	s_ashr_i32 s1, s3, 31
	s_add_i32 s0, s4, s0
	s_mul_i32 s4, s2, s8
	s_mul_i32 s1, s4, s1
	s_mul_hi_u32 s5, s4, s3
	s_add_i32 s1, s5, s1
	s_mul_i32 s0, s0, s3
	s_add_i32 s1, s1, s0
	s_mul_i32 s0, s4, s3
	s_lshl_b64 s[0:1], s[0:1], 4
	s_waitcnt lgkmcnt(0)
	s_add_u32 s3, s18, s0
	s_mul_i32 s4, s17, s8
	s_mul_hi_u32 s5, s16, s8
	s_addc_u32 s6, s19, s1
	s_add_i32 s5, s5, s4
	s_mul_i32 s4, s16, s8
	s_ashr_i32 s1, s14, 31
	s_lshl_b64 s[4:5], s[4:5], 4
	s_add_u32 s7, s12, s4
	s_addc_u32 s8, s13, s5
	v_mad_u64_u32 v[6:7], s[4:5], v2, s15, v[0:1]
	s_mov_b32 s0, s14
	s_lshl_b64 s[0:1], s[0:1], 4
	v_mov_b32_e32 v7, 0
	s_add_u32 s0, s7, s0
	v_lshlrev_b64 v[3:4], 4, v[6:7]
	s_addc_u32 s1, s8, s1
	v_mov_b32_e32 v1, s1
	v_add_co_u32_e32 v3, vcc, s0, v3
	v_addc_co_u32_e32 v4, vcc, v1, v4, vcc
	global_load_dwordx4 v[3:6], v[3:4], off
	v_mad_u64_u32 v[0:1], s[0:1], v2, s2, v[0:1]
	v_mov_b32_e32 v1, v7
	v_mov_b32_e32 v2, s6
	v_lshlrev_b64 v[0:1], 4, v[0:1]
	v_add_co_u32_e32 v0, vcc, s3, v0
	v_addc_co_u32_e32 v1, vcc, v2, v1, vcc
	s_waitcnt vmcnt(0)
	global_store_dwordx4 v[0:1], v[3:6], off
.LBB154_2:
	s_endpgm
	.section	.rodata,"a",@progbits
	.p2align	6, 0x0
	.amdhsa_kernel _ZN9rocsolver6v33100L9copymatA1I19rocblas_complex_numIdEPS3_EEviiT0_iilPT_
		.amdhsa_group_segment_fixed_size 0
		.amdhsa_private_segment_fixed_size 0
		.amdhsa_kernarg_size 296
		.amdhsa_user_sgpr_count 6
		.amdhsa_user_sgpr_private_segment_buffer 1
		.amdhsa_user_sgpr_dispatch_ptr 0
		.amdhsa_user_sgpr_queue_ptr 0
		.amdhsa_user_sgpr_kernarg_segment_ptr 1
		.amdhsa_user_sgpr_dispatch_id 0
		.amdhsa_user_sgpr_flat_scratch_init 0
		.amdhsa_user_sgpr_private_segment_size 0
		.amdhsa_uses_dynamic_stack 0
		.amdhsa_system_sgpr_private_segment_wavefront_offset 0
		.amdhsa_system_sgpr_workgroup_id_x 1
		.amdhsa_system_sgpr_workgroup_id_y 1
		.amdhsa_system_sgpr_workgroup_id_z 1
		.amdhsa_system_sgpr_workgroup_info 0
		.amdhsa_system_vgpr_workitem_id 1
		.amdhsa_next_free_vgpr 8
		.amdhsa_next_free_sgpr 20
		.amdhsa_reserve_vcc 1
		.amdhsa_reserve_flat_scratch 0
		.amdhsa_float_round_mode_32 0
		.amdhsa_float_round_mode_16_64 0
		.amdhsa_float_denorm_mode_32 3
		.amdhsa_float_denorm_mode_16_64 3
		.amdhsa_dx10_clamp 1
		.amdhsa_ieee_mode 1
		.amdhsa_fp16_overflow 0
		.amdhsa_exception_fp_ieee_invalid_op 0
		.amdhsa_exception_fp_denorm_src 0
		.amdhsa_exception_fp_ieee_div_zero 0
		.amdhsa_exception_fp_ieee_overflow 0
		.amdhsa_exception_fp_ieee_underflow 0
		.amdhsa_exception_fp_ieee_inexact 0
		.amdhsa_exception_int_div_zero 0
	.end_amdhsa_kernel
	.section	.text._ZN9rocsolver6v33100L9copymatA1I19rocblas_complex_numIdEPS3_EEviiT0_iilPT_,"axG",@progbits,_ZN9rocsolver6v33100L9copymatA1I19rocblas_complex_numIdEPS3_EEviiT0_iilPT_,comdat
.Lfunc_end154:
	.size	_ZN9rocsolver6v33100L9copymatA1I19rocblas_complex_numIdEPS3_EEviiT0_iilPT_, .Lfunc_end154-_ZN9rocsolver6v33100L9copymatA1I19rocblas_complex_numIdEPS3_EEviiT0_iilPT_
                                        ; -- End function
	.set _ZN9rocsolver6v33100L9copymatA1I19rocblas_complex_numIdEPS3_EEviiT0_iilPT_.num_vgpr, 8
	.set _ZN9rocsolver6v33100L9copymatA1I19rocblas_complex_numIdEPS3_EEviiT0_iilPT_.num_agpr, 0
	.set _ZN9rocsolver6v33100L9copymatA1I19rocblas_complex_numIdEPS3_EEviiT0_iilPT_.numbered_sgpr, 20
	.set _ZN9rocsolver6v33100L9copymatA1I19rocblas_complex_numIdEPS3_EEviiT0_iilPT_.num_named_barrier, 0
	.set _ZN9rocsolver6v33100L9copymatA1I19rocblas_complex_numIdEPS3_EEviiT0_iilPT_.private_seg_size, 0
	.set _ZN9rocsolver6v33100L9copymatA1I19rocblas_complex_numIdEPS3_EEviiT0_iilPT_.uses_vcc, 1
	.set _ZN9rocsolver6v33100L9copymatA1I19rocblas_complex_numIdEPS3_EEviiT0_iilPT_.uses_flat_scratch, 0
	.set _ZN9rocsolver6v33100L9copymatA1I19rocblas_complex_numIdEPS3_EEviiT0_iilPT_.has_dyn_sized_stack, 0
	.set _ZN9rocsolver6v33100L9copymatA1I19rocblas_complex_numIdEPS3_EEviiT0_iilPT_.has_recursion, 0
	.set _ZN9rocsolver6v33100L9copymatA1I19rocblas_complex_numIdEPS3_EEviiT0_iilPT_.has_indirect_call, 0
	.section	.AMDGPU.csdata,"",@progbits
; Kernel info:
; codeLenInByte = 280
; TotalNumSgprs: 24
; NumVgprs: 8
; ScratchSize: 0
; MemoryBound: 0
; FloatMode: 240
; IeeeMode: 1
; LDSByteSize: 0 bytes/workgroup (compile time only)
; SGPRBlocks: 2
; VGPRBlocks: 1
; NumSGPRsForWavesPerEU: 24
; NumVGPRsForWavesPerEU: 8
; Occupancy: 10
; WaveLimiterHint : 0
; COMPUTE_PGM_RSRC2:SCRATCH_EN: 0
; COMPUTE_PGM_RSRC2:USER_SGPR: 6
; COMPUTE_PGM_RSRC2:TRAP_HANDLER: 0
; COMPUTE_PGM_RSRC2:TGID_X_EN: 1
; COMPUTE_PGM_RSRC2:TGID_Y_EN: 1
; COMPUTE_PGM_RSRC2:TGID_Z_EN: 1
; COMPUTE_PGM_RSRC2:TIDIG_COMP_CNT: 1
	.section	.text._ZN9rocsolver6v33100L8addmatA1I19rocblas_complex_numIdEPS3_EEviiT0_iilPT_,"axG",@progbits,_ZN9rocsolver6v33100L8addmatA1I19rocblas_complex_numIdEPS3_EEviiT0_iilPT_,comdat
	.globl	_ZN9rocsolver6v33100L8addmatA1I19rocblas_complex_numIdEPS3_EEviiT0_iilPT_ ; -- Begin function _ZN9rocsolver6v33100L8addmatA1I19rocblas_complex_numIdEPS3_EEviiT0_iilPT_
	.p2align	8
	.type	_ZN9rocsolver6v33100L8addmatA1I19rocblas_complex_numIdEPS3_EEviiT0_iilPT_,@function
_ZN9rocsolver6v33100L8addmatA1I19rocblas_complex_numIdEPS3_EEviiT0_iilPT_: ; @_ZN9rocsolver6v33100L8addmatA1I19rocblas_complex_numIdEPS3_EEviiT0_iilPT_
; %bb.0:
	s_load_dword s0, s[4:5], 0x34
	s_load_dwordx2 s[2:3], s[4:5], 0x0
	s_waitcnt lgkmcnt(0)
	s_lshr_b32 s1, s0, 16
	s_and_b32 s0, s0, 0xffff
	s_mul_i32 s6, s6, s0
	s_mul_i32 s7, s7, s1
	v_add_u32_e32 v2, s6, v0
	v_add_u32_e32 v0, s7, v1
	v_cmp_gt_u32_e32 vcc, s2, v0
	v_cmp_gt_u32_e64 s[0:1], s3, v2
	s_and_b64 s[0:1], s[0:1], vcc
	s_and_saveexec_b64 s[6:7], s[0:1]
	s_cbranch_execz .LBB155_2
; %bb.1:
	s_ashr_i32 s0, s2, 31
	s_load_dwordx8 s[12:19], s[4:5], 0x8
	s_mul_hi_u32 s4, s2, s8
	s_mul_i32 s0, s0, s8
	s_ashr_i32 s1, s3, 31
	s_add_i32 s0, s4, s0
	s_mul_i32 s4, s2, s8
	s_mul_i32 s1, s4, s1
	s_mul_hi_u32 s5, s4, s3
	s_add_i32 s1, s5, s1
	s_mul_i32 s0, s0, s3
	s_add_i32 s1, s1, s0
	s_mul_i32 s0, s4, s3
	s_lshl_b64 s[0:1], s[0:1], 4
	s_waitcnt lgkmcnt(0)
	s_add_u32 s6, s18, s0
	s_mul_i32 s3, s17, s8
	s_mul_hi_u32 s4, s16, s8
	s_addc_u32 s7, s19, s1
	s_add_i32 s5, s4, s3
	s_mul_i32 s4, s16, s8
	s_ashr_i32 s1, s14, 31
	s_lshl_b64 s[4:5], s[4:5], 4
	s_mov_b32 s0, s14
	s_add_u32 s4, s12, s4
	s_addc_u32 s5, s13, s5
	s_lshl_b64 s[0:1], s[0:1], 4
	v_mad_u64_u32 v[3:4], s[2:3], v2, s2, v[0:1]
	s_add_u32 s2, s4, s0
	s_addc_u32 s3, s5, s1
	v_mad_u64_u32 v[0:1], s[0:1], v2, s15, v[0:1]
	v_mov_b32_e32 v4, 0
	v_lshlrev_b64 v[5:6], 4, v[3:4]
	v_mov_b32_e32 v1, v4
	v_mov_b32_e32 v3, s7
	v_add_co_u32_e32 v8, vcc, s6, v5
	v_lshlrev_b64 v[0:1], 4, v[0:1]
	v_addc_co_u32_e32 v9, vcc, v3, v6, vcc
	v_mov_b32_e32 v2, s3
	v_add_co_u32_e32 v10, vcc, s2, v0
	v_addc_co_u32_e32 v11, vcc, v2, v1, vcc
	global_load_dwordx4 v[0:3], v[8:9], off
	global_load_dwordx4 v[4:7], v[10:11], off
	s_waitcnt vmcnt(0)
	v_add_f64 v[0:1], v[4:5], -v[0:1]
	v_add_f64 v[2:3], v[6:7], -v[2:3]
	global_store_dwordx4 v[10:11], v[0:3], off
.LBB155_2:
	s_endpgm
	.section	.rodata,"a",@progbits
	.p2align	6, 0x0
	.amdhsa_kernel _ZN9rocsolver6v33100L8addmatA1I19rocblas_complex_numIdEPS3_EEviiT0_iilPT_
		.amdhsa_group_segment_fixed_size 0
		.amdhsa_private_segment_fixed_size 0
		.amdhsa_kernarg_size 296
		.amdhsa_user_sgpr_count 6
		.amdhsa_user_sgpr_private_segment_buffer 1
		.amdhsa_user_sgpr_dispatch_ptr 0
		.amdhsa_user_sgpr_queue_ptr 0
		.amdhsa_user_sgpr_kernarg_segment_ptr 1
		.amdhsa_user_sgpr_dispatch_id 0
		.amdhsa_user_sgpr_flat_scratch_init 0
		.amdhsa_user_sgpr_private_segment_size 0
		.amdhsa_uses_dynamic_stack 0
		.amdhsa_system_sgpr_private_segment_wavefront_offset 0
		.amdhsa_system_sgpr_workgroup_id_x 1
		.amdhsa_system_sgpr_workgroup_id_y 1
		.amdhsa_system_sgpr_workgroup_id_z 1
		.amdhsa_system_sgpr_workgroup_info 0
		.amdhsa_system_vgpr_workitem_id 1
		.amdhsa_next_free_vgpr 12
		.amdhsa_next_free_sgpr 20
		.amdhsa_reserve_vcc 1
		.amdhsa_reserve_flat_scratch 0
		.amdhsa_float_round_mode_32 0
		.amdhsa_float_round_mode_16_64 0
		.amdhsa_float_denorm_mode_32 3
		.amdhsa_float_denorm_mode_16_64 3
		.amdhsa_dx10_clamp 1
		.amdhsa_ieee_mode 1
		.amdhsa_fp16_overflow 0
		.amdhsa_exception_fp_ieee_invalid_op 0
		.amdhsa_exception_fp_denorm_src 0
		.amdhsa_exception_fp_ieee_div_zero 0
		.amdhsa_exception_fp_ieee_overflow 0
		.amdhsa_exception_fp_ieee_underflow 0
		.amdhsa_exception_fp_ieee_inexact 0
		.amdhsa_exception_int_div_zero 0
	.end_amdhsa_kernel
	.section	.text._ZN9rocsolver6v33100L8addmatA1I19rocblas_complex_numIdEPS3_EEviiT0_iilPT_,"axG",@progbits,_ZN9rocsolver6v33100L8addmatA1I19rocblas_complex_numIdEPS3_EEviiT0_iilPT_,comdat
.Lfunc_end155:
	.size	_ZN9rocsolver6v33100L8addmatA1I19rocblas_complex_numIdEPS3_EEviiT0_iilPT_, .Lfunc_end155-_ZN9rocsolver6v33100L8addmatA1I19rocblas_complex_numIdEPS3_EEviiT0_iilPT_
                                        ; -- End function
	.set _ZN9rocsolver6v33100L8addmatA1I19rocblas_complex_numIdEPS3_EEviiT0_iilPT_.num_vgpr, 12
	.set _ZN9rocsolver6v33100L8addmatA1I19rocblas_complex_numIdEPS3_EEviiT0_iilPT_.num_agpr, 0
	.set _ZN9rocsolver6v33100L8addmatA1I19rocblas_complex_numIdEPS3_EEviiT0_iilPT_.numbered_sgpr, 20
	.set _ZN9rocsolver6v33100L8addmatA1I19rocblas_complex_numIdEPS3_EEviiT0_iilPT_.num_named_barrier, 0
	.set _ZN9rocsolver6v33100L8addmatA1I19rocblas_complex_numIdEPS3_EEviiT0_iilPT_.private_seg_size, 0
	.set _ZN9rocsolver6v33100L8addmatA1I19rocblas_complex_numIdEPS3_EEviiT0_iilPT_.uses_vcc, 1
	.set _ZN9rocsolver6v33100L8addmatA1I19rocblas_complex_numIdEPS3_EEviiT0_iilPT_.uses_flat_scratch, 0
	.set _ZN9rocsolver6v33100L8addmatA1I19rocblas_complex_numIdEPS3_EEviiT0_iilPT_.has_dyn_sized_stack, 0
	.set _ZN9rocsolver6v33100L8addmatA1I19rocblas_complex_numIdEPS3_EEviiT0_iilPT_.has_recursion, 0
	.set _ZN9rocsolver6v33100L8addmatA1I19rocblas_complex_numIdEPS3_EEviiT0_iilPT_.has_indirect_call, 0
	.section	.AMDGPU.csdata,"",@progbits
; Kernel info:
; codeLenInByte = 304
; TotalNumSgprs: 24
; NumVgprs: 12
; ScratchSize: 0
; MemoryBound: 0
; FloatMode: 240
; IeeeMode: 1
; LDSByteSize: 0 bytes/workgroup (compile time only)
; SGPRBlocks: 2
; VGPRBlocks: 2
; NumSGPRsForWavesPerEU: 24
; NumVGPRsForWavesPerEU: 12
; Occupancy: 10
; WaveLimiterHint : 0
; COMPUTE_PGM_RSRC2:SCRATCH_EN: 0
; COMPUTE_PGM_RSRC2:USER_SGPR: 6
; COMPUTE_PGM_RSRC2:TRAP_HANDLER: 0
; COMPUTE_PGM_RSRC2:TGID_X_EN: 1
; COMPUTE_PGM_RSRC2:TGID_Y_EN: 1
; COMPUTE_PGM_RSRC2:TGID_Z_EN: 1
; COMPUTE_PGM_RSRC2:TIDIG_COMP_CNT: 1
	.section	.text._ZN9rocsolver6v33100L15gesvdj_finalizeI19rocblas_complex_numIdEdEEviPT0_lPT_ilS7_il,"axG",@progbits,_ZN9rocsolver6v33100L15gesvdj_finalizeI19rocblas_complex_numIdEdEEviPT0_lPT_ilS7_il,comdat
	.globl	_ZN9rocsolver6v33100L15gesvdj_finalizeI19rocblas_complex_numIdEdEEviPT0_lPT_ilS7_il ; -- Begin function _ZN9rocsolver6v33100L15gesvdj_finalizeI19rocblas_complex_numIdEdEEviPT0_lPT_ilS7_il
	.p2align	8
	.type	_ZN9rocsolver6v33100L15gesvdj_finalizeI19rocblas_complex_numIdEdEEviPT0_lPT_ilS7_il,@function
_ZN9rocsolver6v33100L15gesvdj_finalizeI19rocblas_complex_numIdEdEEviPT0_lPT_ilS7_il: ; @_ZN9rocsolver6v33100L15gesvdj_finalizeI19rocblas_complex_numIdEdEEviPT0_lPT_ilS7_il
; %bb.0:
	s_load_dword s0, s[4:5], 0x54
	s_load_dword s8, s[4:5], 0x0
	s_mov_b32 s2, 0
	s_waitcnt lgkmcnt(0)
	s_and_b32 s0, s0, 0xffff
	s_mul_i32 s6, s6, s0
	v_add_u32_e32 v0, s6, v0
	v_max_i32_e32 v1, 0, v0
	v_cmp_gt_i32_e32 vcc, s8, v1
	s_and_saveexec_b64 s[0:1], vcc
	s_cbranch_execz .LBB156_7
; %bb.1:
	s_ashr_i32 s6, s7, 31
	s_load_dwordx4 s[12:15], s[4:5], 0x8
	s_load_dwordx2 s[0:1], s[4:5], 0x18
	s_load_dword s3, s[4:5], 0x20
	s_load_dwordx4 s[16:19], s[4:5], 0x28
	s_load_dword s9, s[4:5], 0x38
	s_load_dwordx2 s[20:21], s[4:5], 0x40
	s_waitcnt lgkmcnt(0)
	s_mul_hi_u32 s4, s14, s7
	s_mul_i32 s5, s14, s6
	s_add_i32 s4, s4, s5
	s_mul_i32 s5, s15, s7
	s_add_i32 s5, s4, s5
	s_mul_i32 s4, s14, s7
	s_lshl_b64 s[4:5], s[4:5], 3
	s_add_u32 s4, s12, s4
	s_mul_hi_u32 s10, s16, s7
	s_mul_i32 s11, s16, s6
	s_addc_u32 s5, s13, s5
	s_add_i32 s10, s10, s11
	s_mul_i32 s11, s17, s7
	s_add_i32 s11, s10, s11
	s_mul_i32 s10, s16, s7
	s_lshl_b64 s[10:11], s[10:11], 4
	s_add_u32 s10, s0, s10
	s_addc_u32 s11, s1, s11
	s_mul_hi_u32 s0, s20, s7
	s_mul_i32 s1, s20, s6
	s_add_i32 s0, s0, s1
	s_mul_i32 s1, s21, s7
	s_add_i32 s1, s0, s1
	s_mul_i32 s0, s20, s7
	s_lshl_b64 s[0:1], s[0:1], 4
	s_add_u32 s12, s18, s0
	s_addc_u32 s13, s19, s1
	s_add_i32 s14, s3, 1
	v_cmp_eq_u32_e64 s[0:1], 0, v0
	v_mov_b32_e32 v3, 0
	s_branch .LBB156_3
.LBB156_2:                              ;   in Loop: Header=BB156_3 Depth=1
	s_add_i32 s8, s8, -1
	s_add_i32 s2, s2, s14
	s_add_u32 s4, s4, 8
	s_addc_u32 s5, s5, 0
	s_cmp_lg_u32 s8, 0
	v_add_u32_e32 v0, s9, v0
	s_cbranch_scc0 .LBB156_7
.LBB156_3:                              ; =>This Inner Loop Header: Depth=1
	s_ashr_i32 s3, s2, 31
	s_lshl_b64 s[6:7], s[2:3], 4
	s_add_u32 s6, s10, s6
	s_addc_u32 s7, s11, s7
	global_load_dwordx2 v[1:2], v3, s[6:7]
	s_and_saveexec_b64 s[6:7], s[0:1]
	s_cbranch_execz .LBB156_5
; %bb.4:                                ;   in Loop: Header=BB156_3 Depth=1
	s_waitcnt vmcnt(0)
	v_and_b32_e32 v5, 0x7fffffff, v2
	v_mov_b32_e32 v4, v1
	global_store_dwordx2 v3, v[4:5], s[4:5]
.LBB156_5:                              ;   in Loop: Header=BB156_3 Depth=1
	s_or_b64 exec, exec, s[6:7]
	s_waitcnt vmcnt(0)
	v_cmp_ngt_f64_e32 vcc, 0, v[1:2]
	s_cbranch_vccnz .LBB156_2
; %bb.6:                                ;   in Loop: Header=BB156_3 Depth=1
	v_ashrrev_i32_e32 v1, 31, v0
	v_lshlrev_b64 v[1:2], 4, v[0:1]
	v_mov_b32_e32 v4, s13
	v_add_co_u32_e32 v1, vcc, s12, v1
	v_addc_co_u32_e32 v2, vcc, v4, v2, vcc
	global_load_dwordx4 v[4:7], v[1:2], off
	s_waitcnt vmcnt(0)
	v_xor_b32_e32 v5, 0x80000000, v5
	v_xor_b32_e32 v7, 0x80000000, v7
	global_store_dwordx4 v[1:2], v[4:7], off
	s_branch .LBB156_2
.LBB156_7:
	s_endpgm
	.section	.rodata,"a",@progbits
	.p2align	6, 0x0
	.amdhsa_kernel _ZN9rocsolver6v33100L15gesvdj_finalizeI19rocblas_complex_numIdEdEEviPT0_lPT_ilS7_il
		.amdhsa_group_segment_fixed_size 0
		.amdhsa_private_segment_fixed_size 0
		.amdhsa_kernarg_size 328
		.amdhsa_user_sgpr_count 6
		.amdhsa_user_sgpr_private_segment_buffer 1
		.amdhsa_user_sgpr_dispatch_ptr 0
		.amdhsa_user_sgpr_queue_ptr 0
		.amdhsa_user_sgpr_kernarg_segment_ptr 1
		.amdhsa_user_sgpr_dispatch_id 0
		.amdhsa_user_sgpr_flat_scratch_init 0
		.amdhsa_user_sgpr_private_segment_size 0
		.amdhsa_uses_dynamic_stack 0
		.amdhsa_system_sgpr_private_segment_wavefront_offset 0
		.amdhsa_system_sgpr_workgroup_id_x 1
		.amdhsa_system_sgpr_workgroup_id_y 1
		.amdhsa_system_sgpr_workgroup_id_z 0
		.amdhsa_system_sgpr_workgroup_info 0
		.amdhsa_system_vgpr_workitem_id 0
		.amdhsa_next_free_vgpr 8
		.amdhsa_next_free_sgpr 22
		.amdhsa_reserve_vcc 1
		.amdhsa_reserve_flat_scratch 0
		.amdhsa_float_round_mode_32 0
		.amdhsa_float_round_mode_16_64 0
		.amdhsa_float_denorm_mode_32 3
		.amdhsa_float_denorm_mode_16_64 3
		.amdhsa_dx10_clamp 1
		.amdhsa_ieee_mode 1
		.amdhsa_fp16_overflow 0
		.amdhsa_exception_fp_ieee_invalid_op 0
		.amdhsa_exception_fp_denorm_src 0
		.amdhsa_exception_fp_ieee_div_zero 0
		.amdhsa_exception_fp_ieee_overflow 0
		.amdhsa_exception_fp_ieee_underflow 0
		.amdhsa_exception_fp_ieee_inexact 0
		.amdhsa_exception_int_div_zero 0
	.end_amdhsa_kernel
	.section	.text._ZN9rocsolver6v33100L15gesvdj_finalizeI19rocblas_complex_numIdEdEEviPT0_lPT_ilS7_il,"axG",@progbits,_ZN9rocsolver6v33100L15gesvdj_finalizeI19rocblas_complex_numIdEdEEviPT0_lPT_ilS7_il,comdat
.Lfunc_end156:
	.size	_ZN9rocsolver6v33100L15gesvdj_finalizeI19rocblas_complex_numIdEdEEviPT0_lPT_ilS7_il, .Lfunc_end156-_ZN9rocsolver6v33100L15gesvdj_finalizeI19rocblas_complex_numIdEdEEviPT0_lPT_ilS7_il
                                        ; -- End function
	.set _ZN9rocsolver6v33100L15gesvdj_finalizeI19rocblas_complex_numIdEdEEviPT0_lPT_ilS7_il.num_vgpr, 8
	.set _ZN9rocsolver6v33100L15gesvdj_finalizeI19rocblas_complex_numIdEdEEviPT0_lPT_ilS7_il.num_agpr, 0
	.set _ZN9rocsolver6v33100L15gesvdj_finalizeI19rocblas_complex_numIdEdEEviPT0_lPT_ilS7_il.numbered_sgpr, 22
	.set _ZN9rocsolver6v33100L15gesvdj_finalizeI19rocblas_complex_numIdEdEEviPT0_lPT_ilS7_il.num_named_barrier, 0
	.set _ZN9rocsolver6v33100L15gesvdj_finalizeI19rocblas_complex_numIdEdEEviPT0_lPT_ilS7_il.private_seg_size, 0
	.set _ZN9rocsolver6v33100L15gesvdj_finalizeI19rocblas_complex_numIdEdEEviPT0_lPT_ilS7_il.uses_vcc, 1
	.set _ZN9rocsolver6v33100L15gesvdj_finalizeI19rocblas_complex_numIdEdEEviPT0_lPT_ilS7_il.uses_flat_scratch, 0
	.set _ZN9rocsolver6v33100L15gesvdj_finalizeI19rocblas_complex_numIdEdEEviPT0_lPT_ilS7_il.has_dyn_sized_stack, 0
	.set _ZN9rocsolver6v33100L15gesvdj_finalizeI19rocblas_complex_numIdEdEEviPT0_lPT_ilS7_il.has_recursion, 0
	.set _ZN9rocsolver6v33100L15gesvdj_finalizeI19rocblas_complex_numIdEdEEviPT0_lPT_ilS7_il.has_indirect_call, 0
	.section	.AMDGPU.csdata,"",@progbits
; Kernel info:
; codeLenInByte = 408
; TotalNumSgprs: 26
; NumVgprs: 8
; ScratchSize: 0
; MemoryBound: 0
; FloatMode: 240
; IeeeMode: 1
; LDSByteSize: 0 bytes/workgroup (compile time only)
; SGPRBlocks: 3
; VGPRBlocks: 1
; NumSGPRsForWavesPerEU: 26
; NumVGPRsForWavesPerEU: 8
; Occupancy: 10
; WaveLimiterHint : 0
; COMPUTE_PGM_RSRC2:SCRATCH_EN: 0
; COMPUTE_PGM_RSRC2:USER_SGPR: 6
; COMPUTE_PGM_RSRC2:TRAP_HANDLER: 0
; COMPUTE_PGM_RSRC2:TGID_X_EN: 1
; COMPUTE_PGM_RSRC2:TGID_Y_EN: 1
; COMPUTE_PGM_RSRC2:TGID_Z_EN: 0
; COMPUTE_PGM_RSRC2:TIDIG_COMP_CNT: 0
	.section	.text._ZN9rocsolver6v33100L16org2r_init_identI19rocblas_complex_numIdEPS3_EEviiiT0_iil,"axG",@progbits,_ZN9rocsolver6v33100L16org2r_init_identI19rocblas_complex_numIdEPS3_EEviiiT0_iil,comdat
	.globl	_ZN9rocsolver6v33100L16org2r_init_identI19rocblas_complex_numIdEPS3_EEviiiT0_iil ; -- Begin function _ZN9rocsolver6v33100L16org2r_init_identI19rocblas_complex_numIdEPS3_EEviiiT0_iil
	.p2align	8
	.type	_ZN9rocsolver6v33100L16org2r_init_identI19rocblas_complex_numIdEPS3_EEviiiT0_iil,@function
_ZN9rocsolver6v33100L16org2r_init_identI19rocblas_complex_numIdEPS3_EEviiiT0_iil: ; @_ZN9rocsolver6v33100L16org2r_init_identI19rocblas_complex_numIdEPS3_EEviiiT0_iil
; %bb.0:
	s_load_dword s0, s[4:5], 0x34
	s_load_dwordx4 s[12:15], s[4:5], 0x0
	s_waitcnt lgkmcnt(0)
	s_lshr_b32 s1, s0, 16
	s_and_b32 s0, s0, 0xffff
	s_mul_i32 s7, s7, s1
	s_mul_i32 s6, s6, s0
	v_add_u32_e32 v1, s7, v1
	v_add_u32_e32 v0, s6, v0
	v_cmp_gt_u32_e32 vcc, s12, v0
	v_cmp_gt_u32_e64 s[0:1], s13, v1
	s_and_b64 s[0:1], vcc, s[0:1]
	s_and_saveexec_b64 s[2:3], s[0:1]
	s_cbranch_execz .LBB157_11
; %bb.1:
	s_load_dwordx4 s[0:3], s[4:5], 0x10
	s_load_dwordx2 s[6:7], s[4:5], 0x20
	v_cmp_ne_u32_e32 vcc, v0, v1
	s_waitcnt lgkmcnt(0)
	s_ashr_i32 s5, s2, 31
	s_mov_b32 s4, s2
	s_mul_i32 s2, s7, s8
	s_mul_hi_u32 s7, s6, s8
	s_add_i32 s7, s7, s2
	s_mul_i32 s6, s6, s8
	s_lshl_b64 s[6:7], s[6:7], 4
	s_add_u32 s2, s0, s6
	s_addc_u32 s6, s1, s7
	s_lshl_b64 s[0:1], s[4:5], 4
	s_add_u32 s2, s2, s0
	s_addc_u32 s8, s6, s1
	s_and_saveexec_b64 s[0:1], vcc
	s_xor_b64 s[0:1], exec, s[0:1]
	s_cbranch_execz .LBB157_9
; %bb.2:
	v_cmp_le_u32_e32 vcc, v1, v0
	s_and_saveexec_b64 s[4:5], vcc
	s_xor_b64 s[4:5], exec, s[4:5]
	s_cbranch_execz .LBB157_6
; %bb.3:
	v_cmp_le_u32_e32 vcc, s14, v1
	s_and_saveexec_b64 s[6:7], vcc
	s_cbranch_execz .LBB157_5
; %bb.4:
	v_mad_u64_u32 v[0:1], s[10:11], v1, s3, v[0:1]
	v_mov_b32_e32 v1, 0
	v_mov_b32_e32 v5, s8
	v_lshlrev_b64 v[2:3], 4, v[0:1]
	v_mov_b32_e32 v0, v1
	v_add_co_u32_e32 v4, vcc, s2, v2
	v_addc_co_u32_e32 v5, vcc, v5, v3, vcc
	v_mov_b32_e32 v2, v1
	v_mov_b32_e32 v3, v1
	global_store_dwordx4 v[4:5], v[0:3], off
.LBB157_5:
	s_or_b64 exec, exec, s[6:7]
                                        ; implicit-def: $vgpr0
                                        ; implicit-def: $vgpr1
.LBB157_6:
	s_andn2_saveexec_b64 s[4:5], s[4:5]
	s_cbranch_execz .LBB157_8
; %bb.7:
	v_mad_u64_u32 v[0:1], s[6:7], v1, s3, v[0:1]
	v_mov_b32_e32 v1, 0
	v_mov_b32_e32 v5, s8
	v_lshlrev_b64 v[2:3], 4, v[0:1]
	v_mov_b32_e32 v0, v1
	v_add_co_u32_e32 v4, vcc, s2, v2
	v_addc_co_u32_e32 v5, vcc, v5, v3, vcc
	v_mov_b32_e32 v2, v1
	v_mov_b32_e32 v3, v1
	global_store_dwordx4 v[4:5], v[0:3], off
.LBB157_8:
	s_or_b64 exec, exec, s[4:5]
                                        ; implicit-def: $vgpr1
.LBB157_9:
	s_andn2_saveexec_b64 s[0:1], s[0:1]
	s_cbranch_execz .LBB157_11
; %bb.10:
	v_mad_u64_u32 v[1:2], s[0:1], v1, s3, v[1:2]
	v_mov_b32_e32 v2, 0
	v_mov_b32_e32 v3, s8
	v_lshlrev_b64 v[0:1], 4, v[1:2]
	v_add_co_u32_e32 v4, vcc, s2, v0
	v_addc_co_u32_e32 v5, vcc, v3, v1, vcc
	v_mov_b32_e32 v1, 0x3ff00000
	v_mov_b32_e32 v0, v2
	;; [unrolled: 1-line block ×3, first 2 shown]
	global_store_dwordx4 v[4:5], v[0:3], off
.LBB157_11:
	s_endpgm
	.section	.rodata,"a",@progbits
	.p2align	6, 0x0
	.amdhsa_kernel _ZN9rocsolver6v33100L16org2r_init_identI19rocblas_complex_numIdEPS3_EEviiiT0_iil
		.amdhsa_group_segment_fixed_size 0
		.amdhsa_private_segment_fixed_size 0
		.amdhsa_kernarg_size 296
		.amdhsa_user_sgpr_count 6
		.amdhsa_user_sgpr_private_segment_buffer 1
		.amdhsa_user_sgpr_dispatch_ptr 0
		.amdhsa_user_sgpr_queue_ptr 0
		.amdhsa_user_sgpr_kernarg_segment_ptr 1
		.amdhsa_user_sgpr_dispatch_id 0
		.amdhsa_user_sgpr_flat_scratch_init 0
		.amdhsa_user_sgpr_private_segment_size 0
		.amdhsa_uses_dynamic_stack 0
		.amdhsa_system_sgpr_private_segment_wavefront_offset 0
		.amdhsa_system_sgpr_workgroup_id_x 1
		.amdhsa_system_sgpr_workgroup_id_y 1
		.amdhsa_system_sgpr_workgroup_id_z 1
		.amdhsa_system_sgpr_workgroup_info 0
		.amdhsa_system_vgpr_workitem_id 1
		.amdhsa_next_free_vgpr 6
		.amdhsa_next_free_sgpr 16
		.amdhsa_reserve_vcc 1
		.amdhsa_reserve_flat_scratch 0
		.amdhsa_float_round_mode_32 0
		.amdhsa_float_round_mode_16_64 0
		.amdhsa_float_denorm_mode_32 3
		.amdhsa_float_denorm_mode_16_64 3
		.amdhsa_dx10_clamp 1
		.amdhsa_ieee_mode 1
		.amdhsa_fp16_overflow 0
		.amdhsa_exception_fp_ieee_invalid_op 0
		.amdhsa_exception_fp_denorm_src 0
		.amdhsa_exception_fp_ieee_div_zero 0
		.amdhsa_exception_fp_ieee_overflow 0
		.amdhsa_exception_fp_ieee_underflow 0
		.amdhsa_exception_fp_ieee_inexact 0
		.amdhsa_exception_int_div_zero 0
	.end_amdhsa_kernel
	.section	.text._ZN9rocsolver6v33100L16org2r_init_identI19rocblas_complex_numIdEPS3_EEviiiT0_iil,"axG",@progbits,_ZN9rocsolver6v33100L16org2r_init_identI19rocblas_complex_numIdEPS3_EEviiiT0_iil,comdat
.Lfunc_end157:
	.size	_ZN9rocsolver6v33100L16org2r_init_identI19rocblas_complex_numIdEPS3_EEviiiT0_iil, .Lfunc_end157-_ZN9rocsolver6v33100L16org2r_init_identI19rocblas_complex_numIdEPS3_EEviiiT0_iil
                                        ; -- End function
	.set _ZN9rocsolver6v33100L16org2r_init_identI19rocblas_complex_numIdEPS3_EEviiiT0_iil.num_vgpr, 6
	.set _ZN9rocsolver6v33100L16org2r_init_identI19rocblas_complex_numIdEPS3_EEviiiT0_iil.num_agpr, 0
	.set _ZN9rocsolver6v33100L16org2r_init_identI19rocblas_complex_numIdEPS3_EEviiiT0_iil.numbered_sgpr, 16
	.set _ZN9rocsolver6v33100L16org2r_init_identI19rocblas_complex_numIdEPS3_EEviiiT0_iil.num_named_barrier, 0
	.set _ZN9rocsolver6v33100L16org2r_init_identI19rocblas_complex_numIdEPS3_EEviiiT0_iil.private_seg_size, 0
	.set _ZN9rocsolver6v33100L16org2r_init_identI19rocblas_complex_numIdEPS3_EEviiiT0_iil.uses_vcc, 1
	.set _ZN9rocsolver6v33100L16org2r_init_identI19rocblas_complex_numIdEPS3_EEviiiT0_iil.uses_flat_scratch, 0
	.set _ZN9rocsolver6v33100L16org2r_init_identI19rocblas_complex_numIdEPS3_EEviiiT0_iil.has_dyn_sized_stack, 0
	.set _ZN9rocsolver6v33100L16org2r_init_identI19rocblas_complex_numIdEPS3_EEviiiT0_iil.has_recursion, 0
	.set _ZN9rocsolver6v33100L16org2r_init_identI19rocblas_complex_numIdEPS3_EEviiiT0_iil.has_indirect_call, 0
	.section	.AMDGPU.csdata,"",@progbits
; Kernel info:
; codeLenInByte = 372
; TotalNumSgprs: 20
; NumVgprs: 6
; ScratchSize: 0
; MemoryBound: 0
; FloatMode: 240
; IeeeMode: 1
; LDSByteSize: 0 bytes/workgroup (compile time only)
; SGPRBlocks: 2
; VGPRBlocks: 1
; NumSGPRsForWavesPerEU: 20
; NumVGPRsForWavesPerEU: 6
; Occupancy: 10
; WaveLimiterHint : 0
; COMPUTE_PGM_RSRC2:SCRATCH_EN: 0
; COMPUTE_PGM_RSRC2:USER_SGPR: 6
; COMPUTE_PGM_RSRC2:TRAP_HANDLER: 0
; COMPUTE_PGM_RSRC2:TGID_X_EN: 1
; COMPUTE_PGM_RSRC2:TGID_Y_EN: 1
; COMPUTE_PGM_RSRC2:TGID_Z_EN: 1
; COMPUTE_PGM_RSRC2:TIDIG_COMP_CNT: 1
	.section	.text._ZN9rocsolver6v33100L12subtract_tauI19rocblas_complex_numIdEPS3_EEviiT0_iilPT_l,"axG",@progbits,_ZN9rocsolver6v33100L12subtract_tauI19rocblas_complex_numIdEPS3_EEviiT0_iilPT_l,comdat
	.globl	_ZN9rocsolver6v33100L12subtract_tauI19rocblas_complex_numIdEPS3_EEviiT0_iilPT_l ; -- Begin function _ZN9rocsolver6v33100L12subtract_tauI19rocblas_complex_numIdEPS3_EEviiT0_iilPT_l
	.p2align	8
	.type	_ZN9rocsolver6v33100L12subtract_tauI19rocblas_complex_numIdEPS3_EEviiT0_iilPT_l,@function
_ZN9rocsolver6v33100L12subtract_tauI19rocblas_complex_numIdEPS3_EEviiT0_iilPT_l: ; @_ZN9rocsolver6v33100L12subtract_tauI19rocblas_complex_numIdEPS3_EEviiT0_iilPT_l
; %bb.0:
	s_load_dwordx2 s[12:13], s[4:5], 0x10
	s_load_dwordx4 s[8:11], s[4:5], 0x18
	s_load_dwordx4 s[0:3], s[4:5], 0x0
	s_load_dwordx2 s[14:15], s[4:5], 0x28
	v_mov_b32_e32 v4, 0
	s_waitcnt lgkmcnt(0)
	s_ashr_i32 s5, s12, 31
	s_mul_i32 s7, s9, s6
	s_mul_hi_u32 s9, s8, s6
	s_add_i32 s9, s9, s7
	s_mul_i32 s8, s8, s6
	s_lshl_b64 s[8:9], s[8:9], 4
	s_mov_b32 s4, s12
	s_add_u32 s7, s2, s8
	s_addc_u32 s8, s3, s9
	s_lshl_b64 s[2:3], s[4:5], 4
	s_add_u32 s9, s7, s2
	s_addc_u32 s8, s8, s3
	s_mul_i32 s2, s15, s6
	s_mul_hi_u32 s3, s14, s6
	s_add_i32 s3, s3, s2
	s_mul_i32 s2, s14, s6
	s_lshl_b64 s[2:3], s[2:3], 4
	s_add_u32 s2, s10, s2
	s_addc_u32 s3, s11, s3
	s_load_dwordx4 s[4:7], s[2:3], 0x0
	s_mul_i32 s1, s13, s1
	s_add_i32 s0, s1, s0
	s_ashr_i32 s1, s0, 31
	s_lshl_b64 s[0:1], s[0:1], 4
	s_waitcnt lgkmcnt(0)
	s_xor_b32 s10, s5, 0x80000000
	s_xor_b32 s7, s7, 0x80000000
	v_mov_b32_e32 v0, s4
	v_mov_b32_e32 v1, s10
	;; [unrolled: 1-line block ×4, first 2 shown]
	global_store_dwordx4 v4, v[0:3], s[2:3]
	s_add_u32 s0, s9, s0
	v_add_f64 v[0:1], -s[4:5], 1.0
	s_addc_u32 s1, s8, s1
	global_store_dwordx4 v4, v[0:3], s[0:1]
	s_endpgm
	.section	.rodata,"a",@progbits
	.p2align	6, 0x0
	.amdhsa_kernel _ZN9rocsolver6v33100L12subtract_tauI19rocblas_complex_numIdEPS3_EEviiT0_iilPT_l
		.amdhsa_group_segment_fixed_size 0
		.amdhsa_private_segment_fixed_size 0
		.amdhsa_kernarg_size 48
		.amdhsa_user_sgpr_count 6
		.amdhsa_user_sgpr_private_segment_buffer 1
		.amdhsa_user_sgpr_dispatch_ptr 0
		.amdhsa_user_sgpr_queue_ptr 0
		.amdhsa_user_sgpr_kernarg_segment_ptr 1
		.amdhsa_user_sgpr_dispatch_id 0
		.amdhsa_user_sgpr_flat_scratch_init 0
		.amdhsa_user_sgpr_private_segment_size 0
		.amdhsa_uses_dynamic_stack 0
		.amdhsa_system_sgpr_private_segment_wavefront_offset 0
		.amdhsa_system_sgpr_workgroup_id_x 1
		.amdhsa_system_sgpr_workgroup_id_y 0
		.amdhsa_system_sgpr_workgroup_id_z 0
		.amdhsa_system_sgpr_workgroup_info 0
		.amdhsa_system_vgpr_workitem_id 0
		.amdhsa_next_free_vgpr 5
		.amdhsa_next_free_sgpr 16
		.amdhsa_reserve_vcc 0
		.amdhsa_reserve_flat_scratch 0
		.amdhsa_float_round_mode_32 0
		.amdhsa_float_round_mode_16_64 0
		.amdhsa_float_denorm_mode_32 3
		.amdhsa_float_denorm_mode_16_64 3
		.amdhsa_dx10_clamp 1
		.amdhsa_ieee_mode 1
		.amdhsa_fp16_overflow 0
		.amdhsa_exception_fp_ieee_invalid_op 0
		.amdhsa_exception_fp_denorm_src 0
		.amdhsa_exception_fp_ieee_div_zero 0
		.amdhsa_exception_fp_ieee_overflow 0
		.amdhsa_exception_fp_ieee_underflow 0
		.amdhsa_exception_fp_ieee_inexact 0
		.amdhsa_exception_int_div_zero 0
	.end_amdhsa_kernel
	.section	.text._ZN9rocsolver6v33100L12subtract_tauI19rocblas_complex_numIdEPS3_EEviiT0_iilPT_l,"axG",@progbits,_ZN9rocsolver6v33100L12subtract_tauI19rocblas_complex_numIdEPS3_EEviiT0_iilPT_l,comdat
.Lfunc_end158:
	.size	_ZN9rocsolver6v33100L12subtract_tauI19rocblas_complex_numIdEPS3_EEviiT0_iilPT_l, .Lfunc_end158-_ZN9rocsolver6v33100L12subtract_tauI19rocblas_complex_numIdEPS3_EEviiT0_iilPT_l
                                        ; -- End function
	.set _ZN9rocsolver6v33100L12subtract_tauI19rocblas_complex_numIdEPS3_EEviiT0_iilPT_l.num_vgpr, 5
	.set _ZN9rocsolver6v33100L12subtract_tauI19rocblas_complex_numIdEPS3_EEviiT0_iilPT_l.num_agpr, 0
	.set _ZN9rocsolver6v33100L12subtract_tauI19rocblas_complex_numIdEPS3_EEviiT0_iilPT_l.numbered_sgpr, 16
	.set _ZN9rocsolver6v33100L12subtract_tauI19rocblas_complex_numIdEPS3_EEviiT0_iilPT_l.num_named_barrier, 0
	.set _ZN9rocsolver6v33100L12subtract_tauI19rocblas_complex_numIdEPS3_EEviiT0_iilPT_l.private_seg_size, 0
	.set _ZN9rocsolver6v33100L12subtract_tauI19rocblas_complex_numIdEPS3_EEviiT0_iilPT_l.uses_vcc, 0
	.set _ZN9rocsolver6v33100L12subtract_tauI19rocblas_complex_numIdEPS3_EEviiT0_iilPT_l.uses_flat_scratch, 0
	.set _ZN9rocsolver6v33100L12subtract_tauI19rocblas_complex_numIdEPS3_EEviiT0_iilPT_l.has_dyn_sized_stack, 0
	.set _ZN9rocsolver6v33100L12subtract_tauI19rocblas_complex_numIdEPS3_EEviiT0_iilPT_l.has_recursion, 0
	.set _ZN9rocsolver6v33100L12subtract_tauI19rocblas_complex_numIdEPS3_EEviiT0_iilPT_l.has_indirect_call, 0
	.section	.AMDGPU.csdata,"",@progbits
; Kernel info:
; codeLenInByte = 212
; TotalNumSgprs: 20
; NumVgprs: 5
; ScratchSize: 0
; MemoryBound: 0
; FloatMode: 240
; IeeeMode: 1
; LDSByteSize: 0 bytes/workgroup (compile time only)
; SGPRBlocks: 2
; VGPRBlocks: 1
; NumSGPRsForWavesPerEU: 20
; NumVGPRsForWavesPerEU: 5
; Occupancy: 10
; WaveLimiterHint : 0
; COMPUTE_PGM_RSRC2:SCRATCH_EN: 0
; COMPUTE_PGM_RSRC2:USER_SGPR: 6
; COMPUTE_PGM_RSRC2:TRAP_HANDLER: 0
; COMPUTE_PGM_RSRC2:TGID_X_EN: 1
; COMPUTE_PGM_RSRC2:TGID_Y_EN: 0
; COMPUTE_PGM_RSRC2:TGID_Z_EN: 0
; COMPUTE_PGM_RSRC2:TIDIG_COMP_CNT: 0
	.section	.text._ZN9rocsolver6v33100L6restauI19rocblas_complex_numIdEEEviPT_l,"axG",@progbits,_ZN9rocsolver6v33100L6restauI19rocblas_complex_numIdEEEviPT_l,comdat
	.globl	_ZN9rocsolver6v33100L6restauI19rocblas_complex_numIdEEEviPT_l ; -- Begin function _ZN9rocsolver6v33100L6restauI19rocblas_complex_numIdEEEviPT_l
	.p2align	8
	.type	_ZN9rocsolver6v33100L6restauI19rocblas_complex_numIdEEEviPT_l,@function
_ZN9rocsolver6v33100L6restauI19rocblas_complex_numIdEEEviPT_l: ; @_ZN9rocsolver6v33100L6restauI19rocblas_complex_numIdEEEviPT_l
; %bb.0:
	s_load_dword s0, s[4:5], 0x24
	s_load_dword s1, s[4:5], 0x0
	s_waitcnt lgkmcnt(0)
	s_and_b32 s0, s0, 0xffff
	s_mul_i32 s6, s6, s0
	v_add_u32_e32 v0, s6, v0
	v_cmp_gt_u32_e32 vcc, s1, v0
	s_and_saveexec_b64 s[0:1], vcc
	s_cbranch_execz .LBB159_2
; %bb.1:
	s_load_dwordx4 s[0:3], s[4:5], 0x8
	v_mov_b32_e32 v1, 0
	v_lshlrev_b64 v[0:1], 4, v[0:1]
	s_waitcnt lgkmcnt(0)
	s_mul_i32 s3, s3, s7
	s_mul_hi_u32 s4, s2, s7
	s_mul_i32 s2, s2, s7
	s_add_i32 s3, s4, s3
	s_lshl_b64 s[2:3], s[2:3], 4
	s_add_u32 s0, s0, s2
	s_addc_u32 s1, s1, s3
	v_mov_b32_e32 v2, s1
	v_add_co_u32_e32 v4, vcc, s0, v0
	v_addc_co_u32_e32 v5, vcc, v2, v1, vcc
	global_load_dwordx4 v[0:3], v[4:5], off
	s_waitcnt vmcnt(0)
	v_xor_b32_e32 v1, 0x80000000, v1
	v_xor_b32_e32 v3, 0x80000000, v3
	global_store_dwordx4 v[4:5], v[0:3], off
.LBB159_2:
	s_endpgm
	.section	.rodata,"a",@progbits
	.p2align	6, 0x0
	.amdhsa_kernel _ZN9rocsolver6v33100L6restauI19rocblas_complex_numIdEEEviPT_l
		.amdhsa_group_segment_fixed_size 0
		.amdhsa_private_segment_fixed_size 0
		.amdhsa_kernarg_size 280
		.amdhsa_user_sgpr_count 6
		.amdhsa_user_sgpr_private_segment_buffer 1
		.amdhsa_user_sgpr_dispatch_ptr 0
		.amdhsa_user_sgpr_queue_ptr 0
		.amdhsa_user_sgpr_kernarg_segment_ptr 1
		.amdhsa_user_sgpr_dispatch_id 0
		.amdhsa_user_sgpr_flat_scratch_init 0
		.amdhsa_user_sgpr_private_segment_size 0
		.amdhsa_uses_dynamic_stack 0
		.amdhsa_system_sgpr_private_segment_wavefront_offset 0
		.amdhsa_system_sgpr_workgroup_id_x 1
		.amdhsa_system_sgpr_workgroup_id_y 1
		.amdhsa_system_sgpr_workgroup_id_z 0
		.amdhsa_system_sgpr_workgroup_info 0
		.amdhsa_system_vgpr_workitem_id 0
		.amdhsa_next_free_vgpr 6
		.amdhsa_next_free_sgpr 8
		.amdhsa_reserve_vcc 1
		.amdhsa_reserve_flat_scratch 0
		.amdhsa_float_round_mode_32 0
		.amdhsa_float_round_mode_16_64 0
		.amdhsa_float_denorm_mode_32 3
		.amdhsa_float_denorm_mode_16_64 3
		.amdhsa_dx10_clamp 1
		.amdhsa_ieee_mode 1
		.amdhsa_fp16_overflow 0
		.amdhsa_exception_fp_ieee_invalid_op 0
		.amdhsa_exception_fp_denorm_src 0
		.amdhsa_exception_fp_ieee_div_zero 0
		.amdhsa_exception_fp_ieee_overflow 0
		.amdhsa_exception_fp_ieee_underflow 0
		.amdhsa_exception_fp_ieee_inexact 0
		.amdhsa_exception_int_div_zero 0
	.end_amdhsa_kernel
	.section	.text._ZN9rocsolver6v33100L6restauI19rocblas_complex_numIdEEEviPT_l,"axG",@progbits,_ZN9rocsolver6v33100L6restauI19rocblas_complex_numIdEEEviPT_l,comdat
.Lfunc_end159:
	.size	_ZN9rocsolver6v33100L6restauI19rocblas_complex_numIdEEEviPT_l, .Lfunc_end159-_ZN9rocsolver6v33100L6restauI19rocblas_complex_numIdEEEviPT_l
                                        ; -- End function
	.set _ZN9rocsolver6v33100L6restauI19rocblas_complex_numIdEEEviPT_l.num_vgpr, 6
	.set _ZN9rocsolver6v33100L6restauI19rocblas_complex_numIdEEEviPT_l.num_agpr, 0
	.set _ZN9rocsolver6v33100L6restauI19rocblas_complex_numIdEEEviPT_l.numbered_sgpr, 8
	.set _ZN9rocsolver6v33100L6restauI19rocblas_complex_numIdEEEviPT_l.num_named_barrier, 0
	.set _ZN9rocsolver6v33100L6restauI19rocblas_complex_numIdEEEviPT_l.private_seg_size, 0
	.set _ZN9rocsolver6v33100L6restauI19rocblas_complex_numIdEEEviPT_l.uses_vcc, 1
	.set _ZN9rocsolver6v33100L6restauI19rocblas_complex_numIdEEEviPT_l.uses_flat_scratch, 0
	.set _ZN9rocsolver6v33100L6restauI19rocblas_complex_numIdEEEviPT_l.has_dyn_sized_stack, 0
	.set _ZN9rocsolver6v33100L6restauI19rocblas_complex_numIdEEEviPT_l.has_recursion, 0
	.set _ZN9rocsolver6v33100L6restauI19rocblas_complex_numIdEEEviPT_l.has_indirect_call, 0
	.section	.AMDGPU.csdata,"",@progbits
; Kernel info:
; codeLenInByte = 152
; TotalNumSgprs: 12
; NumVgprs: 6
; ScratchSize: 0
; MemoryBound: 0
; FloatMode: 240
; IeeeMode: 1
; LDSByteSize: 0 bytes/workgroup (compile time only)
; SGPRBlocks: 1
; VGPRBlocks: 1
; NumSGPRsForWavesPerEU: 12
; NumVGPRsForWavesPerEU: 6
; Occupancy: 10
; WaveLimiterHint : 0
; COMPUTE_PGM_RSRC2:SCRATCH_EN: 0
; COMPUTE_PGM_RSRC2:USER_SGPR: 6
; COMPUTE_PGM_RSRC2:TRAP_HANDLER: 0
; COMPUTE_PGM_RSRC2:TGID_X_EN: 1
; COMPUTE_PGM_RSRC2:TGID_Y_EN: 1
; COMPUTE_PGM_RSRC2:TGID_Z_EN: 0
; COMPUTE_PGM_RSRC2:TIDIG_COMP_CNT: 0
	.section	.text._ZN9rocsolver6v33100L8set_zeroI19rocblas_complex_numIdEPS3_EEviiT0_iil13rocblas_fill_,"axG",@progbits,_ZN9rocsolver6v33100L8set_zeroI19rocblas_complex_numIdEPS3_EEviiT0_iil13rocblas_fill_,comdat
	.globl	_ZN9rocsolver6v33100L8set_zeroI19rocblas_complex_numIdEPS3_EEviiT0_iil13rocblas_fill_ ; -- Begin function _ZN9rocsolver6v33100L8set_zeroI19rocblas_complex_numIdEPS3_EEviiT0_iil13rocblas_fill_
	.p2align	8
	.type	_ZN9rocsolver6v33100L8set_zeroI19rocblas_complex_numIdEPS3_EEviiT0_iil13rocblas_fill_,@function
_ZN9rocsolver6v33100L8set_zeroI19rocblas_complex_numIdEPS3_EEviiT0_iil13rocblas_fill_: ; @_ZN9rocsolver6v33100L8set_zeroI19rocblas_complex_numIdEPS3_EEviiT0_iil13rocblas_fill_
; %bb.0:
	s_load_dword s2, s[4:5], 0x34
	s_load_dwordx2 s[0:1], s[4:5], 0x0
	s_waitcnt lgkmcnt(0)
	s_lshr_b32 s3, s2, 16
	s_and_b32 s2, s2, 0xffff
	s_mul_i32 s6, s6, s2
	s_mul_i32 s7, s7, s3
	v_add_u32_e32 v0, s6, v0
	v_add_u32_e32 v1, s7, v1
	v_cmp_gt_u32_e32 vcc, s0, v0
	v_cmp_gt_u32_e64 s[0:1], s1, v1
	s_and_b64 s[0:1], vcc, s[0:1]
	s_and_saveexec_b64 s[2:3], s[0:1]
	s_cbranch_execz .LBB160_12
; %bb.1:
	s_load_dword s6, s[4:5], 0x20
	s_waitcnt lgkmcnt(0)
	s_cmpk_lt_i32 s6, 0x7a
	s_cbranch_scc1 .LBB160_4
; %bb.2:
	s_cmpk_gt_i32 s6, 0x7a
	s_cbranch_scc0 .LBB160_5
; %bb.3:
	s_cmpk_eq_i32 s6, 0x7b
	s_cselect_b64 s[0:1], -1, 0
	s_cbranch_execz .LBB160_6
	s_branch .LBB160_7
.LBB160_4:
	s_mov_b64 s[0:1], 0
	s_cbranch_execnz .LBB160_8
	s_branch .LBB160_10
.LBB160_5:
	s_mov_b64 s[0:1], 0
.LBB160_6:
	v_cmp_gt_u32_e32 vcc, v1, v0
	s_andn2_b64 s[0:1], s[0:1], exec
	s_and_b64 s[2:3], vcc, exec
	s_or_b64 s[0:1], s[0:1], s[2:3]
.LBB160_7:
	s_branch .LBB160_10
.LBB160_8:
	s_cmpk_eq_i32 s6, 0x79
	s_cbranch_scc0 .LBB160_10
; %bb.9:
	v_cmp_gt_u32_e32 vcc, v0, v1
	s_andn2_b64 s[0:1], s[0:1], exec
	s_and_b64 s[2:3], vcc, exec
	s_or_b64 s[0:1], s[0:1], s[2:3]
.LBB160_10:
	s_and_b64 exec, exec, s[0:1]
	s_cbranch_execz .LBB160_12
; %bb.11:
	s_load_dwordx4 s[0:3], s[4:5], 0x8
	s_load_dwordx2 s[6:7], s[4:5], 0x18
	s_waitcnt lgkmcnt(0)
	s_ashr_i32 s5, s2, 31
	s_mov_b32 s4, s2
	s_mul_i32 s2, s7, s8
	s_mul_hi_u32 s7, s6, s8
	s_add_i32 s7, s7, s2
	s_mul_i32 s6, s6, s8
	v_mad_u64_u32 v[0:1], s[2:3], v1, s3, v[0:1]
	s_lshl_b64 s[6:7], s[6:7], 4
	s_add_u32 s6, s0, s6
	s_addc_u32 s7, s1, s7
	s_lshl_b64 s[0:1], s[4:5], 4
	v_mov_b32_e32 v1, 0
	s_add_u32 s0, s6, s0
	v_lshlrev_b64 v[2:3], 4, v[0:1]
	s_addc_u32 s1, s7, s1
	v_mov_b32_e32 v0, s1
	v_add_co_u32_e32 v4, vcc, s0, v2
	v_addc_co_u32_e32 v5, vcc, v0, v3, vcc
	v_mov_b32_e32 v0, v1
	v_mov_b32_e32 v2, v1
	;; [unrolled: 1-line block ×3, first 2 shown]
	global_store_dwordx4 v[4:5], v[0:3], off
.LBB160_12:
	s_endpgm
	.section	.rodata,"a",@progbits
	.p2align	6, 0x0
	.amdhsa_kernel _ZN9rocsolver6v33100L8set_zeroI19rocblas_complex_numIdEPS3_EEviiT0_iil13rocblas_fill_
		.amdhsa_group_segment_fixed_size 0
		.amdhsa_private_segment_fixed_size 0
		.amdhsa_kernarg_size 296
		.amdhsa_user_sgpr_count 6
		.amdhsa_user_sgpr_private_segment_buffer 1
		.amdhsa_user_sgpr_dispatch_ptr 0
		.amdhsa_user_sgpr_queue_ptr 0
		.amdhsa_user_sgpr_kernarg_segment_ptr 1
		.amdhsa_user_sgpr_dispatch_id 0
		.amdhsa_user_sgpr_flat_scratch_init 0
		.amdhsa_user_sgpr_private_segment_size 0
		.amdhsa_uses_dynamic_stack 0
		.amdhsa_system_sgpr_private_segment_wavefront_offset 0
		.amdhsa_system_sgpr_workgroup_id_x 1
		.amdhsa_system_sgpr_workgroup_id_y 1
		.amdhsa_system_sgpr_workgroup_id_z 1
		.amdhsa_system_sgpr_workgroup_info 0
		.amdhsa_system_vgpr_workitem_id 1
		.amdhsa_next_free_vgpr 6
		.amdhsa_next_free_sgpr 9
		.amdhsa_reserve_vcc 1
		.amdhsa_reserve_flat_scratch 0
		.amdhsa_float_round_mode_32 0
		.amdhsa_float_round_mode_16_64 0
		.amdhsa_float_denorm_mode_32 3
		.amdhsa_float_denorm_mode_16_64 3
		.amdhsa_dx10_clamp 1
		.amdhsa_ieee_mode 1
		.amdhsa_fp16_overflow 0
		.amdhsa_exception_fp_ieee_invalid_op 0
		.amdhsa_exception_fp_denorm_src 0
		.amdhsa_exception_fp_ieee_div_zero 0
		.amdhsa_exception_fp_ieee_overflow 0
		.amdhsa_exception_fp_ieee_underflow 0
		.amdhsa_exception_fp_ieee_inexact 0
		.amdhsa_exception_int_div_zero 0
	.end_amdhsa_kernel
	.section	.text._ZN9rocsolver6v33100L8set_zeroI19rocblas_complex_numIdEPS3_EEviiT0_iil13rocblas_fill_,"axG",@progbits,_ZN9rocsolver6v33100L8set_zeroI19rocblas_complex_numIdEPS3_EEviiT0_iil13rocblas_fill_,comdat
.Lfunc_end160:
	.size	_ZN9rocsolver6v33100L8set_zeroI19rocblas_complex_numIdEPS3_EEviiT0_iil13rocblas_fill_, .Lfunc_end160-_ZN9rocsolver6v33100L8set_zeroI19rocblas_complex_numIdEPS3_EEviiT0_iil13rocblas_fill_
                                        ; -- End function
	.set _ZN9rocsolver6v33100L8set_zeroI19rocblas_complex_numIdEPS3_EEviiT0_iil13rocblas_fill_.num_vgpr, 6
	.set _ZN9rocsolver6v33100L8set_zeroI19rocblas_complex_numIdEPS3_EEviiT0_iil13rocblas_fill_.num_agpr, 0
	.set _ZN9rocsolver6v33100L8set_zeroI19rocblas_complex_numIdEPS3_EEviiT0_iil13rocblas_fill_.numbered_sgpr, 9
	.set _ZN9rocsolver6v33100L8set_zeroI19rocblas_complex_numIdEPS3_EEviiT0_iil13rocblas_fill_.num_named_barrier, 0
	.set _ZN9rocsolver6v33100L8set_zeroI19rocblas_complex_numIdEPS3_EEviiT0_iil13rocblas_fill_.private_seg_size, 0
	.set _ZN9rocsolver6v33100L8set_zeroI19rocblas_complex_numIdEPS3_EEviiT0_iil13rocblas_fill_.uses_vcc, 1
	.set _ZN9rocsolver6v33100L8set_zeroI19rocblas_complex_numIdEPS3_EEviiT0_iil13rocblas_fill_.uses_flat_scratch, 0
	.set _ZN9rocsolver6v33100L8set_zeroI19rocblas_complex_numIdEPS3_EEviiT0_iil13rocblas_fill_.has_dyn_sized_stack, 0
	.set _ZN9rocsolver6v33100L8set_zeroI19rocblas_complex_numIdEPS3_EEviiT0_iil13rocblas_fill_.has_recursion, 0
	.set _ZN9rocsolver6v33100L8set_zeroI19rocblas_complex_numIdEPS3_EEviiT0_iil13rocblas_fill_.has_indirect_call, 0
	.section	.AMDGPU.csdata,"",@progbits
; Kernel info:
; codeLenInByte = 308
; TotalNumSgprs: 13
; NumVgprs: 6
; ScratchSize: 0
; MemoryBound: 0
; FloatMode: 240
; IeeeMode: 1
; LDSByteSize: 0 bytes/workgroup (compile time only)
; SGPRBlocks: 1
; VGPRBlocks: 1
; NumSGPRsForWavesPerEU: 13
; NumVGPRsForWavesPerEU: 6
; Occupancy: 10
; WaveLimiterHint : 0
; COMPUTE_PGM_RSRC2:SCRATCH_EN: 0
; COMPUTE_PGM_RSRC2:USER_SGPR: 6
; COMPUTE_PGM_RSRC2:TRAP_HANDLER: 0
; COMPUTE_PGM_RSRC2:TGID_X_EN: 1
; COMPUTE_PGM_RSRC2:TGID_Y_EN: 1
; COMPUTE_PGM_RSRC2:TGID_Z_EN: 1
; COMPUTE_PGM_RSRC2:TIDIG_COMP_CNT: 1
	.section	.text._ZN9rocsolver6v33100L14copy_trans_matI19rocblas_complex_numIdES3_PS3_S4_NS0_7no_maskEEEv18rocblas_operation_iiT1_iilT2_iilT3_13rocblas_fill_17rocblas_diagonal_,"axG",@progbits,_ZN9rocsolver6v33100L14copy_trans_matI19rocblas_complex_numIdES3_PS3_S4_NS0_7no_maskEEEv18rocblas_operation_iiT1_iilT2_iilT3_13rocblas_fill_17rocblas_diagonal_,comdat
	.globl	_ZN9rocsolver6v33100L14copy_trans_matI19rocblas_complex_numIdES3_PS3_S4_NS0_7no_maskEEEv18rocblas_operation_iiT1_iilT2_iilT3_13rocblas_fill_17rocblas_diagonal_ ; -- Begin function _ZN9rocsolver6v33100L14copy_trans_matI19rocblas_complex_numIdES3_PS3_S4_NS0_7no_maskEEEv18rocblas_operation_iiT1_iilT2_iilT3_13rocblas_fill_17rocblas_diagonal_
	.p2align	8
	.type	_ZN9rocsolver6v33100L14copy_trans_matI19rocblas_complex_numIdES3_PS3_S4_NS0_7no_maskEEEv18rocblas_operation_iiT1_iilT2_iilT3_13rocblas_fill_17rocblas_diagonal_,@function
_ZN9rocsolver6v33100L14copy_trans_matI19rocblas_complex_numIdES3_PS3_S4_NS0_7no_maskEEEv18rocblas_operation_iiT1_iilT2_iilT3_13rocblas_fill_17rocblas_diagonal_: ; @_ZN9rocsolver6v33100L14copy_trans_matI19rocblas_complex_numIdES3_PS3_S4_NS0_7no_maskEEEv18rocblas_operation_iiT1_iilT2_iilT3_13rocblas_fill_17rocblas_diagonal_
; %bb.0:
	s_load_dword s0, s[4:5], 0x5c
	s_load_dwordx4 s[12:15], s[4:5], 0x0
	s_waitcnt lgkmcnt(0)
	s_lshr_b32 s1, s0, 16
	s_and_b32 s0, s0, 0xffff
	s_mul_i32 s7, s7, s1
	s_mul_i32 s6, s6, s0
	v_add_u32_e32 v1, s7, v1
	v_add_u32_e32 v0, s6, v0
	v_cmp_gt_u32_e32 vcc, s13, v0
	v_cmp_gt_u32_e64 s[0:1], s14, v1
	s_and_b64 s[0:1], s[0:1], vcc
	s_and_saveexec_b64 s[2:3], s[0:1]
	s_cbranch_execz .LBB161_18
; %bb.1:
	s_load_dwordx2 s[2:3], s[4:5], 0x44
	s_waitcnt lgkmcnt(0)
	s_cmpk_lt_i32 s2, 0x7a
	s_cbranch_scc1 .LBB161_4
; %bb.2:
	s_cmpk_gt_i32 s2, 0x7a
	s_cbranch_scc0 .LBB161_5
; %bb.3:
	s_cmpk_lg_i32 s2, 0x7b
	s_mov_b64 s[6:7], -1
	s_cselect_b64 s[10:11], -1, 0
	s_cbranch_execz .LBB161_6
	s_branch .LBB161_7
.LBB161_4:
	s_mov_b64 s[10:11], 0
	s_mov_b64 s[6:7], 0
	s_cbranch_execnz .LBB161_8
	s_branch .LBB161_10
.LBB161_5:
	s_mov_b64 s[6:7], 0
	s_mov_b64 s[10:11], 0
.LBB161_6:
	v_cmp_gt_u32_e32 vcc, v0, v1
	v_cmp_le_u32_e64 s[0:1], v0, v1
	s_andn2_b64 s[6:7], s[6:7], exec
	s_and_b64 s[14:15], vcc, exec
	s_andn2_b64 s[10:11], s[10:11], exec
	s_and_b64 s[0:1], s[0:1], exec
	s_or_b64 s[6:7], s[6:7], s[14:15]
	s_or_b64 s[10:11], s[10:11], s[0:1]
.LBB161_7:
	s_branch .LBB161_10
.LBB161_8:
	s_cmpk_eq_i32 s2, 0x79
	s_mov_b64 s[10:11], -1
	s_cbranch_scc0 .LBB161_10
; %bb.9:
	v_cmp_gt_u32_e32 vcc, v1, v0
	v_cmp_le_u32_e64 s[0:1], v1, v0
	s_andn2_b64 s[6:7], s[6:7], exec
	s_and_b64 s[10:11], vcc, exec
	s_or_b64 s[6:7], s[6:7], s[10:11]
	s_orn2_b64 s[10:11], s[0:1], exec
.LBB161_10:
	s_and_saveexec_b64 s[0:1], s[10:11]
; %bb.11:
	s_cmpk_eq_i32 s3, 0x83
	s_cselect_b64 s[2:3], -1, 0
	v_cmp_eq_u32_e32 vcc, v0, v1
	s_and_b64 s[2:3], s[2:3], vcc
	s_andn2_b64 s[6:7], s[6:7], exec
	s_and_b64 s[2:3], s[2:3], exec
	s_or_b64 s[6:7], s[6:7], s[2:3]
; %bb.12:
	s_or_b64 exec, exec, s[0:1]
	s_and_b64 exec, exec, s[6:7]
	s_cbranch_execz .LBB161_18
; %bb.13:
	s_load_dwordx8 s[16:23], s[4:5], 0x10
	s_load_dwordx4 s[0:3], s[4:5], 0x30
	s_waitcnt lgkmcnt(0)
	s_mul_i32 s6, s21, s8
	s_mul_hi_u32 s7, s20, s8
	s_add_i32 s7, s7, s6
	s_mul_i32 s6, s20, s8
	s_ashr_i32 s5, s18, 31
	s_lshl_b64 s[6:7], s[6:7], 4
	s_mov_b32 s4, s18
	s_add_u32 s6, s16, s6
	s_addc_u32 s7, s17, s7
	s_lshl_b64 s[4:5], s[4:5], 4
	s_add_u32 s6, s6, s4
	s_addc_u32 s7, s7, s5
	s_ashr_i32 s5, s0, 31
	s_mov_b32 s4, s0
	s_mul_i32 s0, s3, s8
	s_mul_hi_u32 s3, s2, s8
	s_add_i32 s3, s3, s0
	s_mul_i32 s2, s2, s8
	s_lshl_b64 s[2:3], s[2:3], 4
	s_add_u32 s0, s22, s2
	s_addc_u32 s8, s23, s3
	s_lshl_b64 s[2:3], s[4:5], 4
	v_mad_u64_u32 v[2:3], s[4:5], v1, s19, v[0:1]
	v_mov_b32_e32 v3, 0
	s_add_u32 s0, s0, s2
	v_lshlrev_b64 v[2:3], 4, v[2:3]
	s_addc_u32 s8, s8, s3
	v_mov_b32_e32 v4, s7
	v_add_co_u32_e32 v2, vcc, s6, v2
	v_addc_co_u32_e32 v3, vcc, v4, v3, vcc
	s_mov_b64 s[6:7], -1
	s_mov_b64 s[2:3], 0
	s_cmpk_lt_i32 s12, 0x71
	s_mov_b64 s[4:5], 0
	s_cbranch_scc0 .LBB161_19
; %bb.14:
	s_and_b64 vcc, exec, s[6:7]
	s_cbranch_vccnz .LBB161_22
.LBB161_15:
	s_andn2_b64 vcc, exec, s[4:5]
	s_cbranch_vccz .LBB161_23
.LBB161_16:
	s_andn2_b64 vcc, exec, s[2:3]
	s_cbranch_vccnz .LBB161_18
.LBB161_17:
	global_load_dwordx4 v[2:5], v[2:3], off
	v_mov_b32_e32 v6, s8
	s_waitcnt vmcnt(0)
	v_mad_u64_u32 v[0:1], s[2:3], v0, s1, v[1:2]
	v_mov_b32_e32 v1, 0
	v_lshlrev_b64 v[0:1], 4, v[0:1]
	v_add_co_u32_e32 v0, vcc, s0, v0
	v_addc_co_u32_e32 v1, vcc, v6, v1, vcc
	global_store_dwordx4 v[0:1], v[2:5], off
.LBB161_18:
	s_endpgm
.LBB161_19:
	s_cmpk_eq_i32 s12, 0x71
	s_mov_b64 s[4:5], -1
	s_cbranch_scc0 .LBB161_21
; %bb.20:
	global_load_dwordx4 v[4:7], v[2:3], off
	v_mad_u64_u32 v[8:9], s[4:5], v0, s1, v[1:2]
	v_mov_b32_e32 v9, 0
	v_mov_b32_e32 v10, s8
	v_lshlrev_b64 v[8:9], 4, v[8:9]
	s_mov_b64 s[4:5], 0
	v_add_co_u32_e32 v8, vcc, s0, v8
	v_addc_co_u32_e32 v9, vcc, v10, v9, vcc
	s_waitcnt vmcnt(0)
	v_xor_b32_e32 v7, 0x80000000, v7
	global_store_dwordx4 v[8:9], v[4:7], off
.LBB161_21:
	s_branch .LBB161_15
.LBB161_22:
	s_cmpk_lg_i32 s12, 0x70
	s_mov_b64 s[2:3], -1
	s_cselect_b64 s[4:5], -1, 0
	s_andn2_b64 vcc, exec, s[4:5]
	s_cbranch_vccnz .LBB161_16
.LBB161_23:
	global_load_dwordx4 v[4:7], v[2:3], off
	v_mad_u64_u32 v[8:9], s[2:3], v1, s1, v[0:1]
	v_mov_b32_e32 v9, 0
	v_mov_b32_e32 v10, s8
	v_lshlrev_b64 v[8:9], 4, v[8:9]
	v_add_co_u32_e32 v8, vcc, s0, v8
	v_addc_co_u32_e32 v9, vcc, v10, v9, vcc
	s_waitcnt vmcnt(0)
	global_store_dwordx4 v[8:9], v[4:7], off
	s_cbranch_execz .LBB161_17
	s_branch .LBB161_18
	.section	.rodata,"a",@progbits
	.p2align	6, 0x0
	.amdhsa_kernel _ZN9rocsolver6v33100L14copy_trans_matI19rocblas_complex_numIdES3_PS3_S4_NS0_7no_maskEEEv18rocblas_operation_iiT1_iilT2_iilT3_13rocblas_fill_17rocblas_diagonal_
		.amdhsa_group_segment_fixed_size 0
		.amdhsa_private_segment_fixed_size 0
		.amdhsa_kernarg_size 336
		.amdhsa_user_sgpr_count 6
		.amdhsa_user_sgpr_private_segment_buffer 1
		.amdhsa_user_sgpr_dispatch_ptr 0
		.amdhsa_user_sgpr_queue_ptr 0
		.amdhsa_user_sgpr_kernarg_segment_ptr 1
		.amdhsa_user_sgpr_dispatch_id 0
		.amdhsa_user_sgpr_flat_scratch_init 0
		.amdhsa_user_sgpr_private_segment_size 0
		.amdhsa_uses_dynamic_stack 0
		.amdhsa_system_sgpr_private_segment_wavefront_offset 0
		.amdhsa_system_sgpr_workgroup_id_x 1
		.amdhsa_system_sgpr_workgroup_id_y 1
		.amdhsa_system_sgpr_workgroup_id_z 1
		.amdhsa_system_sgpr_workgroup_info 0
		.amdhsa_system_vgpr_workitem_id 1
		.amdhsa_next_free_vgpr 11
		.amdhsa_next_free_sgpr 24
		.amdhsa_reserve_vcc 1
		.amdhsa_reserve_flat_scratch 0
		.amdhsa_float_round_mode_32 0
		.amdhsa_float_round_mode_16_64 0
		.amdhsa_float_denorm_mode_32 3
		.amdhsa_float_denorm_mode_16_64 3
		.amdhsa_dx10_clamp 1
		.amdhsa_ieee_mode 1
		.amdhsa_fp16_overflow 0
		.amdhsa_exception_fp_ieee_invalid_op 0
		.amdhsa_exception_fp_denorm_src 0
		.amdhsa_exception_fp_ieee_div_zero 0
		.amdhsa_exception_fp_ieee_overflow 0
		.amdhsa_exception_fp_ieee_underflow 0
		.amdhsa_exception_fp_ieee_inexact 0
		.amdhsa_exception_int_div_zero 0
	.end_amdhsa_kernel
	.section	.text._ZN9rocsolver6v33100L14copy_trans_matI19rocblas_complex_numIdES3_PS3_S4_NS0_7no_maskEEEv18rocblas_operation_iiT1_iilT2_iilT3_13rocblas_fill_17rocblas_diagonal_,"axG",@progbits,_ZN9rocsolver6v33100L14copy_trans_matI19rocblas_complex_numIdES3_PS3_S4_NS0_7no_maskEEEv18rocblas_operation_iiT1_iilT2_iilT3_13rocblas_fill_17rocblas_diagonal_,comdat
.Lfunc_end161:
	.size	_ZN9rocsolver6v33100L14copy_trans_matI19rocblas_complex_numIdES3_PS3_S4_NS0_7no_maskEEEv18rocblas_operation_iiT1_iilT2_iilT3_13rocblas_fill_17rocblas_diagonal_, .Lfunc_end161-_ZN9rocsolver6v33100L14copy_trans_matI19rocblas_complex_numIdES3_PS3_S4_NS0_7no_maskEEEv18rocblas_operation_iiT1_iilT2_iilT3_13rocblas_fill_17rocblas_diagonal_
                                        ; -- End function
	.set _ZN9rocsolver6v33100L14copy_trans_matI19rocblas_complex_numIdES3_PS3_S4_NS0_7no_maskEEEv18rocblas_operation_iiT1_iilT2_iilT3_13rocblas_fill_17rocblas_diagonal_.num_vgpr, 11
	.set _ZN9rocsolver6v33100L14copy_trans_matI19rocblas_complex_numIdES3_PS3_S4_NS0_7no_maskEEEv18rocblas_operation_iiT1_iilT2_iilT3_13rocblas_fill_17rocblas_diagonal_.num_agpr, 0
	.set _ZN9rocsolver6v33100L14copy_trans_matI19rocblas_complex_numIdES3_PS3_S4_NS0_7no_maskEEEv18rocblas_operation_iiT1_iilT2_iilT3_13rocblas_fill_17rocblas_diagonal_.numbered_sgpr, 24
	.set _ZN9rocsolver6v33100L14copy_trans_matI19rocblas_complex_numIdES3_PS3_S4_NS0_7no_maskEEEv18rocblas_operation_iiT1_iilT2_iilT3_13rocblas_fill_17rocblas_diagonal_.num_named_barrier, 0
	.set _ZN9rocsolver6v33100L14copy_trans_matI19rocblas_complex_numIdES3_PS3_S4_NS0_7no_maskEEEv18rocblas_operation_iiT1_iilT2_iilT3_13rocblas_fill_17rocblas_diagonal_.private_seg_size, 0
	.set _ZN9rocsolver6v33100L14copy_trans_matI19rocblas_complex_numIdES3_PS3_S4_NS0_7no_maskEEEv18rocblas_operation_iiT1_iilT2_iilT3_13rocblas_fill_17rocblas_diagonal_.uses_vcc, 1
	.set _ZN9rocsolver6v33100L14copy_trans_matI19rocblas_complex_numIdES3_PS3_S4_NS0_7no_maskEEEv18rocblas_operation_iiT1_iilT2_iilT3_13rocblas_fill_17rocblas_diagonal_.uses_flat_scratch, 0
	.set _ZN9rocsolver6v33100L14copy_trans_matI19rocblas_complex_numIdES3_PS3_S4_NS0_7no_maskEEEv18rocblas_operation_iiT1_iilT2_iilT3_13rocblas_fill_17rocblas_diagonal_.has_dyn_sized_stack, 0
	.set _ZN9rocsolver6v33100L14copy_trans_matI19rocblas_complex_numIdES3_PS3_S4_NS0_7no_maskEEEv18rocblas_operation_iiT1_iilT2_iilT3_13rocblas_fill_17rocblas_diagonal_.has_recursion, 0
	.set _ZN9rocsolver6v33100L14copy_trans_matI19rocblas_complex_numIdES3_PS3_S4_NS0_7no_maskEEEv18rocblas_operation_iiT1_iilT2_iilT3_13rocblas_fill_17rocblas_diagonal_.has_indirect_call, 0
	.section	.AMDGPU.csdata,"",@progbits
; Kernel info:
; codeLenInByte = 676
; TotalNumSgprs: 28
; NumVgprs: 11
; ScratchSize: 0
; MemoryBound: 0
; FloatMode: 240
; IeeeMode: 1
; LDSByteSize: 0 bytes/workgroup (compile time only)
; SGPRBlocks: 3
; VGPRBlocks: 2
; NumSGPRsForWavesPerEU: 28
; NumVGPRsForWavesPerEU: 11
; Occupancy: 10
; WaveLimiterHint : 0
; COMPUTE_PGM_RSRC2:SCRATCH_EN: 0
; COMPUTE_PGM_RSRC2:USER_SGPR: 6
; COMPUTE_PGM_RSRC2:TRAP_HANDLER: 0
; COMPUTE_PGM_RSRC2:TGID_X_EN: 1
; COMPUTE_PGM_RSRC2:TGID_Y_EN: 1
; COMPUTE_PGM_RSRC2:TGID_Z_EN: 1
; COMPUTE_PGM_RSRC2:TIDIG_COMP_CNT: 1
	.section	.text._ZN9rocsolver6v33100L8set_diagI19rocblas_complex_numIdEiS3_PS3_TnNSt9enable_ifIXoont18rocblas_is_complexIT_E18rocblas_is_complexIT1_EEiE4typeELi0EEEvPS7_llT2_lT0_lSC_b,"axG",@progbits,_ZN9rocsolver6v33100L8set_diagI19rocblas_complex_numIdEiS3_PS3_TnNSt9enable_ifIXoont18rocblas_is_complexIT_E18rocblas_is_complexIT1_EEiE4typeELi0EEEvPS7_llT2_lT0_lSC_b,comdat
	.globl	_ZN9rocsolver6v33100L8set_diagI19rocblas_complex_numIdEiS3_PS3_TnNSt9enable_ifIXoont18rocblas_is_complexIT_E18rocblas_is_complexIT1_EEiE4typeELi0EEEvPS7_llT2_lT0_lSC_b ; -- Begin function _ZN9rocsolver6v33100L8set_diagI19rocblas_complex_numIdEiS3_PS3_TnNSt9enable_ifIXoont18rocblas_is_complexIT_E18rocblas_is_complexIT1_EEiE4typeELi0EEEvPS7_llT2_lT0_lSC_b
	.p2align	8
	.type	_ZN9rocsolver6v33100L8set_diagI19rocblas_complex_numIdEiS3_PS3_TnNSt9enable_ifIXoont18rocblas_is_complexIT_E18rocblas_is_complexIT1_EEiE4typeELi0EEEvPS7_llT2_lT0_lSC_b,@function
_ZN9rocsolver6v33100L8set_diagI19rocblas_complex_numIdEiS3_PS3_TnNSt9enable_ifIXoont18rocblas_is_complexIT_E18rocblas_is_complexIT1_EEiE4typeELi0EEEvPS7_llT2_lT0_lSC_b: ; @_ZN9rocsolver6v33100L8set_diagI19rocblas_complex_numIdEiS3_PS3_TnNSt9enable_ifIXoont18rocblas_is_complexIT_E18rocblas_is_complexIT1_EEiE4typeELi0EEEvPS7_llT2_lT0_lSC_b
; %bb.0:
	s_load_dword s2, s[4:5], 0x4c
	s_load_dwordx2 s[0:1], s[4:5], 0x38
	s_waitcnt lgkmcnt(0)
	s_lshr_b32 s2, s2, 16
	s_mul_i32 s7, s7, s2
	v_add_u32_e32 v0, s7, v1
	v_cmp_gt_i32_e32 vcc, s0, v0
	s_and_saveexec_b64 s[2:3], vcc
	s_cbranch_execz .LBB162_5
; %bb.1:
	s_load_dwordx2 s[2:3], s[4:5], 0x20
	s_load_dword s7, s[4:5], 0x28
	s_load_dwordx2 s[16:17], s[4:5], 0x30
	s_load_dwordx8 s[8:15], s[4:5], 0x0
	s_bitcmp1_b32 s1, 0
	s_cselect_b64 s[0:1], -1, 0
	s_ashr_i32 s18, s6, 31
	s_waitcnt lgkmcnt(0)
	s_mul_hi_u32 s4, s16, s6
	s_mul_i32 s5, s16, s18
	s_add_i32 s4, s4, s5
	s_mul_i32 s5, s17, s6
	s_add_i32 s5, s4, s5
	s_mul_i32 s4, s16, s6
	s_lshl_b64 s[4:5], s[4:5], 4
	s_add_u32 s14, s14, s4
	s_addc_u32 s15, s15, s5
	v_mad_u64_u32 v[1:2], s[4:5], v0, s7, v[0:1]
	s_lshl_b64 s[2:3], s[2:3], 4
	s_add_u32 s2, s14, s2
	v_ashrrev_i32_e32 v2, 31, v1
	v_lshlrev_b64 v[1:2], 4, v[1:2]
	s_addc_u32 s3, s15, s3
	v_mov_b32_e32 v3, s3
	v_add_co_u32_e32 v4, vcc, s2, v1
	v_addc_co_u32_e32 v5, vcc, v3, v2, vcc
	global_load_dwordx4 v[6:9], v[4:5], off
	s_mul_hi_u32 s3, s12, s6
	s_mul_i32 s4, s12, s18
	s_mul_i32 s5, s13, s6
	s_add_i32 s3, s3, s4
	s_mul_i32 s2, s12, s6
	s_add_i32 s3, s3, s5
	s_lshl_b64 s[2:3], s[2:3], 4
	s_add_u32 s4, s8, s2
	v_ashrrev_i32_e32 v1, 31, v0
	s_addc_u32 s5, s9, s3
	s_lshl_b64 s[2:3], s[10:11], 4
	v_lshlrev_b64 v[0:1], 4, v[0:1]
	s_add_u32 s2, s4, s2
	s_addc_u32 s3, s5, s3
	s_and_b64 vcc, exec, s[0:1]
	v_mov_b32_e32 v2, s3
	v_add_co_u32_e64 v0, s[0:1], s2, v0
	v_addc_co_u32_e64 v1, s[0:1], v2, v1, s[0:1]
	s_waitcnt vmcnt(0)
	global_store_dwordx4 v[0:1], v[6:9], off
	s_cbranch_vccnz .LBB162_3
; %bb.2:
	global_load_dwordx4 v[0:3], v[4:5], off
	s_branch .LBB162_4
.LBB162_3:
	v_mov_b32_e32 v0, 0
	v_mov_b32_e32 v2, 0
	;; [unrolled: 1-line block ×4, first 2 shown]
.LBB162_4:
	s_waitcnt vmcnt(0)
	global_store_dwordx4 v[4:5], v[0:3], off
.LBB162_5:
	s_endpgm
	.section	.rodata,"a",@progbits
	.p2align	6, 0x0
	.amdhsa_kernel _ZN9rocsolver6v33100L8set_diagI19rocblas_complex_numIdEiS3_PS3_TnNSt9enable_ifIXoont18rocblas_is_complexIT_E18rocblas_is_complexIT1_EEiE4typeELi0EEEvPS7_llT2_lT0_lSC_b
		.amdhsa_group_segment_fixed_size 0
		.amdhsa_private_segment_fixed_size 0
		.amdhsa_kernarg_size 320
		.amdhsa_user_sgpr_count 6
		.amdhsa_user_sgpr_private_segment_buffer 1
		.amdhsa_user_sgpr_dispatch_ptr 0
		.amdhsa_user_sgpr_queue_ptr 0
		.amdhsa_user_sgpr_kernarg_segment_ptr 1
		.amdhsa_user_sgpr_dispatch_id 0
		.amdhsa_user_sgpr_flat_scratch_init 0
		.amdhsa_user_sgpr_private_segment_size 0
		.amdhsa_uses_dynamic_stack 0
		.amdhsa_system_sgpr_private_segment_wavefront_offset 0
		.amdhsa_system_sgpr_workgroup_id_x 1
		.amdhsa_system_sgpr_workgroup_id_y 1
		.amdhsa_system_sgpr_workgroup_id_z 0
		.amdhsa_system_sgpr_workgroup_info 0
		.amdhsa_system_vgpr_workitem_id 1
		.amdhsa_next_free_vgpr 10
		.amdhsa_next_free_sgpr 19
		.amdhsa_reserve_vcc 1
		.amdhsa_reserve_flat_scratch 0
		.amdhsa_float_round_mode_32 0
		.amdhsa_float_round_mode_16_64 0
		.amdhsa_float_denorm_mode_32 3
		.amdhsa_float_denorm_mode_16_64 3
		.amdhsa_dx10_clamp 1
		.amdhsa_ieee_mode 1
		.amdhsa_fp16_overflow 0
		.amdhsa_exception_fp_ieee_invalid_op 0
		.amdhsa_exception_fp_denorm_src 0
		.amdhsa_exception_fp_ieee_div_zero 0
		.amdhsa_exception_fp_ieee_overflow 0
		.amdhsa_exception_fp_ieee_underflow 0
		.amdhsa_exception_fp_ieee_inexact 0
		.amdhsa_exception_int_div_zero 0
	.end_amdhsa_kernel
	.section	.text._ZN9rocsolver6v33100L8set_diagI19rocblas_complex_numIdEiS3_PS3_TnNSt9enable_ifIXoont18rocblas_is_complexIT_E18rocblas_is_complexIT1_EEiE4typeELi0EEEvPS7_llT2_lT0_lSC_b,"axG",@progbits,_ZN9rocsolver6v33100L8set_diagI19rocblas_complex_numIdEiS3_PS3_TnNSt9enable_ifIXoont18rocblas_is_complexIT_E18rocblas_is_complexIT1_EEiE4typeELi0EEEvPS7_llT2_lT0_lSC_b,comdat
.Lfunc_end162:
	.size	_ZN9rocsolver6v33100L8set_diagI19rocblas_complex_numIdEiS3_PS3_TnNSt9enable_ifIXoont18rocblas_is_complexIT_E18rocblas_is_complexIT1_EEiE4typeELi0EEEvPS7_llT2_lT0_lSC_b, .Lfunc_end162-_ZN9rocsolver6v33100L8set_diagI19rocblas_complex_numIdEiS3_PS3_TnNSt9enable_ifIXoont18rocblas_is_complexIT_E18rocblas_is_complexIT1_EEiE4typeELi0EEEvPS7_llT2_lT0_lSC_b
                                        ; -- End function
	.set _ZN9rocsolver6v33100L8set_diagI19rocblas_complex_numIdEiS3_PS3_TnNSt9enable_ifIXoont18rocblas_is_complexIT_E18rocblas_is_complexIT1_EEiE4typeELi0EEEvPS7_llT2_lT0_lSC_b.num_vgpr, 10
	.set _ZN9rocsolver6v33100L8set_diagI19rocblas_complex_numIdEiS3_PS3_TnNSt9enable_ifIXoont18rocblas_is_complexIT_E18rocblas_is_complexIT1_EEiE4typeELi0EEEvPS7_llT2_lT0_lSC_b.num_agpr, 0
	.set _ZN9rocsolver6v33100L8set_diagI19rocblas_complex_numIdEiS3_PS3_TnNSt9enable_ifIXoont18rocblas_is_complexIT_E18rocblas_is_complexIT1_EEiE4typeELi0EEEvPS7_llT2_lT0_lSC_b.numbered_sgpr, 19
	.set _ZN9rocsolver6v33100L8set_diagI19rocblas_complex_numIdEiS3_PS3_TnNSt9enable_ifIXoont18rocblas_is_complexIT_E18rocblas_is_complexIT1_EEiE4typeELi0EEEvPS7_llT2_lT0_lSC_b.num_named_barrier, 0
	.set _ZN9rocsolver6v33100L8set_diagI19rocblas_complex_numIdEiS3_PS3_TnNSt9enable_ifIXoont18rocblas_is_complexIT_E18rocblas_is_complexIT1_EEiE4typeELi0EEEvPS7_llT2_lT0_lSC_b.private_seg_size, 0
	.set _ZN9rocsolver6v33100L8set_diagI19rocblas_complex_numIdEiS3_PS3_TnNSt9enable_ifIXoont18rocblas_is_complexIT_E18rocblas_is_complexIT1_EEiE4typeELi0EEEvPS7_llT2_lT0_lSC_b.uses_vcc, 1
	.set _ZN9rocsolver6v33100L8set_diagI19rocblas_complex_numIdEiS3_PS3_TnNSt9enable_ifIXoont18rocblas_is_complexIT_E18rocblas_is_complexIT1_EEiE4typeELi0EEEvPS7_llT2_lT0_lSC_b.uses_flat_scratch, 0
	.set _ZN9rocsolver6v33100L8set_diagI19rocblas_complex_numIdEiS3_PS3_TnNSt9enable_ifIXoont18rocblas_is_complexIT_E18rocblas_is_complexIT1_EEiE4typeELi0EEEvPS7_llT2_lT0_lSC_b.has_dyn_sized_stack, 0
	.set _ZN9rocsolver6v33100L8set_diagI19rocblas_complex_numIdEiS3_PS3_TnNSt9enable_ifIXoont18rocblas_is_complexIT_E18rocblas_is_complexIT1_EEiE4typeELi0EEEvPS7_llT2_lT0_lSC_b.has_recursion, 0
	.set _ZN9rocsolver6v33100L8set_diagI19rocblas_complex_numIdEiS3_PS3_TnNSt9enable_ifIXoont18rocblas_is_complexIT_E18rocblas_is_complexIT1_EEiE4typeELi0EEEvPS7_llT2_lT0_lSC_b.has_indirect_call, 0
	.section	.AMDGPU.csdata,"",@progbits
; Kernel info:
; codeLenInByte = 328
; TotalNumSgprs: 23
; NumVgprs: 10
; ScratchSize: 0
; MemoryBound: 1
; FloatMode: 240
; IeeeMode: 1
; LDSByteSize: 0 bytes/workgroup (compile time only)
; SGPRBlocks: 2
; VGPRBlocks: 2
; NumSGPRsForWavesPerEU: 23
; NumVGPRsForWavesPerEU: 10
; Occupancy: 10
; WaveLimiterHint : 0
; COMPUTE_PGM_RSRC2:SCRATCH_EN: 0
; COMPUTE_PGM_RSRC2:USER_SGPR: 6
; COMPUTE_PGM_RSRC2:TRAP_HANDLER: 0
; COMPUTE_PGM_RSRC2:TGID_X_EN: 1
; COMPUTE_PGM_RSRC2:TGID_Y_EN: 1
; COMPUTE_PGM_RSRC2:TGID_Z_EN: 0
; COMPUTE_PGM_RSRC2:TIDIG_COMP_CNT: 1
	.section	.text._ZN9rocsolver6v33100L12restore_diagI19rocblas_complex_numIdEiS3_PS3_EEvPT1_llT2_lT0_lS8_,"axG",@progbits,_ZN9rocsolver6v33100L12restore_diagI19rocblas_complex_numIdEiS3_PS3_EEvPT1_llT2_lT0_lS8_,comdat
	.globl	_ZN9rocsolver6v33100L12restore_diagI19rocblas_complex_numIdEiS3_PS3_EEvPT1_llT2_lT0_lS8_ ; -- Begin function _ZN9rocsolver6v33100L12restore_diagI19rocblas_complex_numIdEiS3_PS3_EEvPT1_llT2_lT0_lS8_
	.p2align	8
	.type	_ZN9rocsolver6v33100L12restore_diagI19rocblas_complex_numIdEiS3_PS3_EEvPT1_llT2_lT0_lS8_,@function
_ZN9rocsolver6v33100L12restore_diagI19rocblas_complex_numIdEiS3_PS3_EEvPT1_llT2_lT0_lS8_: ; @_ZN9rocsolver6v33100L12restore_diagI19rocblas_complex_numIdEiS3_PS3_EEvPT1_llT2_lT0_lS8_
; %bb.0:
	s_load_dword s0, s[4:5], 0x4c
	s_load_dword s1, s[4:5], 0x38
	s_waitcnt lgkmcnt(0)
	s_lshr_b32 s0, s0, 16
	s_mul_i32 s7, s7, s0
	v_add_u32_e32 v0, s7, v1
	v_cmp_gt_i32_e32 vcc, s1, v0
	s_and_saveexec_b64 s[0:1], vcc
	s_cbranch_execz .LBB163_2
; %bb.1:
	s_load_dwordx2 s[0:1], s[4:5], 0x30
	s_load_dwordx2 s[2:3], s[4:5], 0x20
	s_load_dword s7, s[4:5], 0x28
	s_load_dwordx8 s[8:15], s[4:5], 0x0
	s_ashr_i32 s4, s6, 31
	s_waitcnt lgkmcnt(0)
	s_mul_hi_u32 s5, s0, s6
	s_mul_i32 s16, s0, s4
	s_add_i32 s5, s5, s16
	s_mul_i32 s1, s1, s6
	s_add_i32 s1, s5, s1
	s_mul_i32 s0, s0, s6
	s_lshl_b64 s[0:1], s[0:1], 4
	s_add_u32 s5, s14, s0
	s_addc_u32 s14, s15, s1
	s_lshl_b64 s[0:1], s[2:3], 4
	s_add_u32 s2, s5, s0
	s_addc_u32 s3, s14, s1
	s_mul_hi_u32 s0, s12, s6
	s_mul_i32 s1, s12, s4
	s_add_i32 s0, s0, s1
	s_mul_i32 s1, s13, s6
	s_add_i32 s1, s0, s1
	s_mul_i32 s0, s12, s6
	s_lshl_b64 s[0:1], s[0:1], 4
	s_add_u32 s4, s8, s0
	s_addc_u32 s5, s9, s1
	s_lshl_b64 s[0:1], s[10:11], 4
	s_add_u32 s4, s4, s0
	s_addc_u32 s5, s5, s1
	v_mad_u64_u32 v[4:5], s[0:1], v0, s7, v[0:1]
	v_ashrrev_i32_e32 v1, 31, v0
	v_lshlrev_b64 v[0:1], 4, v[0:1]
	v_mov_b32_e32 v2, s5
	v_add_co_u32_e32 v0, vcc, s4, v0
	v_addc_co_u32_e32 v1, vcc, v2, v1, vcc
	global_load_dwordx4 v[0:3], v[0:1], off
	v_ashrrev_i32_e32 v5, 31, v4
	v_lshlrev_b64 v[4:5], 4, v[4:5]
	v_mov_b32_e32 v6, s3
	v_add_co_u32_e32 v4, vcc, s2, v4
	v_addc_co_u32_e32 v5, vcc, v6, v5, vcc
	s_waitcnt vmcnt(0)
	global_store_dwordx4 v[4:5], v[0:3], off
.LBB163_2:
	s_endpgm
	.section	.rodata,"a",@progbits
	.p2align	6, 0x0
	.amdhsa_kernel _ZN9rocsolver6v33100L12restore_diagI19rocblas_complex_numIdEiS3_PS3_EEvPT1_llT2_lT0_lS8_
		.amdhsa_group_segment_fixed_size 0
		.amdhsa_private_segment_fixed_size 0
		.amdhsa_kernarg_size 320
		.amdhsa_user_sgpr_count 6
		.amdhsa_user_sgpr_private_segment_buffer 1
		.amdhsa_user_sgpr_dispatch_ptr 0
		.amdhsa_user_sgpr_queue_ptr 0
		.amdhsa_user_sgpr_kernarg_segment_ptr 1
		.amdhsa_user_sgpr_dispatch_id 0
		.amdhsa_user_sgpr_flat_scratch_init 0
		.amdhsa_user_sgpr_private_segment_size 0
		.amdhsa_uses_dynamic_stack 0
		.amdhsa_system_sgpr_private_segment_wavefront_offset 0
		.amdhsa_system_sgpr_workgroup_id_x 1
		.amdhsa_system_sgpr_workgroup_id_y 1
		.amdhsa_system_sgpr_workgroup_id_z 0
		.amdhsa_system_sgpr_workgroup_info 0
		.amdhsa_system_vgpr_workitem_id 1
		.amdhsa_next_free_vgpr 7
		.amdhsa_next_free_sgpr 17
		.amdhsa_reserve_vcc 1
		.amdhsa_reserve_flat_scratch 0
		.amdhsa_float_round_mode_32 0
		.amdhsa_float_round_mode_16_64 0
		.amdhsa_float_denorm_mode_32 3
		.amdhsa_float_denorm_mode_16_64 3
		.amdhsa_dx10_clamp 1
		.amdhsa_ieee_mode 1
		.amdhsa_fp16_overflow 0
		.amdhsa_exception_fp_ieee_invalid_op 0
		.amdhsa_exception_fp_denorm_src 0
		.amdhsa_exception_fp_ieee_div_zero 0
		.amdhsa_exception_fp_ieee_overflow 0
		.amdhsa_exception_fp_ieee_underflow 0
		.amdhsa_exception_fp_ieee_inexact 0
		.amdhsa_exception_int_div_zero 0
	.end_amdhsa_kernel
	.section	.text._ZN9rocsolver6v33100L12restore_diagI19rocblas_complex_numIdEiS3_PS3_EEvPT1_llT2_lT0_lS8_,"axG",@progbits,_ZN9rocsolver6v33100L12restore_diagI19rocblas_complex_numIdEiS3_PS3_EEvPT1_llT2_lT0_lS8_,comdat
.Lfunc_end163:
	.size	_ZN9rocsolver6v33100L12restore_diagI19rocblas_complex_numIdEiS3_PS3_EEvPT1_llT2_lT0_lS8_, .Lfunc_end163-_ZN9rocsolver6v33100L12restore_diagI19rocblas_complex_numIdEiS3_PS3_EEvPT1_llT2_lT0_lS8_
                                        ; -- End function
	.set _ZN9rocsolver6v33100L12restore_diagI19rocblas_complex_numIdEiS3_PS3_EEvPT1_llT2_lT0_lS8_.num_vgpr, 7
	.set _ZN9rocsolver6v33100L12restore_diagI19rocblas_complex_numIdEiS3_PS3_EEvPT1_llT2_lT0_lS8_.num_agpr, 0
	.set _ZN9rocsolver6v33100L12restore_diagI19rocblas_complex_numIdEiS3_PS3_EEvPT1_llT2_lT0_lS8_.numbered_sgpr, 17
	.set _ZN9rocsolver6v33100L12restore_diagI19rocblas_complex_numIdEiS3_PS3_EEvPT1_llT2_lT0_lS8_.num_named_barrier, 0
	.set _ZN9rocsolver6v33100L12restore_diagI19rocblas_complex_numIdEiS3_PS3_EEvPT1_llT2_lT0_lS8_.private_seg_size, 0
	.set _ZN9rocsolver6v33100L12restore_diagI19rocblas_complex_numIdEiS3_PS3_EEvPT1_llT2_lT0_lS8_.uses_vcc, 1
	.set _ZN9rocsolver6v33100L12restore_diagI19rocblas_complex_numIdEiS3_PS3_EEvPT1_llT2_lT0_lS8_.uses_flat_scratch, 0
	.set _ZN9rocsolver6v33100L12restore_diagI19rocblas_complex_numIdEiS3_PS3_EEvPT1_llT2_lT0_lS8_.has_dyn_sized_stack, 0
	.set _ZN9rocsolver6v33100L12restore_diagI19rocblas_complex_numIdEiS3_PS3_EEvPT1_llT2_lT0_lS8_.has_recursion, 0
	.set _ZN9rocsolver6v33100L12restore_diagI19rocblas_complex_numIdEiS3_PS3_EEvPT1_llT2_lT0_lS8_.has_indirect_call, 0
	.section	.AMDGPU.csdata,"",@progbits
; Kernel info:
; codeLenInByte = 260
; TotalNumSgprs: 21
; NumVgprs: 7
; ScratchSize: 0
; MemoryBound: 0
; FloatMode: 240
; IeeeMode: 1
; LDSByteSize: 0 bytes/workgroup (compile time only)
; SGPRBlocks: 2
; VGPRBlocks: 1
; NumSGPRsForWavesPerEU: 21
; NumVGPRsForWavesPerEU: 7
; Occupancy: 10
; WaveLimiterHint : 0
; COMPUTE_PGM_RSRC2:SCRATCH_EN: 0
; COMPUTE_PGM_RSRC2:USER_SGPR: 6
; COMPUTE_PGM_RSRC2:TRAP_HANDLER: 0
; COMPUTE_PGM_RSRC2:TGID_X_EN: 1
; COMPUTE_PGM_RSRC2:TGID_Y_EN: 1
; COMPUTE_PGM_RSRC2:TGID_Z_EN: 0
; COMPUTE_PGM_RSRC2:TIDIG_COMP_CNT: 1
	.section	.text._ZN9rocsolver6v33100L16orgl2_init_identI19rocblas_complex_numIdEPS3_EEviiiT0_iil,"axG",@progbits,_ZN9rocsolver6v33100L16orgl2_init_identI19rocblas_complex_numIdEPS3_EEviiiT0_iil,comdat
	.globl	_ZN9rocsolver6v33100L16orgl2_init_identI19rocblas_complex_numIdEPS3_EEviiiT0_iil ; -- Begin function _ZN9rocsolver6v33100L16orgl2_init_identI19rocblas_complex_numIdEPS3_EEviiiT0_iil
	.p2align	8
	.type	_ZN9rocsolver6v33100L16orgl2_init_identI19rocblas_complex_numIdEPS3_EEviiiT0_iil,@function
_ZN9rocsolver6v33100L16orgl2_init_identI19rocblas_complex_numIdEPS3_EEviiiT0_iil: ; @_ZN9rocsolver6v33100L16orgl2_init_identI19rocblas_complex_numIdEPS3_EEviiiT0_iil
; %bb.0:
	s_load_dword s0, s[4:5], 0x34
	s_load_dwordx4 s[12:15], s[4:5], 0x0
	s_waitcnt lgkmcnt(0)
	s_lshr_b32 s1, s0, 16
	s_and_b32 s0, s0, 0xffff
	s_mul_i32 s7, s7, s1
	s_mul_i32 s6, s6, s0
	v_add_u32_e32 v1, s7, v1
	v_add_u32_e32 v0, s6, v0
	v_cmp_gt_u32_e32 vcc, s12, v0
	v_cmp_gt_u32_e64 s[0:1], s13, v1
	s_and_b64 s[0:1], vcc, s[0:1]
	s_and_saveexec_b64 s[2:3], s[0:1]
	s_cbranch_execz .LBB164_11
; %bb.1:
	s_load_dwordx4 s[0:3], s[4:5], 0x10
	s_load_dwordx2 s[6:7], s[4:5], 0x20
	v_cmp_ne_u32_e32 vcc, v0, v1
	s_waitcnt lgkmcnt(0)
	s_ashr_i32 s5, s2, 31
	s_mov_b32 s4, s2
	s_mul_i32 s2, s7, s8
	s_mul_hi_u32 s7, s6, s8
	s_add_i32 s7, s7, s2
	s_mul_i32 s6, s6, s8
	s_lshl_b64 s[6:7], s[6:7], 4
	s_add_u32 s2, s0, s6
	s_addc_u32 s6, s1, s7
	s_lshl_b64 s[0:1], s[4:5], 4
	s_add_u32 s2, s2, s0
	s_addc_u32 s8, s6, s1
	s_and_saveexec_b64 s[0:1], vcc
	s_xor_b64 s[0:1], exec, s[0:1]
	s_cbranch_execz .LBB164_9
; %bb.2:
	v_cmp_ge_u32_e32 vcc, v1, v0
	s_and_saveexec_b64 s[4:5], vcc
	s_xor_b64 s[4:5], exec, s[4:5]
	s_cbranch_execz .LBB164_6
; %bb.3:
	v_cmp_le_u32_e32 vcc, s14, v0
	s_and_saveexec_b64 s[6:7], vcc
	s_cbranch_execz .LBB164_5
; %bb.4:
	v_mad_u64_u32 v[0:1], s[10:11], v1, s3, v[0:1]
	v_mov_b32_e32 v1, 0
	v_mov_b32_e32 v5, s8
	v_lshlrev_b64 v[2:3], 4, v[0:1]
	v_mov_b32_e32 v0, v1
	v_add_co_u32_e32 v4, vcc, s2, v2
	v_addc_co_u32_e32 v5, vcc, v5, v3, vcc
	v_mov_b32_e32 v2, v1
	v_mov_b32_e32 v3, v1
	global_store_dwordx4 v[4:5], v[0:3], off
.LBB164_5:
	s_or_b64 exec, exec, s[6:7]
                                        ; implicit-def: $vgpr0
                                        ; implicit-def: $vgpr1
.LBB164_6:
	s_andn2_saveexec_b64 s[4:5], s[4:5]
	s_cbranch_execz .LBB164_8
; %bb.7:
	v_mad_u64_u32 v[0:1], s[6:7], v1, s3, v[0:1]
	v_mov_b32_e32 v1, 0
	v_mov_b32_e32 v5, s8
	v_lshlrev_b64 v[2:3], 4, v[0:1]
	v_mov_b32_e32 v0, v1
	v_add_co_u32_e32 v4, vcc, s2, v2
	v_addc_co_u32_e32 v5, vcc, v5, v3, vcc
	v_mov_b32_e32 v2, v1
	v_mov_b32_e32 v3, v1
	global_store_dwordx4 v[4:5], v[0:3], off
.LBB164_8:
	s_or_b64 exec, exec, s[4:5]
                                        ; implicit-def: $vgpr1
.LBB164_9:
	s_andn2_saveexec_b64 s[0:1], s[0:1]
	s_cbranch_execz .LBB164_11
; %bb.10:
	v_mad_u64_u32 v[1:2], s[0:1], v1, s3, v[1:2]
	v_mov_b32_e32 v2, 0
	v_mov_b32_e32 v3, s8
	v_lshlrev_b64 v[0:1], 4, v[1:2]
	v_add_co_u32_e32 v4, vcc, s2, v0
	v_addc_co_u32_e32 v5, vcc, v3, v1, vcc
	v_mov_b32_e32 v1, 0x3ff00000
	v_mov_b32_e32 v0, v2
	;; [unrolled: 1-line block ×3, first 2 shown]
	global_store_dwordx4 v[4:5], v[0:3], off
.LBB164_11:
	s_endpgm
	.section	.rodata,"a",@progbits
	.p2align	6, 0x0
	.amdhsa_kernel _ZN9rocsolver6v33100L16orgl2_init_identI19rocblas_complex_numIdEPS3_EEviiiT0_iil
		.amdhsa_group_segment_fixed_size 0
		.amdhsa_private_segment_fixed_size 0
		.amdhsa_kernarg_size 296
		.amdhsa_user_sgpr_count 6
		.amdhsa_user_sgpr_private_segment_buffer 1
		.amdhsa_user_sgpr_dispatch_ptr 0
		.amdhsa_user_sgpr_queue_ptr 0
		.amdhsa_user_sgpr_kernarg_segment_ptr 1
		.amdhsa_user_sgpr_dispatch_id 0
		.amdhsa_user_sgpr_flat_scratch_init 0
		.amdhsa_user_sgpr_private_segment_size 0
		.amdhsa_uses_dynamic_stack 0
		.amdhsa_system_sgpr_private_segment_wavefront_offset 0
		.amdhsa_system_sgpr_workgroup_id_x 1
		.amdhsa_system_sgpr_workgroup_id_y 1
		.amdhsa_system_sgpr_workgroup_id_z 1
		.amdhsa_system_sgpr_workgroup_info 0
		.amdhsa_system_vgpr_workitem_id 1
		.amdhsa_next_free_vgpr 6
		.amdhsa_next_free_sgpr 16
		.amdhsa_reserve_vcc 1
		.amdhsa_reserve_flat_scratch 0
		.amdhsa_float_round_mode_32 0
		.amdhsa_float_round_mode_16_64 0
		.amdhsa_float_denorm_mode_32 3
		.amdhsa_float_denorm_mode_16_64 3
		.amdhsa_dx10_clamp 1
		.amdhsa_ieee_mode 1
		.amdhsa_fp16_overflow 0
		.amdhsa_exception_fp_ieee_invalid_op 0
		.amdhsa_exception_fp_denorm_src 0
		.amdhsa_exception_fp_ieee_div_zero 0
		.amdhsa_exception_fp_ieee_overflow 0
		.amdhsa_exception_fp_ieee_underflow 0
		.amdhsa_exception_fp_ieee_inexact 0
		.amdhsa_exception_int_div_zero 0
	.end_amdhsa_kernel
	.section	.text._ZN9rocsolver6v33100L16orgl2_init_identI19rocblas_complex_numIdEPS3_EEviiiT0_iil,"axG",@progbits,_ZN9rocsolver6v33100L16orgl2_init_identI19rocblas_complex_numIdEPS3_EEviiiT0_iil,comdat
.Lfunc_end164:
	.size	_ZN9rocsolver6v33100L16orgl2_init_identI19rocblas_complex_numIdEPS3_EEviiiT0_iil, .Lfunc_end164-_ZN9rocsolver6v33100L16orgl2_init_identI19rocblas_complex_numIdEPS3_EEviiiT0_iil
                                        ; -- End function
	.set _ZN9rocsolver6v33100L16orgl2_init_identI19rocblas_complex_numIdEPS3_EEviiiT0_iil.num_vgpr, 6
	.set _ZN9rocsolver6v33100L16orgl2_init_identI19rocblas_complex_numIdEPS3_EEviiiT0_iil.num_agpr, 0
	.set _ZN9rocsolver6v33100L16orgl2_init_identI19rocblas_complex_numIdEPS3_EEviiiT0_iil.numbered_sgpr, 16
	.set _ZN9rocsolver6v33100L16orgl2_init_identI19rocblas_complex_numIdEPS3_EEviiiT0_iil.num_named_barrier, 0
	.set _ZN9rocsolver6v33100L16orgl2_init_identI19rocblas_complex_numIdEPS3_EEviiiT0_iil.private_seg_size, 0
	.set _ZN9rocsolver6v33100L16orgl2_init_identI19rocblas_complex_numIdEPS3_EEviiiT0_iil.uses_vcc, 1
	.set _ZN9rocsolver6v33100L16orgl2_init_identI19rocblas_complex_numIdEPS3_EEviiiT0_iil.uses_flat_scratch, 0
	.set _ZN9rocsolver6v33100L16orgl2_init_identI19rocblas_complex_numIdEPS3_EEviiiT0_iil.has_dyn_sized_stack, 0
	.set _ZN9rocsolver6v33100L16orgl2_init_identI19rocblas_complex_numIdEPS3_EEviiiT0_iil.has_recursion, 0
	.set _ZN9rocsolver6v33100L16orgl2_init_identI19rocblas_complex_numIdEPS3_EEviiiT0_iil.has_indirect_call, 0
	.section	.AMDGPU.csdata,"",@progbits
; Kernel info:
; codeLenInByte = 372
; TotalNumSgprs: 20
; NumVgprs: 6
; ScratchSize: 0
; MemoryBound: 0
; FloatMode: 240
; IeeeMode: 1
; LDSByteSize: 0 bytes/workgroup (compile time only)
; SGPRBlocks: 2
; VGPRBlocks: 1
; NumSGPRsForWavesPerEU: 20
; NumVGPRsForWavesPerEU: 6
; Occupancy: 10
; WaveLimiterHint : 0
; COMPUTE_PGM_RSRC2:SCRATCH_EN: 0
; COMPUTE_PGM_RSRC2:USER_SGPR: 6
; COMPUTE_PGM_RSRC2:TRAP_HANDLER: 0
; COMPUTE_PGM_RSRC2:TGID_X_EN: 1
; COMPUTE_PGM_RSRC2:TGID_Y_EN: 1
; COMPUTE_PGM_RSRC2:TGID_Z_EN: 1
; COMPUTE_PGM_RSRC2:TIDIG_COMP_CNT: 1
	.section	.AMDGPU.gpr_maximums,"",@progbits
	.set amdgpu.max_num_vgpr, 41
	.set amdgpu.max_num_agpr, 0
	.set amdgpu.max_num_sgpr, 34
	.section	.AMDGPU.csdata,"",@progbits
	.type	__const.__assert_fail.fmt,@object ; @__const.__assert_fail.fmt
	.section	.rodata.str1.16,"aMS",@progbits,1
	.p2align	4, 0x0
__const.__assert_fail.fmt:
	.asciz	"%s:%u: %s: Device-side assertion `%s' failed.\n"
	.size	__const.__assert_fail.fmt, 47

	.type	.str.3,@object                  ; @.str.3
	.section	.rodata.str1.1,"aMS",@progbits,1
.str.3:
	.asciz	"total_bytes <= max_lds"
	.size	.str.3, 23

	.type	.str.4,@object                  ; @.str.4
.str.4:
	.asciz	"/root/src/amdgpu-assembly/repos/ROCm__rocSOLVER/library/src/lapack/roclapack_syevj_heevj.hpp"
	.size	.str.4, 93

	.type	__PRETTY_FUNCTION__._ZN9rocsolver6v33100L17syevj_diag_rotateILb0EffPfEEvbiiT2_iilPT0_Pii,@object ; @__PRETTY_FUNCTION__._ZN9rocsolver6v33100L17syevj_diag_rotateILb0EffPfEEvbiiT2_iilPT0_Pii
__PRETTY_FUNCTION__._ZN9rocsolver6v33100L17syevj_diag_rotateILb0EffPfEEvbiiT2_iilPT0_Pii:
	.asciz	"void rocsolver::syevj_diag_rotate(const bool, const rocblas_int, const rocblas_int, U, const rocblas_int, const rocblas_int, const rocblas_stride, T *, rocblas_int *, rocblas_int) [APPLY_LEFT = false, T = float, S = float, U = float *]"
	.size	__PRETTY_FUNCTION__._ZN9rocsolver6v33100L17syevj_diag_rotateILb0EffPfEEvbiiT2_iilPT0_Pii, 236

	.type	__PRETTY_FUNCTION__._ZN9rocsolver6v33100L17syevj_diag_rotateILb1EffPfEEvbiiT2_iilPT0_Pii,@object ; @__PRETTY_FUNCTION__._ZN9rocsolver6v33100L17syevj_diag_rotateILb1EffPfEEvbiiT2_iilPT0_Pii
__PRETTY_FUNCTION__._ZN9rocsolver6v33100L17syevj_diag_rotateILb1EffPfEEvbiiT2_iilPT0_Pii:
	.asciz	"void rocsolver::syevj_diag_rotate(const bool, const rocblas_int, const rocblas_int, U, const rocblas_int, const rocblas_int, const rocblas_stride, T *, rocblas_int *, rocblas_int) [APPLY_LEFT = true, T = float, S = float, U = float *]"
	.size	__PRETTY_FUNCTION__._ZN9rocsolver6v33100L17syevj_diag_rotateILb1EffPfEEvbiiT2_iilPT0_Pii, 235

	.type	__PRETTY_FUNCTION__._ZN9rocsolver6v33100L17syevj_diag_rotateILb0EddPdEEvbiiT2_iilPT0_Pii,@object ; @__PRETTY_FUNCTION__._ZN9rocsolver6v33100L17syevj_diag_rotateILb0EddPdEEvbiiT2_iilPT0_Pii
__PRETTY_FUNCTION__._ZN9rocsolver6v33100L17syevj_diag_rotateILb0EddPdEEvbiiT2_iilPT0_Pii:
	.asciz	"void rocsolver::syevj_diag_rotate(const bool, const rocblas_int, const rocblas_int, U, const rocblas_int, const rocblas_int, const rocblas_stride, T *, rocblas_int *, rocblas_int) [APPLY_LEFT = false, T = double, S = double, U = double *]"
	.size	__PRETTY_FUNCTION__._ZN9rocsolver6v33100L17syevj_diag_rotateILb0EddPdEEvbiiT2_iilPT0_Pii, 239

	.type	__PRETTY_FUNCTION__._ZN9rocsolver6v33100L17syevj_diag_rotateILb1EddPdEEvbiiT2_iilPT0_Pii,@object ; @__PRETTY_FUNCTION__._ZN9rocsolver6v33100L17syevj_diag_rotateILb1EddPdEEvbiiT2_iilPT0_Pii
__PRETTY_FUNCTION__._ZN9rocsolver6v33100L17syevj_diag_rotateILb1EddPdEEvbiiT2_iilPT0_Pii:
	.asciz	"void rocsolver::syevj_diag_rotate(const bool, const rocblas_int, const rocblas_int, U, const rocblas_int, const rocblas_int, const rocblas_stride, T *, rocblas_int *, rocblas_int) [APPLY_LEFT = true, T = double, S = double, U = double *]"
	.size	__PRETTY_FUNCTION__._ZN9rocsolver6v33100L17syevj_diag_rotateILb1EddPdEEvbiiT2_iilPT0_Pii, 238

	.type	__PRETTY_FUNCTION__._ZN9rocsolver6v33100L17syevj_diag_rotateILb0E19rocblas_complex_numIfEfPS3_EEvbiiT2_iilPT0_Pii,@object ; @__PRETTY_FUNCTION__._ZN9rocsolver6v33100L17syevj_diag_rotateILb0E19rocblas_complex_numIfEfPS3_EEvbiiT2_iilPT0_Pii
__PRETTY_FUNCTION__._ZN9rocsolver6v33100L17syevj_diag_rotateILb0E19rocblas_complex_numIfEfPS3_EEvbiiT2_iilPT0_Pii:
	.asciz	"void rocsolver::syevj_diag_rotate(const bool, const rocblas_int, const rocblas_int, U, const rocblas_int, const rocblas_int, const rocblas_stride, T *, rocblas_int *, rocblas_int) [APPLY_LEFT = false, T = rocblas_complex_num<float>, S = float, U = rocblas_complex_num<float> *]"
	.size	__PRETTY_FUNCTION__._ZN9rocsolver6v33100L17syevj_diag_rotateILb0E19rocblas_complex_numIfEfPS3_EEvbiiT2_iilPT0_Pii, 278

	.type	__PRETTY_FUNCTION__._ZN9rocsolver6v33100L17syevj_diag_rotateILb1E19rocblas_complex_numIfEfPS3_EEvbiiT2_iilPT0_Pii,@object ; @__PRETTY_FUNCTION__._ZN9rocsolver6v33100L17syevj_diag_rotateILb1E19rocblas_complex_numIfEfPS3_EEvbiiT2_iilPT0_Pii
__PRETTY_FUNCTION__._ZN9rocsolver6v33100L17syevj_diag_rotateILb1E19rocblas_complex_numIfEfPS3_EEvbiiT2_iilPT0_Pii:
	.asciz	"void rocsolver::syevj_diag_rotate(const bool, const rocblas_int, const rocblas_int, U, const rocblas_int, const rocblas_int, const rocblas_stride, T *, rocblas_int *, rocblas_int) [APPLY_LEFT = true, T = rocblas_complex_num<float>, S = float, U = rocblas_complex_num<float> *]"
	.size	__PRETTY_FUNCTION__._ZN9rocsolver6v33100L17syevj_diag_rotateILb1E19rocblas_complex_numIfEfPS3_EEvbiiT2_iilPT0_Pii, 277

	.type	__PRETTY_FUNCTION__._ZN9rocsolver6v33100L17syevj_diag_rotateILb0E19rocblas_complex_numIdEdPS3_EEvbiiT2_iilPT0_Pii,@object ; @__PRETTY_FUNCTION__._ZN9rocsolver6v33100L17syevj_diag_rotateILb0E19rocblas_complex_numIdEdPS3_EEvbiiT2_iilPT0_Pii
__PRETTY_FUNCTION__._ZN9rocsolver6v33100L17syevj_diag_rotateILb0E19rocblas_complex_numIdEdPS3_EEvbiiT2_iilPT0_Pii:
	.asciz	"void rocsolver::syevj_diag_rotate(const bool, const rocblas_int, const rocblas_int, U, const rocblas_int, const rocblas_int, const rocblas_stride, T *, rocblas_int *, rocblas_int) [APPLY_LEFT = false, T = rocblas_complex_num<double>, S = double, U = rocblas_complex_num<double> *]"
	.size	__PRETTY_FUNCTION__._ZN9rocsolver6v33100L17syevj_diag_rotateILb0E19rocblas_complex_numIdEdPS3_EEvbiiT2_iilPT0_Pii, 281

	.type	__PRETTY_FUNCTION__._ZN9rocsolver6v33100L17syevj_diag_rotateILb1E19rocblas_complex_numIdEdPS3_EEvbiiT2_iilPT0_Pii,@object ; @__PRETTY_FUNCTION__._ZN9rocsolver6v33100L17syevj_diag_rotateILb1E19rocblas_complex_numIdEdPS3_EEvbiiT2_iilPT0_Pii
__PRETTY_FUNCTION__._ZN9rocsolver6v33100L17syevj_diag_rotateILb1E19rocblas_complex_numIdEdPS3_EEvbiiT2_iilPT0_Pii:
	.asciz	"void rocsolver::syevj_diag_rotate(const bool, const rocblas_int, const rocblas_int, U, const rocblas_int, const rocblas_int, const rocblas_stride, T *, rocblas_int *, rocblas_int) [APPLY_LEFT = true, T = rocblas_complex_num<double>, S = double, U = rocblas_complex_num<double> *]"
	.size	__PRETTY_FUNCTION__._ZN9rocsolver6v33100L17syevj_diag_rotateILb1E19rocblas_complex_numIdEdPS3_EEvbiiT2_iilPT0_Pii, 280

	.type	__hip_cuid_d4a35cbbd3f99536,@object ; @__hip_cuid_d4a35cbbd3f99536
	.section	.bss,"aw",@nobits
	.globl	__hip_cuid_d4a35cbbd3f99536
__hip_cuid_d4a35cbbd3f99536:
	.byte	0                               ; 0x0
	.size	__hip_cuid_d4a35cbbd3f99536, 1

	.ident	"AMD clang version 22.0.0git (https://github.com/RadeonOpenCompute/llvm-project roc-7.2.4 26084 f58b06dce1f9c15707c5f808fd002e18c2accf7e)"
	.section	".note.GNU-stack","",@progbits
	.addrsig
	.addrsig_sym __hip_cuid_d4a35cbbd3f99536
	.amdgpu_metadata
---
amdhsa.kernels:
  - .args:
      - .address_space:  global
        .offset:         0
        .size:           8
        .value_kind:     global_buffer
      - .offset:         8
        .size:           4
        .value_kind:     by_value
      - .offset:         12
        .size:           4
        .value_kind:     by_value
    .group_segment_fixed_size: 0
    .kernarg_segment_align: 8
    .kernarg_segment_size: 16
    .language:       OpenCL C
    .language_version:
      - 2
      - 0
    .max_flat_workgroup_size: 32
    .name:           _ZN9rocsolver6v33100L6iota_nIfEEvPT_jS2_
    .private_segment_fixed_size: 0
    .sgpr_count:     10
    .sgpr_spill_count: 0
    .symbol:         _ZN9rocsolver6v33100L6iota_nIfEEvPT_jS2_.kd
    .uniform_work_group_size: 1
    .uses_dynamic_stack: false
    .vgpr_count:     2
    .vgpr_spill_count: 0
    .wavefront_size: 64
  - .args:
      - .address_space:  global
        .offset:         0
        .size:           8
        .value_kind:     global_buffer
      - .offset:         8
        .size:           4
        .value_kind:     by_value
      - .offset:         12
        .size:           4
        .value_kind:     by_value
      - .offset:         16
        .size:           4
        .value_kind:     by_value
      - .offset:         24
        .size:           4
        .value_kind:     hidden_block_count_x
      - .offset:         28
        .size:           4
        .value_kind:     hidden_block_count_y
      - .offset:         32
        .size:           4
        .value_kind:     hidden_block_count_z
      - .offset:         36
        .size:           2
        .value_kind:     hidden_group_size_x
      - .offset:         38
        .size:           2
        .value_kind:     hidden_group_size_y
      - .offset:         40
        .size:           2
        .value_kind:     hidden_group_size_z
      - .offset:         42
        .size:           2
        .value_kind:     hidden_remainder_x
      - .offset:         44
        .size:           2
        .value_kind:     hidden_remainder_y
      - .offset:         46
        .size:           2
        .value_kind:     hidden_remainder_z
      - .offset:         64
        .size:           8
        .value_kind:     hidden_global_offset_x
      - .offset:         72
        .size:           8
        .value_kind:     hidden_global_offset_y
      - .offset:         80
        .size:           8
        .value_kind:     hidden_global_offset_z
      - .offset:         88
        .size:           2
        .value_kind:     hidden_grid_dims
    .group_segment_fixed_size: 0
    .kernarg_segment_align: 8
    .kernarg_segment_size: 280
    .language:       OpenCL C
    .language_version:
      - 2
      - 0
    .max_flat_workgroup_size: 1024
    .name:           _ZN9rocsolver6v33100L10reset_infoIfiiEEvPT_T0_T1_S4_
    .private_segment_fixed_size: 0
    .sgpr_count:     12
    .sgpr_spill_count: 0
    .symbol:         _ZN9rocsolver6v33100L10reset_infoIfiiEEvPT_T0_T1_S4_.kd
    .uniform_work_group_size: 1
    .uses_dynamic_stack: false
    .vgpr_count:     5
    .vgpr_spill_count: 0
    .wavefront_size: 64
  - .args:
      - .address_space:  global
        .offset:         0
        .size:           8
        .value_kind:     global_buffer
      - .offset:         8
        .size:           4
        .value_kind:     by_value
      - .offset:         12
        .size:           4
        .value_kind:     by_value
      - .offset:         16
        .size:           4
        .value_kind:     by_value
      - .offset:         24
        .size:           4
        .value_kind:     hidden_block_count_x
      - .offset:         28
        .size:           4
        .value_kind:     hidden_block_count_y
      - .offset:         32
        .size:           4
        .value_kind:     hidden_block_count_z
      - .offset:         36
        .size:           2
        .value_kind:     hidden_group_size_x
      - .offset:         38
        .size:           2
        .value_kind:     hidden_group_size_y
      - .offset:         40
        .size:           2
        .value_kind:     hidden_group_size_z
      - .offset:         42
        .size:           2
        .value_kind:     hidden_remainder_x
      - .offset:         44
        .size:           2
        .value_kind:     hidden_remainder_y
      - .offset:         46
        .size:           2
        .value_kind:     hidden_remainder_z
      - .offset:         64
        .size:           8
        .value_kind:     hidden_global_offset_x
      - .offset:         72
        .size:           8
        .value_kind:     hidden_global_offset_y
      - .offset:         80
        .size:           8
        .value_kind:     hidden_global_offset_z
      - .offset:         88
        .size:           2
        .value_kind:     hidden_grid_dims
    .group_segment_fixed_size: 0
    .kernarg_segment_align: 8
    .kernarg_segment_size: 280
    .language:       OpenCL C
    .language_version:
      - 2
      - 0
    .max_flat_workgroup_size: 1024
    .name:           _ZN9rocsolver6v33100L10reset_infoIiiiEEvPT_T0_T1_S4_
    .private_segment_fixed_size: 0
    .sgpr_count:     12
    .sgpr_spill_count: 0
    .symbol:         _ZN9rocsolver6v33100L10reset_infoIiiiEEvPT_T0_T1_S4_.kd
    .uniform_work_group_size: 1
    .uses_dynamic_stack: false
    .vgpr_count:     4
    .vgpr_spill_count: 0
    .wavefront_size: 64
  - .args:
      - .offset:         0
        .size:           4
        .value_kind:     by_value
      - .address_space:  global
        .offset:         8
        .size:           8
        .value_kind:     global_buffer
      - .offset:         16
        .size:           8
        .value_kind:     by_value
      - .address_space:  global
        .offset:         24
        .size:           8
        .value_kind:     global_buffer
      - .offset:         32
        .size:           8
        .value_kind:     by_value
      - .offset:         40
        .size:           4
        .value_kind:     by_value
      - .offset:         48
        .size:           4
        .value_kind:     hidden_block_count_x
      - .offset:         52
        .size:           4
        .value_kind:     hidden_block_count_y
      - .offset:         56
        .size:           4
        .value_kind:     hidden_block_count_z
      - .offset:         60
        .size:           2
        .value_kind:     hidden_group_size_x
      - .offset:         62
        .size:           2
        .value_kind:     hidden_group_size_y
      - .offset:         64
        .size:           2
        .value_kind:     hidden_group_size_z
      - .offset:         66
        .size:           2
        .value_kind:     hidden_remainder_x
      - .offset:         68
        .size:           2
        .value_kind:     hidden_remainder_y
      - .offset:         70
        .size:           2
        .value_kind:     hidden_remainder_z
      - .offset:         88
        .size:           8
        .value_kind:     hidden_global_offset_x
      - .offset:         96
        .size:           8
        .value_kind:     hidden_global_offset_y
      - .offset:         104
        .size:           8
        .value_kind:     hidden_global_offset_z
      - .offset:         112
        .size:           2
        .value_kind:     hidden_grid_dims
    .group_segment_fixed_size: 0
    .kernarg_segment_align: 8
    .kernarg_segment_size: 304
    .language:       OpenCL C
    .language_version:
      - 2
      - 0
    .max_flat_workgroup_size: 1024
    .name:           _ZN9rocsolver6v33100L16syev_scalar_caseIfPfTnNSt9enable_ifIXnt18rocblas_is_complexIT_EEiE4typeELi0EEEv14rocblas_evect_T0_lPS4_li
    .private_segment_fixed_size: 0
    .sgpr_count:     20
    .sgpr_spill_count: 0
    .symbol:         _ZN9rocsolver6v33100L16syev_scalar_caseIfPfTnNSt9enable_ifIXnt18rocblas_is_complexIT_EEiE4typeELi0EEEv14rocblas_evect_T0_lPS4_li.kd
    .uniform_work_group_size: 1
    .uses_dynamic_stack: false
    .vgpr_count:     7
    .vgpr_spill_count: 0
    .wavefront_size: 64
  - .args:
      - .offset:         0
        .size:           4
        .value_kind:     by_value
      - .offset:         4
        .size:           4
        .value_kind:     by_value
      - .offset:         8
        .size:           4
        .value_kind:     by_value
      - .offset:         12
        .size:           4
        .value_kind:     by_value
      - .address_space:  global
        .offset:         16
        .size:           8
        .value_kind:     global_buffer
      - .offset:         24
        .size:           4
        .value_kind:     by_value
      - .offset:         28
        .size:           4
        .value_kind:     by_value
      - .offset:         32
        .size:           8
        .value_kind:     by_value
      - .offset:         40
        .size:           4
        .value_kind:     by_value
      - .offset:         44
        .size:           4
        .value_kind:     by_value
      - .address_space:  global
        .offset:         48
        .size:           8
        .value_kind:     global_buffer
      - .offset:         56
        .size:           4
        .value_kind:     by_value
      - .address_space:  global
        .offset:         64
        .size:           8
        .value_kind:     global_buffer
      - .address_space:  global
        .offset:         72
        .size:           8
        .value_kind:     global_buffer
      - .offset:         80
        .size:           8
        .value_kind:     by_value
      - .address_space:  global
        .offset:         88
        .size:           8
        .value_kind:     global_buffer
      - .address_space:  global
        .offset:         96
        .size:           8
        .value_kind:     global_buffer
    .group_segment_fixed_size: 0
    .kernarg_segment_align: 8
    .kernarg_segment_size: 104
    .language:       OpenCL C
    .language_version:
      - 2
      - 0
    .max_flat_workgroup_size: 1024
    .name:           _ZN9rocsolver6v33100L18syevj_small_kernelIffPfEEv14rocblas_esort_14rocblas_evect_13rocblas_fill_iT1_iilT0_S7_PS7_iPiS8_lS9_PT_
    .private_segment_fixed_size: 0
    .sgpr_count:     88
    .sgpr_spill_count: 0
    .symbol:         _ZN9rocsolver6v33100L18syevj_small_kernelIffPfEEv14rocblas_esort_14rocblas_evect_13rocblas_fill_iT1_iilT0_S7_PS7_iPiS8_lS9_PT_.kd
    .uniform_work_group_size: 1
    .uses_dynamic_stack: false
    .vgpr_count:     36
    .vgpr_spill_count: 0
    .wavefront_size: 64
  - .args:
      - .offset:         0
        .size:           4
        .value_kind:     by_value
      - .offset:         4
        .size:           4
        .value_kind:     by_value
      - .offset:         8
        .size:           4
        .value_kind:     by_value
      - .offset:         12
        .size:           4
        .value_kind:     by_value
      - .address_space:  global
        .offset:         16
        .size:           8
        .value_kind:     global_buffer
      - .offset:         24
        .size:           4
        .value_kind:     by_value
      - .offset:         28
        .size:           4
        .value_kind:     by_value
      - .offset:         32
        .size:           8
        .value_kind:     by_value
      - .offset:         40
        .size:           4
        .value_kind:     by_value
      - .address_space:  global
        .offset:         48
        .size:           8
        .value_kind:     global_buffer
      - .address_space:  global
        .offset:         56
        .size:           8
        .value_kind:     global_buffer
      - .address_space:  global
        .offset:         64
        .size:           8
        .value_kind:     global_buffer
      - .address_space:  global
        .offset:         72
        .size:           8
        .value_kind:     global_buffer
      - .address_space:  global
        .offset:         80
        .size:           8
        .value_kind:     global_buffer
      - .address_space:  global
        .offset:         88
        .size:           8
        .value_kind:     global_buffer
      - .offset:         96
        .size:           4
        .value_kind:     hidden_block_count_x
      - .offset:         100
        .size:           4
        .value_kind:     hidden_block_count_y
      - .offset:         104
        .size:           4
        .value_kind:     hidden_block_count_z
      - .offset:         108
        .size:           2
        .value_kind:     hidden_group_size_x
      - .offset:         110
        .size:           2
        .value_kind:     hidden_group_size_y
      - .offset:         112
        .size:           2
        .value_kind:     hidden_group_size_z
      - .offset:         114
        .size:           2
        .value_kind:     hidden_remainder_x
      - .offset:         116
        .size:           2
        .value_kind:     hidden_remainder_y
      - .offset:         118
        .size:           2
        .value_kind:     hidden_remainder_z
      - .offset:         136
        .size:           8
        .value_kind:     hidden_global_offset_x
      - .offset:         144
        .size:           8
        .value_kind:     hidden_global_offset_y
      - .offset:         152
        .size:           8
        .value_kind:     hidden_global_offset_z
      - .offset:         160
        .size:           2
        .value_kind:     hidden_grid_dims
      - .offset:         216
        .size:           4
        .value_kind:     hidden_dynamic_lds_size
    .group_segment_fixed_size: 0
    .kernarg_segment_align: 8
    .kernarg_segment_size: 352
    .language:       OpenCL C
    .language_version:
      - 2
      - 0
    .max_flat_workgroup_size: 1024
    .name:           _ZN9rocsolver6v33100L10syevj_initIffPfEEv14rocblas_evect_13rocblas_fill_iiT1_iilT0_PS6_PT_S7_PiSA_SA_
    .private_segment_fixed_size: 0
    .sgpr_count:     55
    .sgpr_spill_count: 0
    .symbol:         _ZN9rocsolver6v33100L10syevj_initIffPfEEv14rocblas_evect_13rocblas_fill_iiT1_iilT0_PS6_PT_S7_PiSA_SA_.kd
    .uniform_work_group_size: 1
    .uses_dynamic_stack: false
    .vgpr_count:     25
    .vgpr_spill_count: 0
    .wavefront_size: 64
  - .args:
      - .offset:         0
        .size:           4
        .value_kind:     by_value
      - .address_space:  global
        .offset:         8
        .size:           8
        .value_kind:     global_buffer
      - .offset:         16
        .size:           4
        .value_kind:     by_value
      - .offset:         20
        .size:           4
        .value_kind:     by_value
      - .offset:         24
        .size:           8
        .value_kind:     by_value
      - .offset:         32
        .size:           4
        .value_kind:     by_value
      - .address_space:  global
        .offset:         40
        .size:           8
        .value_kind:     global_buffer
      - .address_space:  global
        .offset:         48
        .size:           8
        .value_kind:     global_buffer
      - .offset:         56
        .size:           4
        .value_kind:     hidden_block_count_x
      - .offset:         60
        .size:           4
        .value_kind:     hidden_block_count_y
      - .offset:         64
        .size:           4
        .value_kind:     hidden_block_count_z
      - .offset:         68
        .size:           2
        .value_kind:     hidden_group_size_x
      - .offset:         70
        .size:           2
        .value_kind:     hidden_group_size_y
      - .offset:         72
        .size:           2
        .value_kind:     hidden_group_size_z
      - .offset:         74
        .size:           2
        .value_kind:     hidden_remainder_x
      - .offset:         76
        .size:           2
        .value_kind:     hidden_remainder_y
      - .offset:         78
        .size:           2
        .value_kind:     hidden_remainder_z
      - .offset:         96
        .size:           8
        .value_kind:     hidden_global_offset_x
      - .offset:         104
        .size:           8
        .value_kind:     hidden_global_offset_y
      - .offset:         112
        .size:           8
        .value_kind:     hidden_global_offset_z
      - .offset:         120
        .size:           2
        .value_kind:     hidden_grid_dims
      - .offset:         176
        .size:           4
        .value_kind:     hidden_dynamic_lds_size
    .group_segment_fixed_size: 0
    .kernarg_segment_align: 8
    .kernarg_segment_size: 312
    .language:       OpenCL C
    .language_version:
      - 2
      - 0
    .max_flat_workgroup_size: 1024
    .name:           _ZN9rocsolver6v33100L17syevj_diag_kernelIffPfEEviT1_iilT0_PT_Pi
    .private_segment_fixed_size: 0
    .sgpr_count:     41
    .sgpr_spill_count: 0
    .symbol:         _ZN9rocsolver6v33100L17syevj_diag_kernelIffPfEEviT1_iilT0_PT_Pi.kd
    .uniform_work_group_size: 1
    .uses_dynamic_stack: false
    .vgpr_count:     28
    .vgpr_spill_count: 0
    .wavefront_size: 64
  - .args:
      - .offset:         0
        .size:           1
        .value_kind:     by_value
      - .offset:         4
        .size:           4
        .value_kind:     by_value
      - .address_space:  global
        .offset:         8
        .size:           8
        .value_kind:     global_buffer
      - .offset:         16
        .size:           4
        .value_kind:     by_value
      - .offset:         20
        .size:           4
        .value_kind:     by_value
      - .offset:         24
        .size:           8
        .value_kind:     by_value
      - .address_space:  global
        .offset:         32
        .size:           8
        .value_kind:     global_buffer
      - .address_space:  global
        .offset:         40
        .size:           8
        .value_kind:     global_buffer
      - .offset:         48
        .size:           4
        .value_kind:     hidden_block_count_x
      - .offset:         52
        .size:           4
        .value_kind:     hidden_block_count_y
      - .offset:         56
        .size:           4
        .value_kind:     hidden_block_count_z
      - .offset:         60
        .size:           2
        .value_kind:     hidden_group_size_x
      - .offset:         62
        .size:           2
        .value_kind:     hidden_group_size_y
      - .offset:         64
        .size:           2
        .value_kind:     hidden_group_size_z
      - .offset:         66
        .size:           2
        .value_kind:     hidden_remainder_x
      - .offset:         68
        .size:           2
        .value_kind:     hidden_remainder_y
      - .offset:         70
        .size:           2
        .value_kind:     hidden_remainder_z
      - .offset:         88
        .size:           8
        .value_kind:     hidden_global_offset_x
      - .offset:         96
        .size:           8
        .value_kind:     hidden_global_offset_y
      - .offset:         104
        .size:           8
        .value_kind:     hidden_global_offset_z
      - .offset:         112
        .size:           2
        .value_kind:     hidden_grid_dims
    .group_segment_fixed_size: 0
    .kernarg_segment_align: 8
    .kernarg_segment_size: 304
    .language:       OpenCL C
    .language_version:
      - 2
      - 0
    .max_flat_workgroup_size: 1024
    .name:           _ZN9rocsolver6v33100L21syevj_diag_rotate_orgILb0EffPfEEvbiT2_iilPT0_Pi
    .private_segment_fixed_size: 0
    .sgpr_count:     24
    .sgpr_spill_count: 0
    .symbol:         _ZN9rocsolver6v33100L21syevj_diag_rotate_orgILb0EffPfEEvbiT2_iilPT0_Pi.kd
    .uniform_work_group_size: 1
    .uses_dynamic_stack: false
    .vgpr_count:     11
    .vgpr_spill_count: 0
    .wavefront_size: 64
  - .args:
      - .offset:         0
        .size:           1
        .value_kind:     by_value
      - .offset:         4
        .size:           4
        .value_kind:     by_value
      - .address_space:  global
        .offset:         8
        .size:           8
        .value_kind:     global_buffer
      - .offset:         16
        .size:           4
        .value_kind:     by_value
      - .offset:         20
        .size:           4
        .value_kind:     by_value
      - .offset:         24
        .size:           8
        .value_kind:     by_value
      - .address_space:  global
        .offset:         32
        .size:           8
        .value_kind:     global_buffer
      - .address_space:  global
        .offset:         40
        .size:           8
        .value_kind:     global_buffer
      - .offset:         48
        .size:           4
        .value_kind:     hidden_block_count_x
      - .offset:         52
        .size:           4
        .value_kind:     hidden_block_count_y
      - .offset:         56
        .size:           4
        .value_kind:     hidden_block_count_z
      - .offset:         60
        .size:           2
        .value_kind:     hidden_group_size_x
      - .offset:         62
        .size:           2
        .value_kind:     hidden_group_size_y
      - .offset:         64
        .size:           2
        .value_kind:     hidden_group_size_z
      - .offset:         66
        .size:           2
        .value_kind:     hidden_remainder_x
      - .offset:         68
        .size:           2
        .value_kind:     hidden_remainder_y
      - .offset:         70
        .size:           2
        .value_kind:     hidden_remainder_z
      - .offset:         88
        .size:           8
        .value_kind:     hidden_global_offset_x
      - .offset:         96
        .size:           8
        .value_kind:     hidden_global_offset_y
      - .offset:         104
        .size:           8
        .value_kind:     hidden_global_offset_z
      - .offset:         112
        .size:           2
        .value_kind:     hidden_grid_dims
    .group_segment_fixed_size: 0
    .kernarg_segment_align: 8
    .kernarg_segment_size: 304
    .language:       OpenCL C
    .language_version:
      - 2
      - 0
    .max_flat_workgroup_size: 1024
    .name:           _ZN9rocsolver6v33100L21syevj_diag_rotate_orgILb1EffPfEEvbiT2_iilPT0_Pi
    .private_segment_fixed_size: 0
    .sgpr_count:     24
    .sgpr_spill_count: 0
    .symbol:         _ZN9rocsolver6v33100L21syevj_diag_rotate_orgILb1EffPfEEvbiT2_iilPT0_Pi.kd
    .uniform_work_group_size: 1
    .uses_dynamic_stack: false
    .vgpr_count:     11
    .vgpr_spill_count: 0
    .wavefront_size: 64
  - .args:
      - .offset:         0
        .size:           1
        .value_kind:     by_value
      - .offset:         4
        .size:           4
        .value_kind:     by_value
      - .offset:         8
        .size:           4
        .value_kind:     by_value
      - .address_space:  global
        .offset:         16
        .size:           8
        .value_kind:     global_buffer
      - .offset:         24
        .size:           4
        .value_kind:     by_value
      - .offset:         28
        .size:           4
        .value_kind:     by_value
      - .offset:         32
        .size:           8
        .value_kind:     by_value
      - .address_space:  global
        .offset:         40
        .size:           8
        .value_kind:     global_buffer
      - .address_space:  global
        .offset:         48
        .size:           8
        .value_kind:     global_buffer
      - .offset:         56
        .size:           4
        .value_kind:     by_value
      - .offset:         64
        .size:           4
        .value_kind:     hidden_block_count_x
      - .offset:         68
        .size:           4
        .value_kind:     hidden_block_count_y
      - .offset:         72
        .size:           4
        .value_kind:     hidden_block_count_z
      - .offset:         76
        .size:           2
        .value_kind:     hidden_group_size_x
      - .offset:         78
        .size:           2
        .value_kind:     hidden_group_size_y
      - .offset:         80
        .size:           2
        .value_kind:     hidden_group_size_z
      - .offset:         82
        .size:           2
        .value_kind:     hidden_remainder_x
      - .offset:         84
        .size:           2
        .value_kind:     hidden_remainder_y
      - .offset:         86
        .size:           2
        .value_kind:     hidden_remainder_z
      - .offset:         104
        .size:           8
        .value_kind:     hidden_global_offset_x
      - .offset:         112
        .size:           8
        .value_kind:     hidden_global_offset_y
      - .offset:         120
        .size:           8
        .value_kind:     hidden_global_offset_z
      - .offset:         128
        .size:           2
        .value_kind:     hidden_grid_dims
      - .offset:         144
        .size:           8
        .value_kind:     hidden_hostcall_buffer
      - .offset:         184
        .size:           4
        .value_kind:     hidden_dynamic_lds_size
    .group_segment_fixed_size: 0
    .kernarg_segment_align: 8
    .kernarg_segment_size: 320
    .language:       OpenCL C
    .language_version:
      - 2
      - 0
    .max_flat_workgroup_size: 1024
    .name:           _ZN9rocsolver6v33100L17syevj_diag_rotateILb0EffPfEEvbiiT2_iilPT0_Pii
    .private_segment_fixed_size: 64
    .sgpr_count:     84
    .sgpr_spill_count: 0
    .symbol:         _ZN9rocsolver6v33100L17syevj_diag_rotateILb0EffPfEEvbiiT2_iilPT0_Pii.kd
    .uniform_work_group_size: 1
    .uses_dynamic_stack: false
    .vgpr_count:     43
    .vgpr_spill_count: 0
    .wavefront_size: 64
  - .args:
      - .offset:         0
        .size:           1
        .value_kind:     by_value
      - .offset:         4
        .size:           4
        .value_kind:     by_value
      - .offset:         8
        .size:           4
        .value_kind:     by_value
      - .address_space:  global
        .offset:         16
        .size:           8
        .value_kind:     global_buffer
      - .offset:         24
        .size:           4
        .value_kind:     by_value
      - .offset:         28
        .size:           4
        .value_kind:     by_value
      - .offset:         32
        .size:           8
        .value_kind:     by_value
      - .address_space:  global
        .offset:         40
        .size:           8
        .value_kind:     global_buffer
      - .address_space:  global
        .offset:         48
        .size:           8
        .value_kind:     global_buffer
      - .offset:         56
        .size:           4
        .value_kind:     by_value
      - .offset:         64
        .size:           4
        .value_kind:     hidden_block_count_x
      - .offset:         68
        .size:           4
        .value_kind:     hidden_block_count_y
      - .offset:         72
        .size:           4
        .value_kind:     hidden_block_count_z
      - .offset:         76
        .size:           2
        .value_kind:     hidden_group_size_x
      - .offset:         78
        .size:           2
        .value_kind:     hidden_group_size_y
      - .offset:         80
        .size:           2
        .value_kind:     hidden_group_size_z
      - .offset:         82
        .size:           2
        .value_kind:     hidden_remainder_x
      - .offset:         84
        .size:           2
        .value_kind:     hidden_remainder_y
      - .offset:         86
        .size:           2
        .value_kind:     hidden_remainder_z
      - .offset:         104
        .size:           8
        .value_kind:     hidden_global_offset_x
      - .offset:         112
        .size:           8
        .value_kind:     hidden_global_offset_y
      - .offset:         120
        .size:           8
        .value_kind:     hidden_global_offset_z
      - .offset:         128
        .size:           2
        .value_kind:     hidden_grid_dims
      - .offset:         144
        .size:           8
        .value_kind:     hidden_hostcall_buffer
      - .offset:         184
        .size:           4
        .value_kind:     hidden_dynamic_lds_size
    .group_segment_fixed_size: 0
    .kernarg_segment_align: 8
    .kernarg_segment_size: 320
    .language:       OpenCL C
    .language_version:
      - 2
      - 0
    .max_flat_workgroup_size: 1024
    .name:           _ZN9rocsolver6v33100L17syevj_diag_rotateILb1EffPfEEvbiiT2_iilPT0_Pii
    .private_segment_fixed_size: 64
    .sgpr_count:     82
    .sgpr_spill_count: 0
    .symbol:         _ZN9rocsolver6v33100L17syevj_diag_rotateILb1EffPfEEvbiiT2_iilPT0_Pii.kd
    .uniform_work_group_size: 1
    .uses_dynamic_stack: false
    .vgpr_count:     43
    .vgpr_spill_count: 0
    .wavefront_size: 64
  - .args:
      - .offset:         0
        .size:           4
        .value_kind:     by_value
      - .offset:         4
        .size:           4
        .value_kind:     by_value
      - .address_space:  global
        .offset:         8
        .size:           8
        .value_kind:     global_buffer
      - .offset:         16
        .size:           4
        .value_kind:     by_value
      - .offset:         20
        .size:           4
        .value_kind:     by_value
      - .offset:         24
        .size:           8
        .value_kind:     by_value
      - .offset:         32
        .size:           4
        .value_kind:     by_value
      - .address_space:  global
        .offset:         40
        .size:           8
        .value_kind:     global_buffer
      - .address_space:  global
        .offset:         48
        .size:           8
        .value_kind:     global_buffer
      - .address_space:  global
        .offset:         56
        .size:           8
        .value_kind:     global_buffer
      - .address_space:  global
        .offset:         64
        .size:           8
        .value_kind:     global_buffer
      - .offset:         72
        .size:           4
        .value_kind:     hidden_block_count_x
      - .offset:         76
        .size:           4
        .value_kind:     hidden_block_count_y
      - .offset:         80
        .size:           4
        .value_kind:     hidden_block_count_z
      - .offset:         84
        .size:           2
        .value_kind:     hidden_group_size_x
      - .offset:         86
        .size:           2
        .value_kind:     hidden_group_size_y
      - .offset:         88
        .size:           2
        .value_kind:     hidden_group_size_z
      - .offset:         90
        .size:           2
        .value_kind:     hidden_remainder_x
      - .offset:         92
        .size:           2
        .value_kind:     hidden_remainder_y
      - .offset:         94
        .size:           2
        .value_kind:     hidden_remainder_z
      - .offset:         112
        .size:           8
        .value_kind:     hidden_global_offset_x
      - .offset:         120
        .size:           8
        .value_kind:     hidden_global_offset_y
      - .offset:         128
        .size:           8
        .value_kind:     hidden_global_offset_z
      - .offset:         136
        .size:           2
        .value_kind:     hidden_grid_dims
      - .offset:         192
        .size:           4
        .value_kind:     hidden_dynamic_lds_size
    .group_segment_fixed_size: 0
    .kernarg_segment_align: 8
    .kernarg_segment_size: 328
    .language:       OpenCL C
    .language_version:
      - 2
      - 0
    .max_flat_workgroup_size: 1024
    .name:           _ZN9rocsolver6v33100L21syevj_offd_kernel_orgIffPfEEviiT1_iilT0_PT_PiS7_S7_
    .private_segment_fixed_size: 0
    .sgpr_count:     40
    .sgpr_spill_count: 0
    .symbol:         _ZN9rocsolver6v33100L21syevj_offd_kernel_orgIffPfEEviiT1_iilT0_PT_PiS7_S7_.kd
    .uniform_work_group_size: 1
    .uses_dynamic_stack: false
    .vgpr_count:     45
    .vgpr_spill_count: 0
    .wavefront_size: 64
  - .args:
      - .offset:         0
        .size:           4
        .value_kind:     by_value
      - .offset:         4
        .size:           4
        .value_kind:     by_value
      - .address_space:  global
        .offset:         8
        .size:           8
        .value_kind:     global_buffer
      - .offset:         16
        .size:           4
        .value_kind:     by_value
      - .offset:         20
        .size:           4
        .value_kind:     by_value
      - .offset:         24
        .size:           8
        .value_kind:     by_value
      - .offset:         32
        .size:           4
        .value_kind:     by_value
      - .address_space:  global
        .offset:         40
        .size:           8
        .value_kind:     global_buffer
      - .address_space:  global
        .offset:         48
        .size:           8
        .value_kind:     global_buffer
      - .address_space:  global
        .offset:         56
        .size:           8
        .value_kind:     global_buffer
      - .address_space:  global
        .offset:         64
        .size:           8
        .value_kind:     global_buffer
      - .offset:         72
        .size:           4
        .value_kind:     by_value
      - .offset:         80
        .size:           4
        .value_kind:     hidden_block_count_x
      - .offset:         84
        .size:           4
        .value_kind:     hidden_block_count_y
      - .offset:         88
        .size:           4
        .value_kind:     hidden_block_count_z
      - .offset:         92
        .size:           2
        .value_kind:     hidden_group_size_x
      - .offset:         94
        .size:           2
        .value_kind:     hidden_group_size_y
      - .offset:         96
        .size:           2
        .value_kind:     hidden_group_size_z
      - .offset:         98
        .size:           2
        .value_kind:     hidden_remainder_x
      - .offset:         100
        .size:           2
        .value_kind:     hidden_remainder_y
      - .offset:         102
        .size:           2
        .value_kind:     hidden_remainder_z
      - .offset:         120
        .size:           8
        .value_kind:     hidden_global_offset_x
      - .offset:         128
        .size:           8
        .value_kind:     hidden_global_offset_y
      - .offset:         136
        .size:           8
        .value_kind:     hidden_global_offset_z
      - .offset:         144
        .size:           2
        .value_kind:     hidden_grid_dims
      - .offset:         200
        .size:           4
        .value_kind:     hidden_dynamic_lds_size
    .group_segment_fixed_size: 0
    .kernarg_segment_align: 8
    .kernarg_segment_size: 336
    .language:       OpenCL C
    .language_version:
      - 2
      - 0
    .max_flat_workgroup_size: 1024
    .name:           _ZN9rocsolver6v33100L17syevj_offd_kernelIffPfEEviiT1_iilT0_PT_PiS7_S7_i
    .private_segment_fixed_size: 0
    .sgpr_count:     89
    .sgpr_spill_count: 0
    .symbol:         _ZN9rocsolver6v33100L17syevj_offd_kernelIffPfEEviiT1_iilT0_PT_PiS7_S7_i.kd
    .uniform_work_group_size: 1
    .uses_dynamic_stack: false
    .vgpr_count:     37
    .vgpr_spill_count: 0
    .wavefront_size: 64
  - .args:
      - .offset:         0
        .size:           1
        .value_kind:     by_value
      - .offset:         4
        .size:           4
        .value_kind:     by_value
      - .offset:         8
        .size:           4
        .value_kind:     by_value
      - .address_space:  global
        .offset:         16
        .size:           8
        .value_kind:     global_buffer
      - .offset:         24
        .size:           4
        .value_kind:     by_value
      - .offset:         28
        .size:           4
        .value_kind:     by_value
      - .offset:         32
        .size:           8
        .value_kind:     by_value
      - .address_space:  global
        .offset:         40
        .size:           8
        .value_kind:     global_buffer
      - .address_space:  global
        .offset:         48
        .size:           8
        .value_kind:     global_buffer
      - .address_space:  global
        .offset:         56
        .size:           8
        .value_kind:     global_buffer
      - .address_space:  global
        .offset:         64
        .size:           8
        .value_kind:     global_buffer
      - .offset:         72
        .size:           4
        .value_kind:     hidden_block_count_x
      - .offset:         76
        .size:           4
        .value_kind:     hidden_block_count_y
      - .offset:         80
        .size:           4
        .value_kind:     hidden_block_count_z
      - .offset:         84
        .size:           2
        .value_kind:     hidden_group_size_x
      - .offset:         86
        .size:           2
        .value_kind:     hidden_group_size_y
      - .offset:         88
        .size:           2
        .value_kind:     hidden_group_size_z
      - .offset:         90
        .size:           2
        .value_kind:     hidden_remainder_x
      - .offset:         92
        .size:           2
        .value_kind:     hidden_remainder_y
      - .offset:         94
        .size:           2
        .value_kind:     hidden_remainder_z
      - .offset:         112
        .size:           8
        .value_kind:     hidden_global_offset_x
      - .offset:         120
        .size:           8
        .value_kind:     hidden_global_offset_y
      - .offset:         128
        .size:           8
        .value_kind:     hidden_global_offset_z
      - .offset:         136
        .size:           2
        .value_kind:     hidden_grid_dims
    .group_segment_fixed_size: 0
    .kernarg_segment_align: 8
    .kernarg_segment_size: 328
    .language:       OpenCL C
    .language_version:
      - 2
      - 0
    .max_flat_workgroup_size: 1024
    .name:           _ZN9rocsolver6v33100L21syevj_offd_rotate_orgILb0EffPfEEvbiiT2_iilPT0_PiS6_S6_
    .private_segment_fixed_size: 0
    .sgpr_count:     26
    .sgpr_spill_count: 0
    .symbol:         _ZN9rocsolver6v33100L21syevj_offd_rotate_orgILb0EffPfEEvbiiT2_iilPT0_PiS6_S6_.kd
    .uniform_work_group_size: 1
    .uses_dynamic_stack: false
    .vgpr_count:     15
    .vgpr_spill_count: 0
    .wavefront_size: 64
  - .args:
      - .offset:         0
        .size:           1
        .value_kind:     by_value
      - .offset:         4
        .size:           4
        .value_kind:     by_value
      - .offset:         8
        .size:           4
        .value_kind:     by_value
      - .address_space:  global
        .offset:         16
        .size:           8
        .value_kind:     global_buffer
      - .offset:         24
        .size:           4
        .value_kind:     by_value
      - .offset:         28
        .size:           4
        .value_kind:     by_value
      - .offset:         32
        .size:           8
        .value_kind:     by_value
      - .address_space:  global
        .offset:         40
        .size:           8
        .value_kind:     global_buffer
      - .address_space:  global
        .offset:         48
        .size:           8
        .value_kind:     global_buffer
      - .address_space:  global
        .offset:         56
        .size:           8
        .value_kind:     global_buffer
      - .address_space:  global
        .offset:         64
        .size:           8
        .value_kind:     global_buffer
      - .offset:         72
        .size:           4
        .value_kind:     by_value
      - .offset:         80
        .size:           4
        .value_kind:     hidden_block_count_x
      - .offset:         84
        .size:           4
        .value_kind:     hidden_block_count_y
      - .offset:         88
        .size:           4
        .value_kind:     hidden_block_count_z
      - .offset:         92
        .size:           2
        .value_kind:     hidden_group_size_x
      - .offset:         94
        .size:           2
        .value_kind:     hidden_group_size_y
      - .offset:         96
        .size:           2
        .value_kind:     hidden_group_size_z
      - .offset:         98
        .size:           2
        .value_kind:     hidden_remainder_x
      - .offset:         100
        .size:           2
        .value_kind:     hidden_remainder_y
      - .offset:         102
        .size:           2
        .value_kind:     hidden_remainder_z
      - .offset:         120
        .size:           8
        .value_kind:     hidden_global_offset_x
      - .offset:         128
        .size:           8
        .value_kind:     hidden_global_offset_y
      - .offset:         136
        .size:           8
        .value_kind:     hidden_global_offset_z
      - .offset:         144
        .size:           2
        .value_kind:     hidden_grid_dims
      - .offset:         200
        .size:           4
        .value_kind:     hidden_dynamic_lds_size
    .group_segment_fixed_size: 0
    .kernarg_segment_align: 8
    .kernarg_segment_size: 336
    .language:       OpenCL C
    .language_version:
      - 2
      - 0
    .max_flat_workgroup_size: 1024
    .name:           _ZN9rocsolver6v33100L17syevj_offd_rotateILb0EffPfEEvbiiT2_iilPT0_PiS6_S6_i
    .private_segment_fixed_size: 0
    .sgpr_count:     86
    .sgpr_spill_count: 0
    .symbol:         _ZN9rocsolver6v33100L17syevj_offd_rotateILb0EffPfEEvbiiT2_iilPT0_PiS6_S6_i.kd
    .uniform_work_group_size: 1
    .uses_dynamic_stack: false
    .vgpr_count:     19
    .vgpr_spill_count: 0
    .wavefront_size: 64
  - .args:
      - .offset:         0
        .size:           1
        .value_kind:     by_value
      - .offset:         4
        .size:           4
        .value_kind:     by_value
      - .offset:         8
        .size:           4
        .value_kind:     by_value
      - .address_space:  global
        .offset:         16
        .size:           8
        .value_kind:     global_buffer
      - .offset:         24
        .size:           4
        .value_kind:     by_value
      - .offset:         28
        .size:           4
        .value_kind:     by_value
      - .offset:         32
        .size:           8
        .value_kind:     by_value
      - .address_space:  global
        .offset:         40
        .size:           8
        .value_kind:     global_buffer
      - .address_space:  global
        .offset:         48
        .size:           8
        .value_kind:     global_buffer
      - .address_space:  global
        .offset:         56
        .size:           8
        .value_kind:     global_buffer
      - .address_space:  global
        .offset:         64
        .size:           8
        .value_kind:     global_buffer
      - .offset:         72
        .size:           4
        .value_kind:     hidden_block_count_x
      - .offset:         76
        .size:           4
        .value_kind:     hidden_block_count_y
      - .offset:         80
        .size:           4
        .value_kind:     hidden_block_count_z
      - .offset:         84
        .size:           2
        .value_kind:     hidden_group_size_x
      - .offset:         86
        .size:           2
        .value_kind:     hidden_group_size_y
      - .offset:         88
        .size:           2
        .value_kind:     hidden_group_size_z
      - .offset:         90
        .size:           2
        .value_kind:     hidden_remainder_x
      - .offset:         92
        .size:           2
        .value_kind:     hidden_remainder_y
      - .offset:         94
        .size:           2
        .value_kind:     hidden_remainder_z
      - .offset:         112
        .size:           8
        .value_kind:     hidden_global_offset_x
      - .offset:         120
        .size:           8
        .value_kind:     hidden_global_offset_y
      - .offset:         128
        .size:           8
        .value_kind:     hidden_global_offset_z
      - .offset:         136
        .size:           2
        .value_kind:     hidden_grid_dims
    .group_segment_fixed_size: 0
    .kernarg_segment_align: 8
    .kernarg_segment_size: 328
    .language:       OpenCL C
    .language_version:
      - 2
      - 0
    .max_flat_workgroup_size: 1024
    .name:           _ZN9rocsolver6v33100L21syevj_offd_rotate_orgILb1EffPfEEvbiiT2_iilPT0_PiS6_S6_
    .private_segment_fixed_size: 0
    .sgpr_count:     25
    .sgpr_spill_count: 0
    .symbol:         _ZN9rocsolver6v33100L21syevj_offd_rotate_orgILb1EffPfEEvbiiT2_iilPT0_PiS6_S6_.kd
    .uniform_work_group_size: 1
    .uses_dynamic_stack: false
    .vgpr_count:     15
    .vgpr_spill_count: 0
    .wavefront_size: 64
  - .args:
      - .offset:         0
        .size:           1
        .value_kind:     by_value
      - .offset:         4
        .size:           4
        .value_kind:     by_value
      - .offset:         8
        .size:           4
        .value_kind:     by_value
      - .address_space:  global
        .offset:         16
        .size:           8
        .value_kind:     global_buffer
      - .offset:         24
        .size:           4
        .value_kind:     by_value
      - .offset:         28
        .size:           4
        .value_kind:     by_value
      - .offset:         32
        .size:           8
        .value_kind:     by_value
      - .address_space:  global
        .offset:         40
        .size:           8
        .value_kind:     global_buffer
      - .address_space:  global
        .offset:         48
        .size:           8
        .value_kind:     global_buffer
      - .address_space:  global
        .offset:         56
        .size:           8
        .value_kind:     global_buffer
      - .address_space:  global
        .offset:         64
        .size:           8
        .value_kind:     global_buffer
      - .offset:         72
        .size:           4
        .value_kind:     by_value
      - .offset:         80
        .size:           4
        .value_kind:     hidden_block_count_x
      - .offset:         84
        .size:           4
        .value_kind:     hidden_block_count_y
      - .offset:         88
        .size:           4
        .value_kind:     hidden_block_count_z
      - .offset:         92
        .size:           2
        .value_kind:     hidden_group_size_x
      - .offset:         94
        .size:           2
        .value_kind:     hidden_group_size_y
      - .offset:         96
        .size:           2
        .value_kind:     hidden_group_size_z
      - .offset:         98
        .size:           2
        .value_kind:     hidden_remainder_x
      - .offset:         100
        .size:           2
        .value_kind:     hidden_remainder_y
      - .offset:         102
        .size:           2
        .value_kind:     hidden_remainder_z
      - .offset:         120
        .size:           8
        .value_kind:     hidden_global_offset_x
      - .offset:         128
        .size:           8
        .value_kind:     hidden_global_offset_y
      - .offset:         136
        .size:           8
        .value_kind:     hidden_global_offset_z
      - .offset:         144
        .size:           2
        .value_kind:     hidden_grid_dims
      - .offset:         200
        .size:           4
        .value_kind:     hidden_dynamic_lds_size
    .group_segment_fixed_size: 0
    .kernarg_segment_align: 8
    .kernarg_segment_size: 336
    .language:       OpenCL C
    .language_version:
      - 2
      - 0
    .max_flat_workgroup_size: 1024
    .name:           _ZN9rocsolver6v33100L17syevj_offd_rotateILb1EffPfEEvbiiT2_iilPT0_PiS6_S6_i
    .private_segment_fixed_size: 0
    .sgpr_count:     82
    .sgpr_spill_count: 0
    .symbol:         _ZN9rocsolver6v33100L17syevj_offd_rotateILb1EffPfEEvbiiT2_iilPT0_PiS6_S6_i.kd
    .uniform_work_group_size: 1
    .uses_dynamic_stack: false
    .vgpr_count:     21
    .vgpr_spill_count: 0
    .wavefront_size: 64
  - .args:
      - .offset:         0
        .size:           4
        .value_kind:     by_value
      - .address_space:  global
        .offset:         8
        .size:           8
        .value_kind:     global_buffer
      - .address_space:  global
        .offset:         16
        .size:           8
        .value_kind:     global_buffer
      - .offset:         24
        .size:           4
        .value_kind:     hidden_block_count_x
      - .offset:         28
        .size:           4
        .value_kind:     hidden_block_count_y
      - .offset:         32
        .size:           4
        .value_kind:     hidden_block_count_z
      - .offset:         36
        .size:           2
        .value_kind:     hidden_group_size_x
      - .offset:         38
        .size:           2
        .value_kind:     hidden_group_size_y
      - .offset:         40
        .size:           2
        .value_kind:     hidden_group_size_z
      - .offset:         42
        .size:           2
        .value_kind:     hidden_remainder_x
      - .offset:         44
        .size:           2
        .value_kind:     hidden_remainder_y
      - .offset:         46
        .size:           2
        .value_kind:     hidden_remainder_z
      - .offset:         64
        .size:           8
        .value_kind:     hidden_global_offset_x
      - .offset:         72
        .size:           8
        .value_kind:     hidden_global_offset_y
      - .offset:         80
        .size:           8
        .value_kind:     hidden_global_offset_z
      - .offset:         88
        .size:           2
        .value_kind:     hidden_grid_dims
    .group_segment_fixed_size: 0
    .kernarg_segment_align: 8
    .kernarg_segment_size: 280
    .language:       OpenCL C
    .language_version:
      - 2
      - 0
    .max_flat_workgroup_size: 1024
    .name:           _ZN9rocsolver6v33100L17syevj_cycle_pairsIfEEviPiS2_
    .private_segment_fixed_size: 0
    .sgpr_count:     20
    .sgpr_spill_count: 0
    .symbol:         _ZN9rocsolver6v33100L17syevj_cycle_pairsIfEEviPiS2_.kd
    .uniform_work_group_size: 1
    .uses_dynamic_stack: false
    .vgpr_count:     11
    .vgpr_spill_count: 0
    .wavefront_size: 64
  - .args:
      - .offset:         0
        .size:           4
        .value_kind:     by_value
      - .offset:         4
        .size:           4
        .value_kind:     by_value
      - .address_space:  global
        .offset:         8
        .size:           8
        .value_kind:     global_buffer
      - .address_space:  global
        .offset:         16
        .size:           8
        .value_kind:     global_buffer
      - .address_space:  global
        .offset:         24
        .size:           8
        .value_kind:     global_buffer
      - .address_space:  global
        .offset:         32
        .size:           8
        .value_kind:     global_buffer
      - .offset:         40
        .size:           4
        .value_kind:     hidden_block_count_x
      - .offset:         44
        .size:           4
        .value_kind:     hidden_block_count_y
      - .offset:         48
        .size:           4
        .value_kind:     hidden_block_count_z
      - .offset:         52
        .size:           2
        .value_kind:     hidden_group_size_x
      - .offset:         54
        .size:           2
        .value_kind:     hidden_group_size_y
      - .offset:         56
        .size:           2
        .value_kind:     hidden_group_size_z
      - .offset:         58
        .size:           2
        .value_kind:     hidden_remainder_x
      - .offset:         60
        .size:           2
        .value_kind:     hidden_remainder_y
      - .offset:         62
        .size:           2
        .value_kind:     hidden_remainder_z
      - .offset:         80
        .size:           8
        .value_kind:     hidden_global_offset_x
      - .offset:         88
        .size:           8
        .value_kind:     hidden_global_offset_y
      - .offset:         96
        .size:           8
        .value_kind:     hidden_global_offset_z
      - .offset:         104
        .size:           2
        .value_kind:     hidden_grid_dims
      - .offset:         160
        .size:           4
        .value_kind:     hidden_dynamic_lds_size
    .group_segment_fixed_size: 0
    .kernarg_segment_align: 8
    .kernarg_segment_size: 296
    .language:       OpenCL C
    .language_version:
      - 2
      - 0
    .max_flat_workgroup_size: 1024
    .name:           _ZN9rocsolver6v33100L15syevj_calc_normIffEEviiPT0_PT_S3_Pi
    .private_segment_fixed_size: 0
    .sgpr_count:     28
    .sgpr_spill_count: 0
    .symbol:         _ZN9rocsolver6v33100L15syevj_calc_normIffEEviiPT0_PT_S3_Pi.kd
    .uniform_work_group_size: 1
    .uses_dynamic_stack: false
    .vgpr_count:     10
    .vgpr_spill_count: 0
    .wavefront_size: 64
  - .args:
      - .offset:         0
        .size:           4
        .value_kind:     by_value
      - .offset:         4
        .size:           4
        .value_kind:     by_value
      - .offset:         8
        .size:           4
        .value_kind:     by_value
      - .address_space:  global
        .offset:         16
        .size:           8
        .value_kind:     global_buffer
      - .offset:         24
        .size:           4
        .value_kind:     by_value
      - .offset:         28
        .size:           4
        .value_kind:     by_value
      - .offset:         32
        .size:           8
        .value_kind:     by_value
      - .address_space:  global
        .offset:         40
        .size:           8
        .value_kind:     global_buffer
      - .offset:         48
        .size:           4
        .value_kind:     by_value
      - .address_space:  global
        .offset:         56
        .size:           8
        .value_kind:     global_buffer
      - .address_space:  global
        .offset:         64
        .size:           8
        .value_kind:     global_buffer
      - .offset:         72
        .size:           8
        .value_kind:     by_value
      - .address_space:  global
        .offset:         80
        .size:           8
        .value_kind:     global_buffer
      - .address_space:  global
        .offset:         88
        .size:           8
        .value_kind:     global_buffer
      - .address_space:  global
        .offset:         96
        .size:           8
        .value_kind:     global_buffer
      - .offset:         104
        .size:           4
        .value_kind:     hidden_block_count_x
      - .offset:         108
        .size:           4
        .value_kind:     hidden_block_count_y
      - .offset:         112
        .size:           4
        .value_kind:     hidden_block_count_z
      - .offset:         116
        .size:           2
        .value_kind:     hidden_group_size_x
      - .offset:         118
        .size:           2
        .value_kind:     hidden_group_size_y
      - .offset:         120
        .size:           2
        .value_kind:     hidden_group_size_z
      - .offset:         122
        .size:           2
        .value_kind:     hidden_remainder_x
      - .offset:         124
        .size:           2
        .value_kind:     hidden_remainder_y
      - .offset:         126
        .size:           2
        .value_kind:     hidden_remainder_z
      - .offset:         144
        .size:           8
        .value_kind:     hidden_global_offset_x
      - .offset:         152
        .size:           8
        .value_kind:     hidden_global_offset_y
      - .offset:         160
        .size:           8
        .value_kind:     hidden_global_offset_z
      - .offset:         168
        .size:           2
        .value_kind:     hidden_grid_dims
    .group_segment_fixed_size: 0
    .kernarg_segment_align: 8
    .kernarg_segment_size: 360
    .language:       OpenCL C
    .language_version:
      - 2
      - 0
    .max_flat_workgroup_size: 1024
    .name:           _ZN9rocsolver6v33100L14syevj_finalizeIffPfEEv14rocblas_esort_14rocblas_evect_iT1_iilPT0_iPiS7_lS8_PT_S8_
    .private_segment_fixed_size: 0
    .sgpr_count:     34
    .sgpr_spill_count: 0
    .symbol:         _ZN9rocsolver6v33100L14syevj_finalizeIffPfEEv14rocblas_esort_14rocblas_evect_iT1_iilPT0_iPiS7_lS8_PT_S8_.kd
    .uniform_work_group_size: 1
    .uses_dynamic_stack: false
    .vgpr_count:     9
    .vgpr_spill_count: 0
    .wavefront_size: 64
  - .args:
      - .offset:         0
        .size:           4
        .value_kind:     by_value
      - .offset:         4
        .size:           4
        .value_kind:     by_value
      - .address_space:  global
        .offset:         8
        .size:           8
        .value_kind:     global_buffer
      - .offset:         16
        .size:           8
        .value_kind:     by_value
      - .offset:         24
        .size:           4
        .value_kind:     by_value
      - .offset:         32
        .size:           8
        .value_kind:     by_value
      - .address_space:  global
        .offset:         40
        .size:           8
        .value_kind:     global_buffer
      - .offset:         48
        .size:           8
        .value_kind:     by_value
      - .address_space:  global
        .offset:         56
        .size:           8
        .value_kind:     global_buffer
      - .offset:         64
        .size:           8
        .value_kind:     by_value
    .group_segment_fixed_size: 0
    .kernarg_segment_align: 8
    .kernarg_segment_size: 72
    .language:       OpenCL C
    .language_version:
      - 2
      - 0
    .max_flat_workgroup_size: 256
    .name:           _ZN9rocsolver6v33100L18geqr2_kernel_smallILi256EfifPfEEvT1_S3_T3_lS3_lPT2_lPT0_l
    .private_segment_fixed_size: 0
    .sgpr_count:     52
    .sgpr_spill_count: 0
    .symbol:         _ZN9rocsolver6v33100L18geqr2_kernel_smallILi256EfifPfEEvT1_S3_T3_lS3_lPT2_lPT0_l.kd
    .uniform_work_group_size: 1
    .uses_dynamic_stack: false
    .vgpr_count:     24
    .vgpr_spill_count: 0
    .wavefront_size: 64
  - .args:
      - .address_space:  global
        .offset:         0
        .size:           8
        .value_kind:     global_buffer
      - .offset:         8
        .size:           8
        .value_kind:     by_value
      - .offset:         16
        .size:           4
        .value_kind:     by_value
      - .offset:         20
        .size:           4
        .value_kind:     by_value
      - .offset:         24
        .size:           4
        .value_kind:     hidden_block_count_x
      - .offset:         28
        .size:           4
        .value_kind:     hidden_block_count_y
      - .offset:         32
        .size:           4
        .value_kind:     hidden_block_count_z
      - .offset:         36
        .size:           2
        .value_kind:     hidden_group_size_x
      - .offset:         38
        .size:           2
        .value_kind:     hidden_group_size_y
      - .offset:         40
        .size:           2
        .value_kind:     hidden_group_size_z
      - .offset:         42
        .size:           2
        .value_kind:     hidden_remainder_x
      - .offset:         44
        .size:           2
        .value_kind:     hidden_remainder_y
      - .offset:         46
        .size:           2
        .value_kind:     hidden_remainder_z
      - .offset:         64
        .size:           8
        .value_kind:     hidden_global_offset_x
      - .offset:         72
        .size:           8
        .value_kind:     hidden_global_offset_y
      - .offset:         80
        .size:           8
        .value_kind:     hidden_global_offset_z
      - .offset:         88
        .size:           2
        .value_kind:     hidden_grid_dims
    .group_segment_fixed_size: 0
    .kernarg_segment_align: 8
    .kernarg_segment_size: 280
    .language:       OpenCL C
    .language_version:
      - 2
      - 0
    .max_flat_workgroup_size: 1024
    .name:           _ZN9rocsolver6v33100L16reset_batch_infoIfiiPfEEvT2_lT0_T1_
    .private_segment_fixed_size: 0
    .sgpr_count:     16
    .sgpr_spill_count: 0
    .symbol:         _ZN9rocsolver6v33100L16reset_batch_infoIfiiPfEEvT2_lT0_T1_.kd
    .uniform_work_group_size: 1
    .uses_dynamic_stack: false
    .vgpr_count:     4
    .vgpr_spill_count: 0
    .wavefront_size: 64
  - .args:
      - .address_space:  global
        .offset:         0
        .size:           8
        .value_kind:     global_buffer
      - .offset:         8
        .size:           8
        .value_kind:     by_value
      - .offset:         16
        .size:           8
        .value_kind:     by_value
      - .address_space:  global
        .offset:         24
        .size:           8
        .value_kind:     global_buffer
      - .offset:         32
        .size:           8
        .value_kind:     by_value
      - .offset:         40
        .size:           4
        .value_kind:     by_value
      - .offset:         48
        .size:           8
        .value_kind:     by_value
      - .offset:         56
        .size:           4
        .value_kind:     by_value
      - .offset:         60
        .size:           1
        .value_kind:     by_value
      - .offset:         64
        .size:           4
        .value_kind:     hidden_block_count_x
      - .offset:         68
        .size:           4
        .value_kind:     hidden_block_count_y
      - .offset:         72
        .size:           4
        .value_kind:     hidden_block_count_z
      - .offset:         76
        .size:           2
        .value_kind:     hidden_group_size_x
      - .offset:         78
        .size:           2
        .value_kind:     hidden_group_size_y
      - .offset:         80
        .size:           2
        .value_kind:     hidden_group_size_z
      - .offset:         82
        .size:           2
        .value_kind:     hidden_remainder_x
      - .offset:         84
        .size:           2
        .value_kind:     hidden_remainder_y
      - .offset:         86
        .size:           2
        .value_kind:     hidden_remainder_z
      - .offset:         104
        .size:           8
        .value_kind:     hidden_global_offset_x
      - .offset:         112
        .size:           8
        .value_kind:     hidden_global_offset_y
      - .offset:         120
        .size:           8
        .value_kind:     hidden_global_offset_z
      - .offset:         128
        .size:           2
        .value_kind:     hidden_grid_dims
    .group_segment_fixed_size: 0
    .kernarg_segment_align: 8
    .kernarg_segment_size: 320
    .language:       OpenCL C
    .language_version:
      - 2
      - 0
    .max_flat_workgroup_size: 1024
    .name:           _ZN9rocsolver6v33100L8set_diagIfifPfTnNSt9enable_ifIXoont18rocblas_is_complexIT_E18rocblas_is_complexIT1_EEiE4typeELi0EEEvPS5_llT2_lT0_lSA_b
    .private_segment_fixed_size: 0
    .sgpr_count:     23
    .sgpr_spill_count: 0
    .symbol:         _ZN9rocsolver6v33100L8set_diagIfifPfTnNSt9enable_ifIXoont18rocblas_is_complexIT_E18rocblas_is_complexIT1_EEiE4typeELi0EEEvPS5_llT2_lT0_lSA_b.kd
    .uniform_work_group_size: 1
    .uses_dynamic_stack: false
    .vgpr_count:     6
    .vgpr_spill_count: 0
    .wavefront_size: 64
  - .args:
      - .address_space:  global
        .offset:         0
        .size:           8
        .value_kind:     global_buffer
      - .offset:         8
        .size:           8
        .value_kind:     by_value
      - .address_space:  global
        .offset:         16
        .size:           8
        .value_kind:     global_buffer
      - .address_space:  global
        .offset:         24
        .size:           8
        .value_kind:     global_buffer
      - .offset:         32
        .size:           8
        .value_kind:     by_value
      - .offset:         40
        .size:           8
        .value_kind:     by_value
      - .address_space:  global
        .offset:         48
        .size:           8
        .value_kind:     global_buffer
      - .offset:         56
        .size:           8
        .value_kind:     by_value
      - .offset:         64
        .size:           8
        .value_kind:     by_value
    .group_segment_fixed_size: 0
    .kernarg_segment_align: 8
    .kernarg_segment_size: 72
    .language:       OpenCL C
    .language_version:
      - 2
      - 0
    .max_flat_workgroup_size: 1024
    .name:           _ZN9rocsolver6v33100L11set_taubetaIfifPfEEvPT_lS4_T2_llPT1_ll
    .private_segment_fixed_size: 0
    .sgpr_count:     28
    .sgpr_spill_count: 0
    .symbol:         _ZN9rocsolver6v33100L11set_taubetaIfifPfEEvPT_lS4_T2_llPT1_ll.kd
    .uniform_work_group_size: 1
    .uses_dynamic_stack: false
    .vgpr_count:     9
    .vgpr_spill_count: 0
    .wavefront_size: 64
  - .args:
      - .offset:         0
        .size:           4
        .value_kind:     by_value
      - .offset:         4
        .size:           4
        .value_kind:     by_value
      - .address_space:  global
        .offset:         8
        .size:           8
        .value_kind:     global_buffer
      - .offset:         16
        .size:           8
        .value_kind:     by_value
      - .offset:         24
        .size:           4
        .value_kind:     by_value
      - .offset:         32
        .size:           8
        .value_kind:     by_value
    .group_segment_fixed_size: 0
    .kernarg_segment_align: 8
    .kernarg_segment_size: 40
    .language:       OpenCL C
    .language_version:
      - 2
      - 0
    .max_flat_workgroup_size: 1024
    .name:           _ZN9rocsolver6v33100L13conj_in_placeIfiPfTnNSt9enable_ifIXnt18rocblas_is_complexIT_EEiE4typeELi0EEEvT0_S7_T1_lS7_l
    .private_segment_fixed_size: 0
    .sgpr_count:     4
    .sgpr_spill_count: 0
    .symbol:         _ZN9rocsolver6v33100L13conj_in_placeIfiPfTnNSt9enable_ifIXnt18rocblas_is_complexIT_EEiE4typeELi0EEEvT0_S7_T1_lS7_l.kd
    .uniform_work_group_size: 1
    .uses_dynamic_stack: false
    .vgpr_count:     0
    .vgpr_spill_count: 0
    .wavefront_size: 64
  - .args:
      - .offset:         0
        .size:           4
        .value_kind:     by_value
      - .offset:         4
        .size:           4
        .value_kind:     by_value
      - .address_space:  global
        .offset:         8
        .size:           8
        .value_kind:     global_buffer
      - .offset:         16
        .size:           8
        .value_kind:     by_value
      - .offset:         24
        .size:           4
        .value_kind:     by_value
      - .offset:         32
        .size:           8
        .value_kind:     by_value
      - .address_space:  global
        .offset:         40
        .size:           8
        .value_kind:     global_buffer
      - .offset:         48
        .size:           8
        .value_kind:     by_value
      - .address_space:  global
        .offset:         56
        .size:           8
        .value_kind:     global_buffer
      - .offset:         64
        .size:           8
        .value_kind:     by_value
      - .offset:         72
        .size:           4
        .value_kind:     by_value
      - .offset:         80
        .size:           8
        .value_kind:     by_value
    .group_segment_fixed_size: 0
    .kernarg_segment_align: 8
    .kernarg_segment_size: 88
    .language:       OpenCL C
    .language_version:
      - 2
      - 0
    .max_flat_workgroup_size: 1024
    .name:           _ZN9rocsolver6v33100L16larf_left_kernelILi1024EfiPfEEvT1_S3_T2_lS3_lPKT0_lS4_lS3_l
    .private_segment_fixed_size: 0
    .sgpr_count:     40
    .sgpr_spill_count: 0
    .symbol:         _ZN9rocsolver6v33100L16larf_left_kernelILi1024EfiPfEEvT1_S3_T2_lS3_lPKT0_lS4_lS3_l.kd
    .uniform_work_group_size: 1
    .uses_dynamic_stack: false
    .vgpr_count:     15
    .vgpr_spill_count: 0
    .wavefront_size: 64
  - .args:
      - .offset:         0
        .size:           4
        .value_kind:     by_value
      - .offset:         4
        .size:           4
        .value_kind:     by_value
      - .address_space:  global
        .offset:         8
        .size:           8
        .value_kind:     global_buffer
      - .offset:         16
        .size:           8
        .value_kind:     by_value
      - .offset:         24
        .size:           4
        .value_kind:     by_value
      - .offset:         32
        .size:           8
        .value_kind:     by_value
      - .address_space:  global
        .offset:         40
        .size:           8
        .value_kind:     global_buffer
      - .offset:         48
        .size:           8
        .value_kind:     by_value
      - .address_space:  global
        .offset:         56
        .size:           8
        .value_kind:     global_buffer
      - .offset:         64
        .size:           8
        .value_kind:     by_value
      - .offset:         72
        .size:           4
        .value_kind:     by_value
      - .offset:         80
        .size:           8
        .value_kind:     by_value
    .group_segment_fixed_size: 0
    .kernarg_segment_align: 8
    .kernarg_segment_size: 88
    .language:       OpenCL C
    .language_version:
      - 2
      - 0
    .max_flat_workgroup_size: 1024
    .name:           _ZN9rocsolver6v33100L17larf_right_kernelILi1024EfiPfEEvT1_S3_T2_lS3_lPKT0_lS4_lS3_l
    .private_segment_fixed_size: 0
    .sgpr_count:     40
    .sgpr_spill_count: 0
    .symbol:         _ZN9rocsolver6v33100L17larf_right_kernelILi1024EfiPfEEvT1_S3_T2_lS3_lPKT0_lS4_lS3_l.kd
    .uniform_work_group_size: 1
    .uses_dynamic_stack: false
    .vgpr_count:     15
    .vgpr_spill_count: 0
    .wavefront_size: 64
  - .args:
      - .address_space:  global
        .offset:         0
        .size:           8
        .value_kind:     global_buffer
      - .offset:         8
        .size:           8
        .value_kind:     by_value
      - .offset:         16
        .size:           8
        .value_kind:     by_value
      - .address_space:  global
        .offset:         24
        .size:           8
        .value_kind:     global_buffer
      - .offset:         32
        .size:           8
        .value_kind:     by_value
      - .offset:         40
        .size:           4
        .value_kind:     by_value
      - .offset:         48
        .size:           8
        .value_kind:     by_value
      - .offset:         56
        .size:           4
        .value_kind:     by_value
      - .offset:         64
        .size:           4
        .value_kind:     hidden_block_count_x
      - .offset:         68
        .size:           4
        .value_kind:     hidden_block_count_y
      - .offset:         72
        .size:           4
        .value_kind:     hidden_block_count_z
      - .offset:         76
        .size:           2
        .value_kind:     hidden_group_size_x
      - .offset:         78
        .size:           2
        .value_kind:     hidden_group_size_y
      - .offset:         80
        .size:           2
        .value_kind:     hidden_group_size_z
      - .offset:         82
        .size:           2
        .value_kind:     hidden_remainder_x
      - .offset:         84
        .size:           2
        .value_kind:     hidden_remainder_y
      - .offset:         86
        .size:           2
        .value_kind:     hidden_remainder_z
      - .offset:         104
        .size:           8
        .value_kind:     hidden_global_offset_x
      - .offset:         112
        .size:           8
        .value_kind:     hidden_global_offset_y
      - .offset:         120
        .size:           8
        .value_kind:     hidden_global_offset_z
      - .offset:         128
        .size:           2
        .value_kind:     hidden_grid_dims
    .group_segment_fixed_size: 0
    .kernarg_segment_align: 8
    .kernarg_segment_size: 320
    .language:       OpenCL C
    .language_version:
      - 2
      - 0
    .max_flat_workgroup_size: 1024
    .name:           _ZN9rocsolver6v33100L12restore_diagIfifPfEEvPT1_llT2_lT0_lS6_
    .private_segment_fixed_size: 0
    .sgpr_count:     21
    .sgpr_spill_count: 0
    .symbol:         _ZN9rocsolver6v33100L12restore_diagIfifPfEEvPT1_llT2_lT0_lS6_.kd
    .uniform_work_group_size: 1
    .uses_dynamic_stack: false
    .vgpr_count:     5
    .vgpr_spill_count: 0
    .wavefront_size: 64
  - .args:
      - .offset:         0
        .size:           4
        .value_kind:     by_value
      - .offset:         4
        .size:           4
        .value_kind:     by_value
      - .address_space:  global
        .offset:         8
        .size:           8
        .value_kind:     global_buffer
      - .offset:         16
        .size:           4
        .value_kind:     by_value
      - .offset:         20
        .size:           4
        .value_kind:     by_value
      - .offset:         24
        .size:           8
        .value_kind:     by_value
      - .address_space:  global
        .offset:         32
        .size:           8
        .value_kind:     global_buffer
      - .offset:         40
        .size:           8
        .value_kind:     by_value
      - .address_space:  global
        .offset:         48
        .size:           8
        .value_kind:     global_buffer
      - .offset:         56
        .size:           4
        .value_kind:     by_value
      - .offset:         64
        .size:           8
        .value_kind:     by_value
      - .offset:         72
        .size:           4
        .value_kind:     by_value
      - .offset:         76
        .size:           4
        .value_kind:     by_value
      - .offset:         80
        .size:           1
        .value_kind:     by_value
      - .offset:         88
        .size:           4
        .value_kind:     hidden_block_count_x
      - .offset:         92
        .size:           4
        .value_kind:     hidden_block_count_y
      - .offset:         96
        .size:           4
        .value_kind:     hidden_block_count_z
      - .offset:         100
        .size:           2
        .value_kind:     hidden_group_size_x
      - .offset:         102
        .size:           2
        .value_kind:     hidden_group_size_y
      - .offset:         104
        .size:           2
        .value_kind:     hidden_group_size_z
      - .offset:         106
        .size:           2
        .value_kind:     hidden_remainder_x
      - .offset:         108
        .size:           2
        .value_kind:     hidden_remainder_y
      - .offset:         110
        .size:           2
        .value_kind:     hidden_remainder_z
      - .offset:         128
        .size:           8
        .value_kind:     hidden_global_offset_x
      - .offset:         136
        .size:           8
        .value_kind:     hidden_global_offset_y
      - .offset:         144
        .size:           8
        .value_kind:     hidden_global_offset_z
      - .offset:         152
        .size:           2
        .value_kind:     hidden_grid_dims
    .group_segment_fixed_size: 0
    .kernarg_segment_align: 8
    .kernarg_segment_size: 344
    .language:       OpenCL C
    .language_version:
      - 2
      - 0
    .max_flat_workgroup_size: 1024
    .name:           _ZN9rocsolver6v33100L14set_triangularIfPfTnNSt9enable_ifIXnt18rocblas_is_complexIT_EEiE4typeELi0EEEviiT0_iilPS4_lS8_il15rocblas_direct_15rocblas_storev_b
    .private_segment_fixed_size: 0
    .sgpr_count:     27
    .sgpr_spill_count: 0
    .symbol:         _ZN9rocsolver6v33100L14set_triangularIfPfTnNSt9enable_ifIXnt18rocblas_is_complexIT_EEiE4typeELi0EEEviiT0_iilPS4_lS8_il15rocblas_direct_15rocblas_storev_b.kd
    .uniform_work_group_size: 1
    .uses_dynamic_stack: false
    .vgpr_count:     14
    .vgpr_spill_count: 0
    .wavefront_size: 64
  - .args:
      - .offset:         0
        .size:           4
        .value_kind:     by_value
      - .address_space:  global
        .offset:         8
        .size:           8
        .value_kind:     global_buffer
      - .offset:         16
        .size:           8
        .value_kind:     by_value
      - .offset:         24
        .size:           4
        .value_kind:     hidden_block_count_x
      - .offset:         28
        .size:           4
        .value_kind:     hidden_block_count_y
      - .offset:         32
        .size:           4
        .value_kind:     hidden_block_count_z
      - .offset:         36
        .size:           2
        .value_kind:     hidden_group_size_x
      - .offset:         38
        .size:           2
        .value_kind:     hidden_group_size_y
      - .offset:         40
        .size:           2
        .value_kind:     hidden_group_size_z
      - .offset:         42
        .size:           2
        .value_kind:     hidden_remainder_x
      - .offset:         44
        .size:           2
        .value_kind:     hidden_remainder_y
      - .offset:         46
        .size:           2
        .value_kind:     hidden_remainder_z
      - .offset:         64
        .size:           8
        .value_kind:     hidden_global_offset_x
      - .offset:         72
        .size:           8
        .value_kind:     hidden_global_offset_y
      - .offset:         80
        .size:           8
        .value_kind:     hidden_global_offset_z
      - .offset:         88
        .size:           2
        .value_kind:     hidden_grid_dims
    .group_segment_fixed_size: 0
    .kernarg_segment_align: 8
    .kernarg_segment_size: 280
    .language:       OpenCL C
    .language_version:
      - 2
      - 0
    .max_flat_workgroup_size: 1024
    .name:           _ZN9rocsolver6v33100L7set_tauIfEEviPT_l
    .private_segment_fixed_size: 0
    .sgpr_count:     12
    .sgpr_spill_count: 0
    .symbol:         _ZN9rocsolver6v33100L7set_tauIfEEviPT_l.kd
    .uniform_work_group_size: 1
    .uses_dynamic_stack: false
    .vgpr_count:     3
    .vgpr_spill_count: 0
    .wavefront_size: 64
  - .args:
      - .offset:         0
        .size:           4
        .value_kind:     by_value
      - .offset:         4
        .size:           4
        .value_kind:     by_value
      - .offset:         8
        .size:           4
        .value_kind:     by_value
      - .address_space:  global
        .offset:         16
        .size:           8
        .value_kind:     global_buffer
      - .offset:         24
        .size:           4
        .value_kind:     by_value
      - .offset:         28
        .size:           4
        .value_kind:     by_value
      - .offset:         32
        .size:           8
        .value_kind:     by_value
      - .address_space:  global
        .offset:         40
        .size:           8
        .value_kind:     global_buffer
      - .offset:         48
        .size:           8
        .value_kind:     by_value
      - .address_space:  global
        .offset:         56
        .size:           8
        .value_kind:     global_buffer
      - .offset:         64
        .size:           4
        .value_kind:     by_value
      - .offset:         72
        .size:           8
        .value_kind:     by_value
      - .offset:         80
        .size:           4
        .value_kind:     hidden_block_count_x
      - .offset:         84
        .size:           4
        .value_kind:     hidden_block_count_y
      - .offset:         88
        .size:           4
        .value_kind:     hidden_block_count_z
      - .offset:         92
        .size:           2
        .value_kind:     hidden_group_size_x
      - .offset:         94
        .size:           2
        .value_kind:     hidden_group_size_y
      - .offset:         96
        .size:           2
        .value_kind:     hidden_group_size_z
      - .offset:         98
        .size:           2
        .value_kind:     hidden_remainder_x
      - .offset:         100
        .size:           2
        .value_kind:     hidden_remainder_y
      - .offset:         102
        .size:           2
        .value_kind:     hidden_remainder_z
      - .offset:         120
        .size:           8
        .value_kind:     hidden_global_offset_x
      - .offset:         128
        .size:           8
        .value_kind:     hidden_global_offset_y
      - .offset:         136
        .size:           8
        .value_kind:     hidden_global_offset_z
      - .offset:         144
        .size:           2
        .value_kind:     hidden_grid_dims
      - .offset:         200
        .size:           4
        .value_kind:     hidden_dynamic_lds_size
    .group_segment_fixed_size: 0
    .kernarg_segment_align: 8
    .kernarg_segment_size: 336
    .language:       OpenCL C
    .language_version:
      - 2
      - 0
    .max_flat_workgroup_size: 1024
    .name:           _ZN9rocsolver6v33100L20larft_kernel_forwardIfPfEEv15rocblas_storev_iiT0_iilPT_lS6_il
    .private_segment_fixed_size: 0
    .sgpr_count:     52
    .sgpr_spill_count: 0
    .symbol:         _ZN9rocsolver6v33100L20larft_kernel_forwardIfPfEEv15rocblas_storev_iiT0_iilPT_lS6_il.kd
    .uniform_work_group_size: 1
    .uses_dynamic_stack: false
    .vgpr_count:     16
    .vgpr_spill_count: 0
    .wavefront_size: 64
  - .args:
      - .offset:         0
        .size:           4
        .value_kind:     by_value
      - .offset:         4
        .size:           4
        .value_kind:     by_value
      - .offset:         8
        .size:           4
        .value_kind:     by_value
      - .address_space:  global
        .offset:         16
        .size:           8
        .value_kind:     global_buffer
      - .offset:         24
        .size:           4
        .value_kind:     by_value
      - .offset:         28
        .size:           4
        .value_kind:     by_value
      - .offset:         32
        .size:           8
        .value_kind:     by_value
      - .address_space:  global
        .offset:         40
        .size:           8
        .value_kind:     global_buffer
      - .offset:         48
        .size:           8
        .value_kind:     by_value
      - .address_space:  global
        .offset:         56
        .size:           8
        .value_kind:     global_buffer
      - .offset:         64
        .size:           4
        .value_kind:     by_value
      - .offset:         72
        .size:           8
        .value_kind:     by_value
      - .offset:         80
        .size:           4
        .value_kind:     hidden_block_count_x
      - .offset:         84
        .size:           4
        .value_kind:     hidden_block_count_y
      - .offset:         88
        .size:           4
        .value_kind:     hidden_block_count_z
      - .offset:         92
        .size:           2
        .value_kind:     hidden_group_size_x
      - .offset:         94
        .size:           2
        .value_kind:     hidden_group_size_y
      - .offset:         96
        .size:           2
        .value_kind:     hidden_group_size_z
      - .offset:         98
        .size:           2
        .value_kind:     hidden_remainder_x
      - .offset:         100
        .size:           2
        .value_kind:     hidden_remainder_y
      - .offset:         102
        .size:           2
        .value_kind:     hidden_remainder_z
      - .offset:         120
        .size:           8
        .value_kind:     hidden_global_offset_x
      - .offset:         128
        .size:           8
        .value_kind:     hidden_global_offset_y
      - .offset:         136
        .size:           8
        .value_kind:     hidden_global_offset_z
      - .offset:         144
        .size:           2
        .value_kind:     hidden_grid_dims
      - .offset:         200
        .size:           4
        .value_kind:     hidden_dynamic_lds_size
    .group_segment_fixed_size: 0
    .kernarg_segment_align: 8
    .kernarg_segment_size: 336
    .language:       OpenCL C
    .language_version:
      - 2
      - 0
    .max_flat_workgroup_size: 1024
    .name:           _ZN9rocsolver6v33100L21larft_kernel_backwardIfPfEEv15rocblas_storev_iiT0_iilPT_lS6_il
    .private_segment_fixed_size: 0
    .sgpr_count:     51
    .sgpr_spill_count: 0
    .symbol:         _ZN9rocsolver6v33100L21larft_kernel_backwardIfPfEEv15rocblas_storev_iiT0_iilPT_lS6_il.kd
    .uniform_work_group_size: 1
    .uses_dynamic_stack: false
    .vgpr_count:     12
    .vgpr_spill_count: 0
    .wavefront_size: 64
  - .args:
      - .offset:         0
        .size:           4
        .value_kind:     by_value
      - .offset:         4
        .size:           4
        .value_kind:     by_value
      - .address_space:  global
        .offset:         8
        .size:           8
        .value_kind:     global_buffer
      - .offset:         16
        .size:           4
        .value_kind:     by_value
      - .offset:         20
        .size:           4
        .value_kind:     by_value
      - .offset:         24
        .size:           8
        .value_kind:     by_value
      - .address_space:  global
        .offset:         32
        .size:           8
        .value_kind:     global_buffer
      - .offset:         40
        .size:           4
        .value_kind:     hidden_block_count_x
      - .offset:         44
        .size:           4
        .value_kind:     hidden_block_count_y
      - .offset:         48
        .size:           4
        .value_kind:     hidden_block_count_z
      - .offset:         52
        .size:           2
        .value_kind:     hidden_group_size_x
      - .offset:         54
        .size:           2
        .value_kind:     hidden_group_size_y
      - .offset:         56
        .size:           2
        .value_kind:     hidden_group_size_z
      - .offset:         58
        .size:           2
        .value_kind:     hidden_remainder_x
      - .offset:         60
        .size:           2
        .value_kind:     hidden_remainder_y
      - .offset:         62
        .size:           2
        .value_kind:     hidden_remainder_z
      - .offset:         80
        .size:           8
        .value_kind:     hidden_global_offset_x
      - .offset:         88
        .size:           8
        .value_kind:     hidden_global_offset_y
      - .offset:         96
        .size:           8
        .value_kind:     hidden_global_offset_z
      - .offset:         104
        .size:           2
        .value_kind:     hidden_grid_dims
    .group_segment_fixed_size: 0
    .kernarg_segment_align: 8
    .kernarg_segment_size: 296
    .language:       OpenCL C
    .language_version:
      - 2
      - 0
    .max_flat_workgroup_size: 1024
    .name:           _ZN9rocsolver6v33100L9copymatA1IfPfEEviiT0_iilPT_
    .private_segment_fixed_size: 0
    .sgpr_count:     24
    .sgpr_spill_count: 0
    .symbol:         _ZN9rocsolver6v33100L9copymatA1IfPfEEviiT0_iilPT_.kd
    .uniform_work_group_size: 1
    .uses_dynamic_stack: false
    .vgpr_count:     7
    .vgpr_spill_count: 0
    .wavefront_size: 64
  - .args:
      - .offset:         0
        .size:           4
        .value_kind:     by_value
      - .offset:         4
        .size:           4
        .value_kind:     by_value
      - .address_space:  global
        .offset:         8
        .size:           8
        .value_kind:     global_buffer
      - .offset:         16
        .size:           4
        .value_kind:     by_value
      - .offset:         20
        .size:           4
        .value_kind:     by_value
      - .offset:         24
        .size:           8
        .value_kind:     by_value
      - .address_space:  global
        .offset:         32
        .size:           8
        .value_kind:     global_buffer
      - .offset:         40
        .size:           4
        .value_kind:     hidden_block_count_x
      - .offset:         44
        .size:           4
        .value_kind:     hidden_block_count_y
      - .offset:         48
        .size:           4
        .value_kind:     hidden_block_count_z
      - .offset:         52
        .size:           2
        .value_kind:     hidden_group_size_x
      - .offset:         54
        .size:           2
        .value_kind:     hidden_group_size_y
      - .offset:         56
        .size:           2
        .value_kind:     hidden_group_size_z
      - .offset:         58
        .size:           2
        .value_kind:     hidden_remainder_x
      - .offset:         60
        .size:           2
        .value_kind:     hidden_remainder_y
      - .offset:         62
        .size:           2
        .value_kind:     hidden_remainder_z
      - .offset:         80
        .size:           8
        .value_kind:     hidden_global_offset_x
      - .offset:         88
        .size:           8
        .value_kind:     hidden_global_offset_y
      - .offset:         96
        .size:           8
        .value_kind:     hidden_global_offset_z
      - .offset:         104
        .size:           2
        .value_kind:     hidden_grid_dims
    .group_segment_fixed_size: 0
    .kernarg_segment_align: 8
    .kernarg_segment_size: 296
    .language:       OpenCL C
    .language_version:
      - 2
      - 0
    .max_flat_workgroup_size: 1024
    .name:           _ZN9rocsolver6v33100L8addmatA1IfPfEEviiT0_iilPT_
    .private_segment_fixed_size: 0
    .sgpr_count:     24
    .sgpr_spill_count: 0
    .symbol:         _ZN9rocsolver6v33100L8addmatA1IfPfEEviiT0_iilPT_.kd
    .uniform_work_group_size: 1
    .uses_dynamic_stack: false
    .vgpr_count:     7
    .vgpr_spill_count: 0
    .wavefront_size: 64
  - .args:
      - .offset:         0
        .size:           4
        .value_kind:     by_value
      - .address_space:  global
        .offset:         8
        .size:           8
        .value_kind:     global_buffer
      - .offset:         16
        .size:           8
        .value_kind:     by_value
      - .address_space:  global
        .offset:         24
        .size:           8
        .value_kind:     global_buffer
      - .offset:         32
        .size:           4
        .value_kind:     by_value
      - .offset:         40
        .size:           8
        .value_kind:     by_value
      - .address_space:  global
        .offset:         48
        .size:           8
        .value_kind:     global_buffer
      - .offset:         56
        .size:           4
        .value_kind:     by_value
      - .offset:         64
        .size:           8
        .value_kind:     by_value
      - .offset:         72
        .size:           4
        .value_kind:     hidden_block_count_x
      - .offset:         76
        .size:           4
        .value_kind:     hidden_block_count_y
      - .offset:         80
        .size:           4
        .value_kind:     hidden_block_count_z
      - .offset:         84
        .size:           2
        .value_kind:     hidden_group_size_x
      - .offset:         86
        .size:           2
        .value_kind:     hidden_group_size_y
      - .offset:         88
        .size:           2
        .value_kind:     hidden_group_size_z
      - .offset:         90
        .size:           2
        .value_kind:     hidden_remainder_x
      - .offset:         92
        .size:           2
        .value_kind:     hidden_remainder_y
      - .offset:         94
        .size:           2
        .value_kind:     hidden_remainder_z
      - .offset:         112
        .size:           8
        .value_kind:     hidden_global_offset_x
      - .offset:         120
        .size:           8
        .value_kind:     hidden_global_offset_y
      - .offset:         128
        .size:           8
        .value_kind:     hidden_global_offset_z
      - .offset:         136
        .size:           2
        .value_kind:     hidden_grid_dims
    .group_segment_fixed_size: 0
    .kernarg_segment_align: 8
    .kernarg_segment_size: 328
    .language:       OpenCL C
    .language_version:
      - 2
      - 0
    .max_flat_workgroup_size: 1024
    .name:           _ZN9rocsolver6v33100L15gesvdj_finalizeIffEEviPT0_lPT_ilS5_il
    .private_segment_fixed_size: 0
    .sgpr_count:     26
    .sgpr_spill_count: 0
    .symbol:         _ZN9rocsolver6v33100L15gesvdj_finalizeIffEEviPT0_lPT_ilS5_il.kd
    .uniform_work_group_size: 1
    .uses_dynamic_stack: false
    .vgpr_count:     5
    .vgpr_spill_count: 0
    .wavefront_size: 64
  - .args:
      - .offset:         0
        .size:           4
        .value_kind:     by_value
      - .offset:         4
        .size:           4
        .value_kind:     by_value
      - .offset:         8
        .size:           4
        .value_kind:     by_value
      - .address_space:  global
        .offset:         16
        .size:           8
        .value_kind:     global_buffer
      - .offset:         24
        .size:           4
        .value_kind:     by_value
      - .offset:         28
        .size:           4
        .value_kind:     by_value
      - .offset:         32
        .size:           8
        .value_kind:     by_value
      - .offset:         40
        .size:           4
        .value_kind:     hidden_block_count_x
      - .offset:         44
        .size:           4
        .value_kind:     hidden_block_count_y
      - .offset:         48
        .size:           4
        .value_kind:     hidden_block_count_z
      - .offset:         52
        .size:           2
        .value_kind:     hidden_group_size_x
      - .offset:         54
        .size:           2
        .value_kind:     hidden_group_size_y
      - .offset:         56
        .size:           2
        .value_kind:     hidden_group_size_z
      - .offset:         58
        .size:           2
        .value_kind:     hidden_remainder_x
      - .offset:         60
        .size:           2
        .value_kind:     hidden_remainder_y
      - .offset:         62
        .size:           2
        .value_kind:     hidden_remainder_z
      - .offset:         80
        .size:           8
        .value_kind:     hidden_global_offset_x
      - .offset:         88
        .size:           8
        .value_kind:     hidden_global_offset_y
      - .offset:         96
        .size:           8
        .value_kind:     hidden_global_offset_z
      - .offset:         104
        .size:           2
        .value_kind:     hidden_grid_dims
    .group_segment_fixed_size: 0
    .kernarg_segment_align: 8
    .kernarg_segment_size: 296
    .language:       OpenCL C
    .language_version:
      - 2
      - 0
    .max_flat_workgroup_size: 1024
    .name:           _ZN9rocsolver6v33100L16org2r_init_identIfPfEEviiiT0_iil
    .private_segment_fixed_size: 0
    .sgpr_count:     20
    .sgpr_spill_count: 0
    .symbol:         _ZN9rocsolver6v33100L16org2r_init_identIfPfEEviiiT0_iil.kd
    .uniform_work_group_size: 1
    .uses_dynamic_stack: false
    .vgpr_count:     4
    .vgpr_spill_count: 0
    .wavefront_size: 64
  - .args:
      - .offset:         0
        .size:           4
        .value_kind:     by_value
      - .offset:         4
        .size:           4
        .value_kind:     by_value
      - .address_space:  global
        .offset:         8
        .size:           8
        .value_kind:     global_buffer
      - .offset:         16
        .size:           4
        .value_kind:     by_value
      - .offset:         20
        .size:           4
        .value_kind:     by_value
      - .offset:         24
        .size:           8
        .value_kind:     by_value
      - .address_space:  global
        .offset:         32
        .size:           8
        .value_kind:     global_buffer
      - .offset:         40
        .size:           8
        .value_kind:     by_value
    .group_segment_fixed_size: 0
    .kernarg_segment_align: 8
    .kernarg_segment_size: 48
    .language:       OpenCL C
    .language_version:
      - 2
      - 0
    .max_flat_workgroup_size: 1024
    .name:           _ZN9rocsolver6v33100L12subtract_tauIfPfEEviiT0_iilPT_l
    .private_segment_fixed_size: 0
    .sgpr_count:     20
    .sgpr_spill_count: 0
    .symbol:         _ZN9rocsolver6v33100L12subtract_tauIfPfEEviiT0_iilPT_l.kd
    .uniform_work_group_size: 1
    .uses_dynamic_stack: false
    .vgpr_count:     2
    .vgpr_spill_count: 0
    .wavefront_size: 64
  - .args:
      - .offset:         0
        .size:           4
        .value_kind:     by_value
      - .address_space:  global
        .offset:         8
        .size:           8
        .value_kind:     global_buffer
      - .offset:         16
        .size:           8
        .value_kind:     by_value
      - .offset:         24
        .size:           4
        .value_kind:     hidden_block_count_x
      - .offset:         28
        .size:           4
        .value_kind:     hidden_block_count_y
      - .offset:         32
        .size:           4
        .value_kind:     hidden_block_count_z
      - .offset:         36
        .size:           2
        .value_kind:     hidden_group_size_x
      - .offset:         38
        .size:           2
        .value_kind:     hidden_group_size_y
      - .offset:         40
        .size:           2
        .value_kind:     hidden_group_size_z
      - .offset:         42
        .size:           2
        .value_kind:     hidden_remainder_x
      - .offset:         44
        .size:           2
        .value_kind:     hidden_remainder_y
      - .offset:         46
        .size:           2
        .value_kind:     hidden_remainder_z
      - .offset:         64
        .size:           8
        .value_kind:     hidden_global_offset_x
      - .offset:         72
        .size:           8
        .value_kind:     hidden_global_offset_y
      - .offset:         80
        .size:           8
        .value_kind:     hidden_global_offset_z
      - .offset:         88
        .size:           2
        .value_kind:     hidden_grid_dims
    .group_segment_fixed_size: 0
    .kernarg_segment_align: 8
    .kernarg_segment_size: 280
    .language:       OpenCL C
    .language_version:
      - 2
      - 0
    .max_flat_workgroup_size: 1024
    .name:           _ZN9rocsolver6v33100L6restauIfEEviPT_l
    .private_segment_fixed_size: 0
    .sgpr_count:     12
    .sgpr_spill_count: 0
    .symbol:         _ZN9rocsolver6v33100L6restauIfEEviPT_l.kd
    .uniform_work_group_size: 1
    .uses_dynamic_stack: false
    .vgpr_count:     3
    .vgpr_spill_count: 0
    .wavefront_size: 64
  - .args:
      - .offset:         0
        .size:           4
        .value_kind:     by_value
      - .offset:         4
        .size:           4
        .value_kind:     by_value
      - .address_space:  global
        .offset:         8
        .size:           8
        .value_kind:     global_buffer
      - .offset:         16
        .size:           4
        .value_kind:     by_value
      - .offset:         20
        .size:           4
        .value_kind:     by_value
      - .offset:         24
        .size:           8
        .value_kind:     by_value
      - .offset:         32
        .size:           4
        .value_kind:     by_value
      - .offset:         40
        .size:           4
        .value_kind:     hidden_block_count_x
      - .offset:         44
        .size:           4
        .value_kind:     hidden_block_count_y
      - .offset:         48
        .size:           4
        .value_kind:     hidden_block_count_z
      - .offset:         52
        .size:           2
        .value_kind:     hidden_group_size_x
      - .offset:         54
        .size:           2
        .value_kind:     hidden_group_size_y
      - .offset:         56
        .size:           2
        .value_kind:     hidden_group_size_z
      - .offset:         58
        .size:           2
        .value_kind:     hidden_remainder_x
      - .offset:         60
        .size:           2
        .value_kind:     hidden_remainder_y
      - .offset:         62
        .size:           2
        .value_kind:     hidden_remainder_z
      - .offset:         80
        .size:           8
        .value_kind:     hidden_global_offset_x
      - .offset:         88
        .size:           8
        .value_kind:     hidden_global_offset_y
      - .offset:         96
        .size:           8
        .value_kind:     hidden_global_offset_z
      - .offset:         104
        .size:           2
        .value_kind:     hidden_grid_dims
    .group_segment_fixed_size: 0
    .kernarg_segment_align: 8
    .kernarg_segment_size: 296
    .language:       OpenCL C
    .language_version:
      - 2
      - 0
    .max_flat_workgroup_size: 1024
    .name:           _ZN9rocsolver6v33100L8set_zeroIfPfEEviiT0_iil13rocblas_fill_
    .private_segment_fixed_size: 0
    .sgpr_count:     13
    .sgpr_spill_count: 0
    .symbol:         _ZN9rocsolver6v33100L8set_zeroIfPfEEviiT0_iil13rocblas_fill_.kd
    .uniform_work_group_size: 1
    .uses_dynamic_stack: false
    .vgpr_count:     4
    .vgpr_spill_count: 0
    .wavefront_size: 64
  - .args:
      - .offset:         0
        .size:           4
        .value_kind:     by_value
      - .offset:         4
        .size:           4
        .value_kind:     by_value
      - .offset:         8
        .size:           4
        .value_kind:     by_value
      - .address_space:  global
        .offset:         16
        .size:           8
        .value_kind:     global_buffer
      - .offset:         24
        .size:           4
        .value_kind:     by_value
      - .offset:         28
        .size:           4
        .value_kind:     by_value
      - .offset:         32
        .size:           8
        .value_kind:     by_value
      - .address_space:  global
        .offset:         40
        .size:           8
        .value_kind:     global_buffer
      - .offset:         48
        .size:           4
        .value_kind:     by_value
      - .offset:         52
        .size:           4
        .value_kind:     by_value
      - .offset:         56
        .size:           8
        .value_kind:     by_value
      - .offset:         64
        .size:           1
        .value_kind:     by_value
      - .offset:         68
        .size:           4
        .value_kind:     by_value
      - .offset:         72
        .size:           4
        .value_kind:     by_value
      - .offset:         80
        .size:           4
        .value_kind:     hidden_block_count_x
      - .offset:         84
        .size:           4
        .value_kind:     hidden_block_count_y
      - .offset:         88
        .size:           4
        .value_kind:     hidden_block_count_z
      - .offset:         92
        .size:           2
        .value_kind:     hidden_group_size_x
      - .offset:         94
        .size:           2
        .value_kind:     hidden_group_size_y
      - .offset:         96
        .size:           2
        .value_kind:     hidden_group_size_z
      - .offset:         98
        .size:           2
        .value_kind:     hidden_remainder_x
      - .offset:         100
        .size:           2
        .value_kind:     hidden_remainder_y
      - .offset:         102
        .size:           2
        .value_kind:     hidden_remainder_z
      - .offset:         120
        .size:           8
        .value_kind:     hidden_global_offset_x
      - .offset:         128
        .size:           8
        .value_kind:     hidden_global_offset_y
      - .offset:         136
        .size:           8
        .value_kind:     hidden_global_offset_z
      - .offset:         144
        .size:           2
        .value_kind:     hidden_grid_dims
    .group_segment_fixed_size: 0
    .kernarg_segment_align: 8
    .kernarg_segment_size: 336
    .language:       OpenCL C
    .language_version:
      - 2
      - 0
    .max_flat_workgroup_size: 1024
    .name:           _ZN9rocsolver6v33100L14copy_trans_matIffPfS2_NS0_7no_maskEEEv18rocblas_operation_iiT1_iilT2_iilT3_13rocblas_fill_17rocblas_diagonal_
    .private_segment_fixed_size: 0
    .sgpr_count:     28
    .sgpr_spill_count: 0
    .symbol:         _ZN9rocsolver6v33100L14copy_trans_matIffPfS2_NS0_7no_maskEEEv18rocblas_operation_iiT1_iilT2_iilT3_13rocblas_fill_17rocblas_diagonal_.kd
    .uniform_work_group_size: 1
    .uses_dynamic_stack: false
    .vgpr_count:     5
    .vgpr_spill_count: 0
    .wavefront_size: 64
  - .args:
      - .offset:         0
        .size:           4
        .value_kind:     by_value
      - .offset:         4
        .size:           4
        .value_kind:     by_value
      - .offset:         8
        .size:           4
        .value_kind:     by_value
      - .address_space:  global
        .offset:         16
        .size:           8
        .value_kind:     global_buffer
      - .offset:         24
        .size:           4
        .value_kind:     by_value
      - .offset:         28
        .size:           4
        .value_kind:     by_value
      - .offset:         32
        .size:           8
        .value_kind:     by_value
      - .offset:         40
        .size:           4
        .value_kind:     hidden_block_count_x
      - .offset:         44
        .size:           4
        .value_kind:     hidden_block_count_y
      - .offset:         48
        .size:           4
        .value_kind:     hidden_block_count_z
      - .offset:         52
        .size:           2
        .value_kind:     hidden_group_size_x
      - .offset:         54
        .size:           2
        .value_kind:     hidden_group_size_y
      - .offset:         56
        .size:           2
        .value_kind:     hidden_group_size_z
      - .offset:         58
        .size:           2
        .value_kind:     hidden_remainder_x
      - .offset:         60
        .size:           2
        .value_kind:     hidden_remainder_y
      - .offset:         62
        .size:           2
        .value_kind:     hidden_remainder_z
      - .offset:         80
        .size:           8
        .value_kind:     hidden_global_offset_x
      - .offset:         88
        .size:           8
        .value_kind:     hidden_global_offset_y
      - .offset:         96
        .size:           8
        .value_kind:     hidden_global_offset_z
      - .offset:         104
        .size:           2
        .value_kind:     hidden_grid_dims
    .group_segment_fixed_size: 0
    .kernarg_segment_align: 8
    .kernarg_segment_size: 296
    .language:       OpenCL C
    .language_version:
      - 2
      - 0
    .max_flat_workgroup_size: 1024
    .name:           _ZN9rocsolver6v33100L16orgl2_init_identIfPfEEviiiT0_iil
    .private_segment_fixed_size: 0
    .sgpr_count:     20
    .sgpr_spill_count: 0
    .symbol:         _ZN9rocsolver6v33100L16orgl2_init_identIfPfEEviiiT0_iil.kd
    .uniform_work_group_size: 1
    .uses_dynamic_stack: false
    .vgpr_count:     4
    .vgpr_spill_count: 0
    .wavefront_size: 64
  - .args:
      - .address_space:  global
        .offset:         0
        .size:           8
        .value_kind:     global_buffer
      - .offset:         8
        .size:           4
        .value_kind:     by_value
      - .offset:         16
        .size:           8
        .value_kind:     by_value
    .group_segment_fixed_size: 0
    .kernarg_segment_align: 8
    .kernarg_segment_size: 24
    .language:       OpenCL C
    .language_version:
      - 2
      - 0
    .max_flat_workgroup_size: 32
    .name:           _ZN9rocsolver6v33100L6iota_nIdEEvPT_jS2_
    .private_segment_fixed_size: 0
    .sgpr_count:     10
    .sgpr_spill_count: 0
    .symbol:         _ZN9rocsolver6v33100L6iota_nIdEEvPT_jS2_.kd
    .uniform_work_group_size: 1
    .uses_dynamic_stack: false
    .vgpr_count:     3
    .vgpr_spill_count: 0
    .wavefront_size: 64
  - .args:
      - .address_space:  global
        .offset:         0
        .size:           8
        .value_kind:     global_buffer
      - .offset:         8
        .size:           4
        .value_kind:     by_value
      - .offset:         12
        .size:           4
        .value_kind:     by_value
      - .offset:         16
        .size:           4
        .value_kind:     by_value
      - .offset:         24
        .size:           4
        .value_kind:     hidden_block_count_x
      - .offset:         28
        .size:           4
        .value_kind:     hidden_block_count_y
      - .offset:         32
        .size:           4
        .value_kind:     hidden_block_count_z
      - .offset:         36
        .size:           2
        .value_kind:     hidden_group_size_x
      - .offset:         38
        .size:           2
        .value_kind:     hidden_group_size_y
      - .offset:         40
        .size:           2
        .value_kind:     hidden_group_size_z
      - .offset:         42
        .size:           2
        .value_kind:     hidden_remainder_x
      - .offset:         44
        .size:           2
        .value_kind:     hidden_remainder_y
      - .offset:         46
        .size:           2
        .value_kind:     hidden_remainder_z
      - .offset:         64
        .size:           8
        .value_kind:     hidden_global_offset_x
      - .offset:         72
        .size:           8
        .value_kind:     hidden_global_offset_y
      - .offset:         80
        .size:           8
        .value_kind:     hidden_global_offset_z
      - .offset:         88
        .size:           2
        .value_kind:     hidden_grid_dims
    .group_segment_fixed_size: 0
    .kernarg_segment_align: 8
    .kernarg_segment_size: 280
    .language:       OpenCL C
    .language_version:
      - 2
      - 0
    .max_flat_workgroup_size: 1024
    .name:           _ZN9rocsolver6v33100L10reset_infoIdiiEEvPT_T0_T1_S4_
    .private_segment_fixed_size: 0
    .sgpr_count:     12
    .sgpr_spill_count: 0
    .symbol:         _ZN9rocsolver6v33100L10reset_infoIdiiEEvPT_T0_T1_S4_.kd
    .uniform_work_group_size: 1
    .uses_dynamic_stack: false
    .vgpr_count:     5
    .vgpr_spill_count: 0
    .wavefront_size: 64
  - .args:
      - .offset:         0
        .size:           4
        .value_kind:     by_value
      - .address_space:  global
        .offset:         8
        .size:           8
        .value_kind:     global_buffer
      - .offset:         16
        .size:           8
        .value_kind:     by_value
      - .address_space:  global
        .offset:         24
        .size:           8
        .value_kind:     global_buffer
      - .offset:         32
        .size:           8
        .value_kind:     by_value
      - .offset:         40
        .size:           4
        .value_kind:     by_value
      - .offset:         48
        .size:           4
        .value_kind:     hidden_block_count_x
      - .offset:         52
        .size:           4
        .value_kind:     hidden_block_count_y
      - .offset:         56
        .size:           4
        .value_kind:     hidden_block_count_z
      - .offset:         60
        .size:           2
        .value_kind:     hidden_group_size_x
      - .offset:         62
        .size:           2
        .value_kind:     hidden_group_size_y
      - .offset:         64
        .size:           2
        .value_kind:     hidden_group_size_z
      - .offset:         66
        .size:           2
        .value_kind:     hidden_remainder_x
      - .offset:         68
        .size:           2
        .value_kind:     hidden_remainder_y
      - .offset:         70
        .size:           2
        .value_kind:     hidden_remainder_z
      - .offset:         88
        .size:           8
        .value_kind:     hidden_global_offset_x
      - .offset:         96
        .size:           8
        .value_kind:     hidden_global_offset_y
      - .offset:         104
        .size:           8
        .value_kind:     hidden_global_offset_z
      - .offset:         112
        .size:           2
        .value_kind:     hidden_grid_dims
    .group_segment_fixed_size: 0
    .kernarg_segment_align: 8
    .kernarg_segment_size: 304
    .language:       OpenCL C
    .language_version:
      - 2
      - 0
    .max_flat_workgroup_size: 1024
    .name:           _ZN9rocsolver6v33100L16syev_scalar_caseIdPdTnNSt9enable_ifIXnt18rocblas_is_complexIT_EEiE4typeELi0EEEv14rocblas_evect_T0_lPS4_li
    .private_segment_fixed_size: 0
    .sgpr_count:     20
    .sgpr_spill_count: 0
    .symbol:         _ZN9rocsolver6v33100L16syev_scalar_caseIdPdTnNSt9enable_ifIXnt18rocblas_is_complexIT_EEiE4typeELi0EEEv14rocblas_evect_T0_lPS4_li.kd
    .uniform_work_group_size: 1
    .uses_dynamic_stack: false
    .vgpr_count:     9
    .vgpr_spill_count: 0
    .wavefront_size: 64
  - .args:
      - .offset:         0
        .size:           4
        .value_kind:     by_value
      - .offset:         4
        .size:           4
        .value_kind:     by_value
      - .offset:         8
        .size:           4
        .value_kind:     by_value
      - .offset:         12
        .size:           4
        .value_kind:     by_value
      - .address_space:  global
        .offset:         16
        .size:           8
        .value_kind:     global_buffer
      - .offset:         24
        .size:           4
        .value_kind:     by_value
      - .offset:         28
        .size:           4
        .value_kind:     by_value
      - .offset:         32
        .size:           8
        .value_kind:     by_value
      - .offset:         40
        .size:           8
        .value_kind:     by_value
      - .offset:         48
        .size:           8
        .value_kind:     by_value
      - .address_space:  global
        .offset:         56
        .size:           8
        .value_kind:     global_buffer
      - .offset:         64
        .size:           4
        .value_kind:     by_value
      - .address_space:  global
        .offset:         72
        .size:           8
        .value_kind:     global_buffer
      - .address_space:  global
        .offset:         80
        .size:           8
        .value_kind:     global_buffer
      - .offset:         88
        .size:           8
        .value_kind:     by_value
      - .address_space:  global
        .offset:         96
        .size:           8
        .value_kind:     global_buffer
      - .address_space:  global
        .offset:         104
        .size:           8
        .value_kind:     global_buffer
    .group_segment_fixed_size: 0
    .kernarg_segment_align: 8
    .kernarg_segment_size: 112
    .language:       OpenCL C
    .language_version:
      - 2
      - 0
    .max_flat_workgroup_size: 1024
    .name:           _ZN9rocsolver6v33100L18syevj_small_kernelIddPdEEv14rocblas_esort_14rocblas_evect_13rocblas_fill_iT1_iilT0_S7_PS7_iPiS8_lS9_PT_
    .private_segment_fixed_size: 0
    .sgpr_count:     92
    .sgpr_spill_count: 0
    .symbol:         _ZN9rocsolver6v33100L18syevj_small_kernelIddPdEEv14rocblas_esort_14rocblas_evect_13rocblas_fill_iT1_iilT0_S7_PS7_iPiS8_lS9_PT_.kd
    .uniform_work_group_size: 1
    .uses_dynamic_stack: false
    .vgpr_count:     46
    .vgpr_spill_count: 0
    .wavefront_size: 64
  - .args:
      - .offset:         0
        .size:           4
        .value_kind:     by_value
      - .offset:         4
        .size:           4
        .value_kind:     by_value
      - .offset:         8
        .size:           4
        .value_kind:     by_value
      - .offset:         12
        .size:           4
        .value_kind:     by_value
      - .address_space:  global
        .offset:         16
        .size:           8
        .value_kind:     global_buffer
      - .offset:         24
        .size:           4
        .value_kind:     by_value
      - .offset:         28
        .size:           4
        .value_kind:     by_value
      - .offset:         32
        .size:           8
        .value_kind:     by_value
      - .offset:         40
        .size:           8
        .value_kind:     by_value
      - .address_space:  global
        .offset:         48
        .size:           8
        .value_kind:     global_buffer
      - .address_space:  global
        .offset:         56
        .size:           8
        .value_kind:     global_buffer
      - .address_space:  global
        .offset:         64
        .size:           8
        .value_kind:     global_buffer
      - .address_space:  global
        .offset:         72
        .size:           8
        .value_kind:     global_buffer
      - .address_space:  global
        .offset:         80
        .size:           8
        .value_kind:     global_buffer
      - .address_space:  global
        .offset:         88
        .size:           8
        .value_kind:     global_buffer
      - .offset:         96
        .size:           4
        .value_kind:     hidden_block_count_x
      - .offset:         100
        .size:           4
        .value_kind:     hidden_block_count_y
      - .offset:         104
        .size:           4
        .value_kind:     hidden_block_count_z
      - .offset:         108
        .size:           2
        .value_kind:     hidden_group_size_x
      - .offset:         110
        .size:           2
        .value_kind:     hidden_group_size_y
      - .offset:         112
        .size:           2
        .value_kind:     hidden_group_size_z
      - .offset:         114
        .size:           2
        .value_kind:     hidden_remainder_x
      - .offset:         116
        .size:           2
        .value_kind:     hidden_remainder_y
      - .offset:         118
        .size:           2
        .value_kind:     hidden_remainder_z
      - .offset:         136
        .size:           8
        .value_kind:     hidden_global_offset_x
      - .offset:         144
        .size:           8
        .value_kind:     hidden_global_offset_y
      - .offset:         152
        .size:           8
        .value_kind:     hidden_global_offset_z
      - .offset:         160
        .size:           2
        .value_kind:     hidden_grid_dims
      - .offset:         216
        .size:           4
        .value_kind:     hidden_dynamic_lds_size
    .group_segment_fixed_size: 0
    .kernarg_segment_align: 8
    .kernarg_segment_size: 352
    .language:       OpenCL C
    .language_version:
      - 2
      - 0
    .max_flat_workgroup_size: 1024
    .name:           _ZN9rocsolver6v33100L10syevj_initIddPdEEv14rocblas_evect_13rocblas_fill_iiT1_iilT0_PS6_PT_S7_PiSA_SA_
    .private_segment_fixed_size: 0
    .sgpr_count:     57
    .sgpr_spill_count: 0
    .symbol:         _ZN9rocsolver6v33100L10syevj_initIddPdEEv14rocblas_evect_13rocblas_fill_iiT1_iilT0_PS6_PT_S7_PiSA_SA_.kd
    .uniform_work_group_size: 1
    .uses_dynamic_stack: false
    .vgpr_count:     31
    .vgpr_spill_count: 0
    .wavefront_size: 64
  - .args:
      - .offset:         0
        .size:           4
        .value_kind:     by_value
      - .address_space:  global
        .offset:         8
        .size:           8
        .value_kind:     global_buffer
      - .offset:         16
        .size:           4
        .value_kind:     by_value
      - .offset:         20
        .size:           4
        .value_kind:     by_value
      - .offset:         24
        .size:           8
        .value_kind:     by_value
      - .offset:         32
        .size:           8
        .value_kind:     by_value
      - .address_space:  global
        .offset:         40
        .size:           8
        .value_kind:     global_buffer
      - .address_space:  global
        .offset:         48
        .size:           8
        .value_kind:     global_buffer
      - .offset:         56
        .size:           4
        .value_kind:     hidden_block_count_x
      - .offset:         60
        .size:           4
        .value_kind:     hidden_block_count_y
      - .offset:         64
        .size:           4
        .value_kind:     hidden_block_count_z
      - .offset:         68
        .size:           2
        .value_kind:     hidden_group_size_x
      - .offset:         70
        .size:           2
        .value_kind:     hidden_group_size_y
      - .offset:         72
        .size:           2
        .value_kind:     hidden_group_size_z
      - .offset:         74
        .size:           2
        .value_kind:     hidden_remainder_x
      - .offset:         76
        .size:           2
        .value_kind:     hidden_remainder_y
      - .offset:         78
        .size:           2
        .value_kind:     hidden_remainder_z
      - .offset:         96
        .size:           8
        .value_kind:     hidden_global_offset_x
      - .offset:         104
        .size:           8
        .value_kind:     hidden_global_offset_y
      - .offset:         112
        .size:           8
        .value_kind:     hidden_global_offset_z
      - .offset:         120
        .size:           2
        .value_kind:     hidden_grid_dims
      - .offset:         176
        .size:           4
        .value_kind:     hidden_dynamic_lds_size
    .group_segment_fixed_size: 0
    .kernarg_segment_align: 8
    .kernarg_segment_size: 312
    .language:       OpenCL C
    .language_version:
      - 2
      - 0
    .max_flat_workgroup_size: 1024
    .name:           _ZN9rocsolver6v33100L17syevj_diag_kernelIddPdEEviT1_iilT0_PT_Pi
    .private_segment_fixed_size: 0
    .sgpr_count:     44
    .sgpr_spill_count: 0
    .symbol:         _ZN9rocsolver6v33100L17syevj_diag_kernelIddPdEEviT1_iilT0_PT_Pi.kd
    .uniform_work_group_size: 1
    .uses_dynamic_stack: false
    .vgpr_count:     38
    .vgpr_spill_count: 0
    .wavefront_size: 64
  - .args:
      - .offset:         0
        .size:           1
        .value_kind:     by_value
      - .offset:         4
        .size:           4
        .value_kind:     by_value
      - .address_space:  global
        .offset:         8
        .size:           8
        .value_kind:     global_buffer
      - .offset:         16
        .size:           4
        .value_kind:     by_value
      - .offset:         20
        .size:           4
        .value_kind:     by_value
      - .offset:         24
        .size:           8
        .value_kind:     by_value
      - .address_space:  global
        .offset:         32
        .size:           8
        .value_kind:     global_buffer
      - .address_space:  global
        .offset:         40
        .size:           8
        .value_kind:     global_buffer
      - .offset:         48
        .size:           4
        .value_kind:     hidden_block_count_x
      - .offset:         52
        .size:           4
        .value_kind:     hidden_block_count_y
      - .offset:         56
        .size:           4
        .value_kind:     hidden_block_count_z
      - .offset:         60
        .size:           2
        .value_kind:     hidden_group_size_x
      - .offset:         62
        .size:           2
        .value_kind:     hidden_group_size_y
      - .offset:         64
        .size:           2
        .value_kind:     hidden_group_size_z
      - .offset:         66
        .size:           2
        .value_kind:     hidden_remainder_x
      - .offset:         68
        .size:           2
        .value_kind:     hidden_remainder_y
      - .offset:         70
        .size:           2
        .value_kind:     hidden_remainder_z
      - .offset:         88
        .size:           8
        .value_kind:     hidden_global_offset_x
      - .offset:         96
        .size:           8
        .value_kind:     hidden_global_offset_y
      - .offset:         104
        .size:           8
        .value_kind:     hidden_global_offset_z
      - .offset:         112
        .size:           2
        .value_kind:     hidden_grid_dims
    .group_segment_fixed_size: 0
    .kernarg_segment_align: 8
    .kernarg_segment_size: 304
    .language:       OpenCL C
    .language_version:
      - 2
      - 0
    .max_flat_workgroup_size: 1024
    .name:           _ZN9rocsolver6v33100L21syevj_diag_rotate_orgILb0EddPdEEvbiT2_iilPT0_Pi
    .private_segment_fixed_size: 0
    .sgpr_count:     24
    .sgpr_spill_count: 0
    .symbol:         _ZN9rocsolver6v33100L21syevj_diag_rotate_orgILb0EddPdEEvbiT2_iilPT0_Pi.kd
    .uniform_work_group_size: 1
    .uses_dynamic_stack: false
    .vgpr_count:     13
    .vgpr_spill_count: 0
    .wavefront_size: 64
  - .args:
      - .offset:         0
        .size:           1
        .value_kind:     by_value
      - .offset:         4
        .size:           4
        .value_kind:     by_value
      - .address_space:  global
        .offset:         8
        .size:           8
        .value_kind:     global_buffer
      - .offset:         16
        .size:           4
        .value_kind:     by_value
      - .offset:         20
        .size:           4
        .value_kind:     by_value
      - .offset:         24
        .size:           8
        .value_kind:     by_value
      - .address_space:  global
        .offset:         32
        .size:           8
        .value_kind:     global_buffer
      - .address_space:  global
        .offset:         40
        .size:           8
        .value_kind:     global_buffer
      - .offset:         48
        .size:           4
        .value_kind:     hidden_block_count_x
      - .offset:         52
        .size:           4
        .value_kind:     hidden_block_count_y
      - .offset:         56
        .size:           4
        .value_kind:     hidden_block_count_z
      - .offset:         60
        .size:           2
        .value_kind:     hidden_group_size_x
      - .offset:         62
        .size:           2
        .value_kind:     hidden_group_size_y
      - .offset:         64
        .size:           2
        .value_kind:     hidden_group_size_z
      - .offset:         66
        .size:           2
        .value_kind:     hidden_remainder_x
      - .offset:         68
        .size:           2
        .value_kind:     hidden_remainder_y
      - .offset:         70
        .size:           2
        .value_kind:     hidden_remainder_z
      - .offset:         88
        .size:           8
        .value_kind:     hidden_global_offset_x
      - .offset:         96
        .size:           8
        .value_kind:     hidden_global_offset_y
      - .offset:         104
        .size:           8
        .value_kind:     hidden_global_offset_z
      - .offset:         112
        .size:           2
        .value_kind:     hidden_grid_dims
    .group_segment_fixed_size: 0
    .kernarg_segment_align: 8
    .kernarg_segment_size: 304
    .language:       OpenCL C
    .language_version:
      - 2
      - 0
    .max_flat_workgroup_size: 1024
    .name:           _ZN9rocsolver6v33100L21syevj_diag_rotate_orgILb1EddPdEEvbiT2_iilPT0_Pi
    .private_segment_fixed_size: 0
    .sgpr_count:     24
    .sgpr_spill_count: 0
    .symbol:         _ZN9rocsolver6v33100L21syevj_diag_rotate_orgILb1EddPdEEvbiT2_iilPT0_Pi.kd
    .uniform_work_group_size: 1
    .uses_dynamic_stack: false
    .vgpr_count:     13
    .vgpr_spill_count: 0
    .wavefront_size: 64
  - .args:
      - .offset:         0
        .size:           1
        .value_kind:     by_value
      - .offset:         4
        .size:           4
        .value_kind:     by_value
      - .offset:         8
        .size:           4
        .value_kind:     by_value
      - .address_space:  global
        .offset:         16
        .size:           8
        .value_kind:     global_buffer
      - .offset:         24
        .size:           4
        .value_kind:     by_value
      - .offset:         28
        .size:           4
        .value_kind:     by_value
      - .offset:         32
        .size:           8
        .value_kind:     by_value
      - .address_space:  global
        .offset:         40
        .size:           8
        .value_kind:     global_buffer
      - .address_space:  global
        .offset:         48
        .size:           8
        .value_kind:     global_buffer
      - .offset:         56
        .size:           4
        .value_kind:     by_value
      - .offset:         64
        .size:           4
        .value_kind:     hidden_block_count_x
      - .offset:         68
        .size:           4
        .value_kind:     hidden_block_count_y
      - .offset:         72
        .size:           4
        .value_kind:     hidden_block_count_z
      - .offset:         76
        .size:           2
        .value_kind:     hidden_group_size_x
      - .offset:         78
        .size:           2
        .value_kind:     hidden_group_size_y
      - .offset:         80
        .size:           2
        .value_kind:     hidden_group_size_z
      - .offset:         82
        .size:           2
        .value_kind:     hidden_remainder_x
      - .offset:         84
        .size:           2
        .value_kind:     hidden_remainder_y
      - .offset:         86
        .size:           2
        .value_kind:     hidden_remainder_z
      - .offset:         104
        .size:           8
        .value_kind:     hidden_global_offset_x
      - .offset:         112
        .size:           8
        .value_kind:     hidden_global_offset_y
      - .offset:         120
        .size:           8
        .value_kind:     hidden_global_offset_z
      - .offset:         128
        .size:           2
        .value_kind:     hidden_grid_dims
      - .offset:         144
        .size:           8
        .value_kind:     hidden_hostcall_buffer
      - .offset:         184
        .size:           4
        .value_kind:     hidden_dynamic_lds_size
    .group_segment_fixed_size: 0
    .kernarg_segment_align: 8
    .kernarg_segment_size: 320
    .language:       OpenCL C
    .language_version:
      - 2
      - 0
    .max_flat_workgroup_size: 1024
    .name:           _ZN9rocsolver6v33100L17syevj_diag_rotateILb0EddPdEEvbiiT2_iilPT0_Pii
    .private_segment_fixed_size: 64
    .sgpr_count:     84
    .sgpr_spill_count: 0
    .symbol:         _ZN9rocsolver6v33100L17syevj_diag_rotateILb0EddPdEEvbiiT2_iilPT0_Pii.kd
    .uniform_work_group_size: 1
    .uses_dynamic_stack: false
    .vgpr_count:     43
    .vgpr_spill_count: 0
    .wavefront_size: 64
  - .args:
      - .offset:         0
        .size:           1
        .value_kind:     by_value
      - .offset:         4
        .size:           4
        .value_kind:     by_value
      - .offset:         8
        .size:           4
        .value_kind:     by_value
      - .address_space:  global
        .offset:         16
        .size:           8
        .value_kind:     global_buffer
      - .offset:         24
        .size:           4
        .value_kind:     by_value
      - .offset:         28
        .size:           4
        .value_kind:     by_value
      - .offset:         32
        .size:           8
        .value_kind:     by_value
      - .address_space:  global
        .offset:         40
        .size:           8
        .value_kind:     global_buffer
      - .address_space:  global
        .offset:         48
        .size:           8
        .value_kind:     global_buffer
      - .offset:         56
        .size:           4
        .value_kind:     by_value
      - .offset:         64
        .size:           4
        .value_kind:     hidden_block_count_x
      - .offset:         68
        .size:           4
        .value_kind:     hidden_block_count_y
      - .offset:         72
        .size:           4
        .value_kind:     hidden_block_count_z
      - .offset:         76
        .size:           2
        .value_kind:     hidden_group_size_x
      - .offset:         78
        .size:           2
        .value_kind:     hidden_group_size_y
      - .offset:         80
        .size:           2
        .value_kind:     hidden_group_size_z
      - .offset:         82
        .size:           2
        .value_kind:     hidden_remainder_x
      - .offset:         84
        .size:           2
        .value_kind:     hidden_remainder_y
      - .offset:         86
        .size:           2
        .value_kind:     hidden_remainder_z
      - .offset:         104
        .size:           8
        .value_kind:     hidden_global_offset_x
      - .offset:         112
        .size:           8
        .value_kind:     hidden_global_offset_y
      - .offset:         120
        .size:           8
        .value_kind:     hidden_global_offset_z
      - .offset:         128
        .size:           2
        .value_kind:     hidden_grid_dims
      - .offset:         144
        .size:           8
        .value_kind:     hidden_hostcall_buffer
      - .offset:         184
        .size:           4
        .value_kind:     hidden_dynamic_lds_size
    .group_segment_fixed_size: 0
    .kernarg_segment_align: 8
    .kernarg_segment_size: 320
    .language:       OpenCL C
    .language_version:
      - 2
      - 0
    .max_flat_workgroup_size: 1024
    .name:           _ZN9rocsolver6v33100L17syevj_diag_rotateILb1EddPdEEvbiiT2_iilPT0_Pii
    .private_segment_fixed_size: 64
    .sgpr_count:     82
    .sgpr_spill_count: 0
    .symbol:         _ZN9rocsolver6v33100L17syevj_diag_rotateILb1EddPdEEvbiiT2_iilPT0_Pii.kd
    .uniform_work_group_size: 1
    .uses_dynamic_stack: false
    .vgpr_count:     43
    .vgpr_spill_count: 0
    .wavefront_size: 64
  - .args:
      - .offset:         0
        .size:           4
        .value_kind:     by_value
      - .offset:         4
        .size:           4
        .value_kind:     by_value
      - .address_space:  global
        .offset:         8
        .size:           8
        .value_kind:     global_buffer
      - .offset:         16
        .size:           4
        .value_kind:     by_value
      - .offset:         20
        .size:           4
        .value_kind:     by_value
      - .offset:         24
        .size:           8
        .value_kind:     by_value
      - .offset:         32
        .size:           8
        .value_kind:     by_value
      - .address_space:  global
        .offset:         40
        .size:           8
        .value_kind:     global_buffer
      - .address_space:  global
        .offset:         48
        .size:           8
        .value_kind:     global_buffer
      - .address_space:  global
        .offset:         56
        .size:           8
        .value_kind:     global_buffer
      - .address_space:  global
        .offset:         64
        .size:           8
        .value_kind:     global_buffer
      - .offset:         72
        .size:           4
        .value_kind:     hidden_block_count_x
      - .offset:         76
        .size:           4
        .value_kind:     hidden_block_count_y
      - .offset:         80
        .size:           4
        .value_kind:     hidden_block_count_z
      - .offset:         84
        .size:           2
        .value_kind:     hidden_group_size_x
      - .offset:         86
        .size:           2
        .value_kind:     hidden_group_size_y
      - .offset:         88
        .size:           2
        .value_kind:     hidden_group_size_z
      - .offset:         90
        .size:           2
        .value_kind:     hidden_remainder_x
      - .offset:         92
        .size:           2
        .value_kind:     hidden_remainder_y
      - .offset:         94
        .size:           2
        .value_kind:     hidden_remainder_z
      - .offset:         112
        .size:           8
        .value_kind:     hidden_global_offset_x
      - .offset:         120
        .size:           8
        .value_kind:     hidden_global_offset_y
      - .offset:         128
        .size:           8
        .value_kind:     hidden_global_offset_z
      - .offset:         136
        .size:           2
        .value_kind:     hidden_grid_dims
      - .offset:         192
        .size:           4
        .value_kind:     hidden_dynamic_lds_size
    .group_segment_fixed_size: 0
    .kernarg_segment_align: 8
    .kernarg_segment_size: 328
    .language:       OpenCL C
    .language_version:
      - 2
      - 0
    .max_flat_workgroup_size: 1024
    .name:           _ZN9rocsolver6v33100L21syevj_offd_kernel_orgIddPdEEviiT1_iilT0_PT_PiS7_S7_
    .private_segment_fixed_size: 0
    .sgpr_count:     44
    .sgpr_spill_count: 0
    .symbol:         _ZN9rocsolver6v33100L21syevj_offd_kernel_orgIddPdEEviiT1_iilT0_PT_PiS7_S7_.kd
    .uniform_work_group_size: 1
    .uses_dynamic_stack: false
    .vgpr_count:     59
    .vgpr_spill_count: 0
    .wavefront_size: 64
  - .args:
      - .offset:         0
        .size:           4
        .value_kind:     by_value
      - .offset:         4
        .size:           4
        .value_kind:     by_value
      - .address_space:  global
        .offset:         8
        .size:           8
        .value_kind:     global_buffer
      - .offset:         16
        .size:           4
        .value_kind:     by_value
      - .offset:         20
        .size:           4
        .value_kind:     by_value
      - .offset:         24
        .size:           8
        .value_kind:     by_value
      - .offset:         32
        .size:           8
        .value_kind:     by_value
      - .address_space:  global
        .offset:         40
        .size:           8
        .value_kind:     global_buffer
      - .address_space:  global
        .offset:         48
        .size:           8
        .value_kind:     global_buffer
      - .address_space:  global
        .offset:         56
        .size:           8
        .value_kind:     global_buffer
      - .address_space:  global
        .offset:         64
        .size:           8
        .value_kind:     global_buffer
      - .offset:         72
        .size:           4
        .value_kind:     by_value
      - .offset:         80
        .size:           4
        .value_kind:     hidden_block_count_x
      - .offset:         84
        .size:           4
        .value_kind:     hidden_block_count_y
      - .offset:         88
        .size:           4
        .value_kind:     hidden_block_count_z
      - .offset:         92
        .size:           2
        .value_kind:     hidden_group_size_x
      - .offset:         94
        .size:           2
        .value_kind:     hidden_group_size_y
      - .offset:         96
        .size:           2
        .value_kind:     hidden_group_size_z
      - .offset:         98
        .size:           2
        .value_kind:     hidden_remainder_x
      - .offset:         100
        .size:           2
        .value_kind:     hidden_remainder_y
      - .offset:         102
        .size:           2
        .value_kind:     hidden_remainder_z
      - .offset:         120
        .size:           8
        .value_kind:     hidden_global_offset_x
      - .offset:         128
        .size:           8
        .value_kind:     hidden_global_offset_y
      - .offset:         136
        .size:           8
        .value_kind:     hidden_global_offset_z
      - .offset:         144
        .size:           2
        .value_kind:     hidden_grid_dims
      - .offset:         200
        .size:           4
        .value_kind:     hidden_dynamic_lds_size
    .group_segment_fixed_size: 0
    .kernarg_segment_align: 8
    .kernarg_segment_size: 336
    .language:       OpenCL C
    .language_version:
      - 2
      - 0
    .max_flat_workgroup_size: 1024
    .name:           _ZN9rocsolver6v33100L17syevj_offd_kernelIddPdEEviiT1_iilT0_PT_PiS7_S7_i
    .private_segment_fixed_size: 0
    .sgpr_count:     90
    .sgpr_spill_count: 0
    .symbol:         _ZN9rocsolver6v33100L17syevj_offd_kernelIddPdEEviiT1_iilT0_PT_PiS7_S7_i.kd
    .uniform_work_group_size: 1
    .uses_dynamic_stack: false
    .vgpr_count:     54
    .vgpr_spill_count: 0
    .wavefront_size: 64
  - .args:
      - .offset:         0
        .size:           1
        .value_kind:     by_value
      - .offset:         4
        .size:           4
        .value_kind:     by_value
      - .offset:         8
        .size:           4
        .value_kind:     by_value
      - .address_space:  global
        .offset:         16
        .size:           8
        .value_kind:     global_buffer
      - .offset:         24
        .size:           4
        .value_kind:     by_value
      - .offset:         28
        .size:           4
        .value_kind:     by_value
      - .offset:         32
        .size:           8
        .value_kind:     by_value
      - .address_space:  global
        .offset:         40
        .size:           8
        .value_kind:     global_buffer
      - .address_space:  global
        .offset:         48
        .size:           8
        .value_kind:     global_buffer
      - .address_space:  global
        .offset:         56
        .size:           8
        .value_kind:     global_buffer
      - .address_space:  global
        .offset:         64
        .size:           8
        .value_kind:     global_buffer
      - .offset:         72
        .size:           4
        .value_kind:     hidden_block_count_x
      - .offset:         76
        .size:           4
        .value_kind:     hidden_block_count_y
      - .offset:         80
        .size:           4
        .value_kind:     hidden_block_count_z
      - .offset:         84
        .size:           2
        .value_kind:     hidden_group_size_x
      - .offset:         86
        .size:           2
        .value_kind:     hidden_group_size_y
      - .offset:         88
        .size:           2
        .value_kind:     hidden_group_size_z
      - .offset:         90
        .size:           2
        .value_kind:     hidden_remainder_x
      - .offset:         92
        .size:           2
        .value_kind:     hidden_remainder_y
      - .offset:         94
        .size:           2
        .value_kind:     hidden_remainder_z
      - .offset:         112
        .size:           8
        .value_kind:     hidden_global_offset_x
      - .offset:         120
        .size:           8
        .value_kind:     hidden_global_offset_y
      - .offset:         128
        .size:           8
        .value_kind:     hidden_global_offset_z
      - .offset:         136
        .size:           2
        .value_kind:     hidden_grid_dims
    .group_segment_fixed_size: 0
    .kernarg_segment_align: 8
    .kernarg_segment_size: 328
    .language:       OpenCL C
    .language_version:
      - 2
      - 0
    .max_flat_workgroup_size: 1024
    .name:           _ZN9rocsolver6v33100L21syevj_offd_rotate_orgILb0EddPdEEvbiiT2_iilPT0_PiS6_S6_
    .private_segment_fixed_size: 0
    .sgpr_count:     26
    .sgpr_spill_count: 0
    .symbol:         _ZN9rocsolver6v33100L21syevj_offd_rotate_orgILb0EddPdEEvbiiT2_iilPT0_PiS6_S6_.kd
    .uniform_work_group_size: 1
    .uses_dynamic_stack: false
    .vgpr_count:     16
    .vgpr_spill_count: 0
    .wavefront_size: 64
  - .args:
      - .offset:         0
        .size:           1
        .value_kind:     by_value
      - .offset:         4
        .size:           4
        .value_kind:     by_value
      - .offset:         8
        .size:           4
        .value_kind:     by_value
      - .address_space:  global
        .offset:         16
        .size:           8
        .value_kind:     global_buffer
      - .offset:         24
        .size:           4
        .value_kind:     by_value
      - .offset:         28
        .size:           4
        .value_kind:     by_value
      - .offset:         32
        .size:           8
        .value_kind:     by_value
      - .address_space:  global
        .offset:         40
        .size:           8
        .value_kind:     global_buffer
      - .address_space:  global
        .offset:         48
        .size:           8
        .value_kind:     global_buffer
      - .address_space:  global
        .offset:         56
        .size:           8
        .value_kind:     global_buffer
      - .address_space:  global
        .offset:         64
        .size:           8
        .value_kind:     global_buffer
      - .offset:         72
        .size:           4
        .value_kind:     by_value
      - .offset:         80
        .size:           4
        .value_kind:     hidden_block_count_x
      - .offset:         84
        .size:           4
        .value_kind:     hidden_block_count_y
      - .offset:         88
        .size:           4
        .value_kind:     hidden_block_count_z
      - .offset:         92
        .size:           2
        .value_kind:     hidden_group_size_x
      - .offset:         94
        .size:           2
        .value_kind:     hidden_group_size_y
      - .offset:         96
        .size:           2
        .value_kind:     hidden_group_size_z
      - .offset:         98
        .size:           2
        .value_kind:     hidden_remainder_x
      - .offset:         100
        .size:           2
        .value_kind:     hidden_remainder_y
      - .offset:         102
        .size:           2
        .value_kind:     hidden_remainder_z
      - .offset:         120
        .size:           8
        .value_kind:     hidden_global_offset_x
      - .offset:         128
        .size:           8
        .value_kind:     hidden_global_offset_y
      - .offset:         136
        .size:           8
        .value_kind:     hidden_global_offset_z
      - .offset:         144
        .size:           2
        .value_kind:     hidden_grid_dims
      - .offset:         200
        .size:           4
        .value_kind:     hidden_dynamic_lds_size
    .group_segment_fixed_size: 0
    .kernarg_segment_align: 8
    .kernarg_segment_size: 336
    .language:       OpenCL C
    .language_version:
      - 2
      - 0
    .max_flat_workgroup_size: 1024
    .name:           _ZN9rocsolver6v33100L17syevj_offd_rotateILb0EddPdEEvbiiT2_iilPT0_PiS6_S6_i
    .private_segment_fixed_size: 0
    .sgpr_count:     86
    .sgpr_spill_count: 0
    .symbol:         _ZN9rocsolver6v33100L17syevj_offd_rotateILb0EddPdEEvbiiT2_iilPT0_PiS6_S6_i.kd
    .uniform_work_group_size: 1
    .uses_dynamic_stack: false
    .vgpr_count:     21
    .vgpr_spill_count: 0
    .wavefront_size: 64
  - .args:
      - .offset:         0
        .size:           1
        .value_kind:     by_value
      - .offset:         4
        .size:           4
        .value_kind:     by_value
      - .offset:         8
        .size:           4
        .value_kind:     by_value
      - .address_space:  global
        .offset:         16
        .size:           8
        .value_kind:     global_buffer
      - .offset:         24
        .size:           4
        .value_kind:     by_value
      - .offset:         28
        .size:           4
        .value_kind:     by_value
      - .offset:         32
        .size:           8
        .value_kind:     by_value
      - .address_space:  global
        .offset:         40
        .size:           8
        .value_kind:     global_buffer
      - .address_space:  global
        .offset:         48
        .size:           8
        .value_kind:     global_buffer
      - .address_space:  global
        .offset:         56
        .size:           8
        .value_kind:     global_buffer
      - .address_space:  global
        .offset:         64
        .size:           8
        .value_kind:     global_buffer
      - .offset:         72
        .size:           4
        .value_kind:     hidden_block_count_x
      - .offset:         76
        .size:           4
        .value_kind:     hidden_block_count_y
      - .offset:         80
        .size:           4
        .value_kind:     hidden_block_count_z
      - .offset:         84
        .size:           2
        .value_kind:     hidden_group_size_x
      - .offset:         86
        .size:           2
        .value_kind:     hidden_group_size_y
      - .offset:         88
        .size:           2
        .value_kind:     hidden_group_size_z
      - .offset:         90
        .size:           2
        .value_kind:     hidden_remainder_x
      - .offset:         92
        .size:           2
        .value_kind:     hidden_remainder_y
      - .offset:         94
        .size:           2
        .value_kind:     hidden_remainder_z
      - .offset:         112
        .size:           8
        .value_kind:     hidden_global_offset_x
      - .offset:         120
        .size:           8
        .value_kind:     hidden_global_offset_y
      - .offset:         128
        .size:           8
        .value_kind:     hidden_global_offset_z
      - .offset:         136
        .size:           2
        .value_kind:     hidden_grid_dims
    .group_segment_fixed_size: 0
    .kernarg_segment_align: 8
    .kernarg_segment_size: 328
    .language:       OpenCL C
    .language_version:
      - 2
      - 0
    .max_flat_workgroup_size: 1024
    .name:           _ZN9rocsolver6v33100L21syevj_offd_rotate_orgILb1EddPdEEvbiiT2_iilPT0_PiS6_S6_
    .private_segment_fixed_size: 0
    .sgpr_count:     25
    .sgpr_spill_count: 0
    .symbol:         _ZN9rocsolver6v33100L21syevj_offd_rotate_orgILb1EddPdEEvbiiT2_iilPT0_PiS6_S6_.kd
    .uniform_work_group_size: 1
    .uses_dynamic_stack: false
    .vgpr_count:     16
    .vgpr_spill_count: 0
    .wavefront_size: 64
  - .args:
      - .offset:         0
        .size:           1
        .value_kind:     by_value
      - .offset:         4
        .size:           4
        .value_kind:     by_value
      - .offset:         8
        .size:           4
        .value_kind:     by_value
      - .address_space:  global
        .offset:         16
        .size:           8
        .value_kind:     global_buffer
      - .offset:         24
        .size:           4
        .value_kind:     by_value
      - .offset:         28
        .size:           4
        .value_kind:     by_value
      - .offset:         32
        .size:           8
        .value_kind:     by_value
      - .address_space:  global
        .offset:         40
        .size:           8
        .value_kind:     global_buffer
      - .address_space:  global
        .offset:         48
        .size:           8
        .value_kind:     global_buffer
      - .address_space:  global
        .offset:         56
        .size:           8
        .value_kind:     global_buffer
      - .address_space:  global
        .offset:         64
        .size:           8
        .value_kind:     global_buffer
      - .offset:         72
        .size:           4
        .value_kind:     by_value
      - .offset:         80
        .size:           4
        .value_kind:     hidden_block_count_x
      - .offset:         84
        .size:           4
        .value_kind:     hidden_block_count_y
      - .offset:         88
        .size:           4
        .value_kind:     hidden_block_count_z
      - .offset:         92
        .size:           2
        .value_kind:     hidden_group_size_x
      - .offset:         94
        .size:           2
        .value_kind:     hidden_group_size_y
      - .offset:         96
        .size:           2
        .value_kind:     hidden_group_size_z
      - .offset:         98
        .size:           2
        .value_kind:     hidden_remainder_x
      - .offset:         100
        .size:           2
        .value_kind:     hidden_remainder_y
      - .offset:         102
        .size:           2
        .value_kind:     hidden_remainder_z
      - .offset:         120
        .size:           8
        .value_kind:     hidden_global_offset_x
      - .offset:         128
        .size:           8
        .value_kind:     hidden_global_offset_y
      - .offset:         136
        .size:           8
        .value_kind:     hidden_global_offset_z
      - .offset:         144
        .size:           2
        .value_kind:     hidden_grid_dims
      - .offset:         200
        .size:           4
        .value_kind:     hidden_dynamic_lds_size
    .group_segment_fixed_size: 0
    .kernarg_segment_align: 8
    .kernarg_segment_size: 336
    .language:       OpenCL C
    .language_version:
      - 2
      - 0
    .max_flat_workgroup_size: 1024
    .name:           _ZN9rocsolver6v33100L17syevj_offd_rotateILb1EddPdEEvbiiT2_iilPT0_PiS6_S6_i
    .private_segment_fixed_size: 0
    .sgpr_count:     82
    .sgpr_spill_count: 0
    .symbol:         _ZN9rocsolver6v33100L17syevj_offd_rotateILb1EddPdEEvbiiT2_iilPT0_PiS6_S6_i.kd
    .uniform_work_group_size: 1
    .uses_dynamic_stack: false
    .vgpr_count:     23
    .vgpr_spill_count: 0
    .wavefront_size: 64
  - .args:
      - .offset:         0
        .size:           4
        .value_kind:     by_value
      - .address_space:  global
        .offset:         8
        .size:           8
        .value_kind:     global_buffer
      - .address_space:  global
        .offset:         16
        .size:           8
        .value_kind:     global_buffer
      - .offset:         24
        .size:           4
        .value_kind:     hidden_block_count_x
      - .offset:         28
        .size:           4
        .value_kind:     hidden_block_count_y
      - .offset:         32
        .size:           4
        .value_kind:     hidden_block_count_z
      - .offset:         36
        .size:           2
        .value_kind:     hidden_group_size_x
      - .offset:         38
        .size:           2
        .value_kind:     hidden_group_size_y
      - .offset:         40
        .size:           2
        .value_kind:     hidden_group_size_z
      - .offset:         42
        .size:           2
        .value_kind:     hidden_remainder_x
      - .offset:         44
        .size:           2
        .value_kind:     hidden_remainder_y
      - .offset:         46
        .size:           2
        .value_kind:     hidden_remainder_z
      - .offset:         64
        .size:           8
        .value_kind:     hidden_global_offset_x
      - .offset:         72
        .size:           8
        .value_kind:     hidden_global_offset_y
      - .offset:         80
        .size:           8
        .value_kind:     hidden_global_offset_z
      - .offset:         88
        .size:           2
        .value_kind:     hidden_grid_dims
    .group_segment_fixed_size: 0
    .kernarg_segment_align: 8
    .kernarg_segment_size: 280
    .language:       OpenCL C
    .language_version:
      - 2
      - 0
    .max_flat_workgroup_size: 1024
    .name:           _ZN9rocsolver6v33100L17syevj_cycle_pairsIdEEviPiS2_
    .private_segment_fixed_size: 0
    .sgpr_count:     20
    .sgpr_spill_count: 0
    .symbol:         _ZN9rocsolver6v33100L17syevj_cycle_pairsIdEEviPiS2_.kd
    .uniform_work_group_size: 1
    .uses_dynamic_stack: false
    .vgpr_count:     11
    .vgpr_spill_count: 0
    .wavefront_size: 64
  - .args:
      - .offset:         0
        .size:           4
        .value_kind:     by_value
      - .offset:         4
        .size:           4
        .value_kind:     by_value
      - .address_space:  global
        .offset:         8
        .size:           8
        .value_kind:     global_buffer
      - .address_space:  global
        .offset:         16
        .size:           8
        .value_kind:     global_buffer
      - .address_space:  global
        .offset:         24
        .size:           8
        .value_kind:     global_buffer
      - .address_space:  global
        .offset:         32
        .size:           8
        .value_kind:     global_buffer
      - .offset:         40
        .size:           4
        .value_kind:     hidden_block_count_x
      - .offset:         44
        .size:           4
        .value_kind:     hidden_block_count_y
      - .offset:         48
        .size:           4
        .value_kind:     hidden_block_count_z
      - .offset:         52
        .size:           2
        .value_kind:     hidden_group_size_x
      - .offset:         54
        .size:           2
        .value_kind:     hidden_group_size_y
      - .offset:         56
        .size:           2
        .value_kind:     hidden_group_size_z
      - .offset:         58
        .size:           2
        .value_kind:     hidden_remainder_x
      - .offset:         60
        .size:           2
        .value_kind:     hidden_remainder_y
      - .offset:         62
        .size:           2
        .value_kind:     hidden_remainder_z
      - .offset:         80
        .size:           8
        .value_kind:     hidden_global_offset_x
      - .offset:         88
        .size:           8
        .value_kind:     hidden_global_offset_y
      - .offset:         96
        .size:           8
        .value_kind:     hidden_global_offset_z
      - .offset:         104
        .size:           2
        .value_kind:     hidden_grid_dims
      - .offset:         160
        .size:           4
        .value_kind:     hidden_dynamic_lds_size
    .group_segment_fixed_size: 0
    .kernarg_segment_align: 8
    .kernarg_segment_size: 296
    .language:       OpenCL C
    .language_version:
      - 2
      - 0
    .max_flat_workgroup_size: 1024
    .name:           _ZN9rocsolver6v33100L15syevj_calc_normIddEEviiPT0_PT_S3_Pi
    .private_segment_fixed_size: 0
    .sgpr_count:     30
    .sgpr_spill_count: 0
    .symbol:         _ZN9rocsolver6v33100L15syevj_calc_normIddEEviiPT0_PT_S3_Pi.kd
    .uniform_work_group_size: 1
    .uses_dynamic_stack: false
    .vgpr_count:     12
    .vgpr_spill_count: 0
    .wavefront_size: 64
  - .args:
      - .offset:         0
        .size:           4
        .value_kind:     by_value
      - .offset:         4
        .size:           4
        .value_kind:     by_value
      - .offset:         8
        .size:           4
        .value_kind:     by_value
      - .address_space:  global
        .offset:         16
        .size:           8
        .value_kind:     global_buffer
      - .offset:         24
        .size:           4
        .value_kind:     by_value
      - .offset:         28
        .size:           4
        .value_kind:     by_value
      - .offset:         32
        .size:           8
        .value_kind:     by_value
      - .address_space:  global
        .offset:         40
        .size:           8
        .value_kind:     global_buffer
      - .offset:         48
        .size:           4
        .value_kind:     by_value
      - .address_space:  global
        .offset:         56
        .size:           8
        .value_kind:     global_buffer
      - .address_space:  global
        .offset:         64
        .size:           8
        .value_kind:     global_buffer
      - .offset:         72
        .size:           8
        .value_kind:     by_value
      - .address_space:  global
        .offset:         80
        .size:           8
        .value_kind:     global_buffer
      - .address_space:  global
        .offset:         88
        .size:           8
        .value_kind:     global_buffer
      - .address_space:  global
        .offset:         96
        .size:           8
        .value_kind:     global_buffer
      - .offset:         104
        .size:           4
        .value_kind:     hidden_block_count_x
      - .offset:         108
        .size:           4
        .value_kind:     hidden_block_count_y
      - .offset:         112
        .size:           4
        .value_kind:     hidden_block_count_z
      - .offset:         116
        .size:           2
        .value_kind:     hidden_group_size_x
      - .offset:         118
        .size:           2
        .value_kind:     hidden_group_size_y
      - .offset:         120
        .size:           2
        .value_kind:     hidden_group_size_z
      - .offset:         122
        .size:           2
        .value_kind:     hidden_remainder_x
      - .offset:         124
        .size:           2
        .value_kind:     hidden_remainder_y
      - .offset:         126
        .size:           2
        .value_kind:     hidden_remainder_z
      - .offset:         144
        .size:           8
        .value_kind:     hidden_global_offset_x
      - .offset:         152
        .size:           8
        .value_kind:     hidden_global_offset_y
      - .offset:         160
        .size:           8
        .value_kind:     hidden_global_offset_z
      - .offset:         168
        .size:           2
        .value_kind:     hidden_grid_dims
    .group_segment_fixed_size: 0
    .kernarg_segment_align: 8
    .kernarg_segment_size: 360
    .language:       OpenCL C
    .language_version:
      - 2
      - 0
    .max_flat_workgroup_size: 1024
    .name:           _ZN9rocsolver6v33100L14syevj_finalizeIddPdEEv14rocblas_esort_14rocblas_evect_iT1_iilPT0_iPiS7_lS8_PT_S8_
    .private_segment_fixed_size: 0
    .sgpr_count:     34
    .sgpr_spill_count: 0
    .symbol:         _ZN9rocsolver6v33100L14syevj_finalizeIddPdEEv14rocblas_esort_14rocblas_evect_iT1_iilPT0_iPiS7_lS8_PT_S8_.kd
    .uniform_work_group_size: 1
    .uses_dynamic_stack: false
    .vgpr_count:     12
    .vgpr_spill_count: 0
    .wavefront_size: 64
  - .args:
      - .offset:         0
        .size:           4
        .value_kind:     by_value
      - .offset:         4
        .size:           4
        .value_kind:     by_value
      - .address_space:  global
        .offset:         8
        .size:           8
        .value_kind:     global_buffer
      - .offset:         16
        .size:           8
        .value_kind:     by_value
      - .offset:         24
        .size:           4
        .value_kind:     by_value
      - .offset:         32
        .size:           8
        .value_kind:     by_value
      - .address_space:  global
        .offset:         40
        .size:           8
        .value_kind:     global_buffer
      - .offset:         48
        .size:           8
        .value_kind:     by_value
      - .address_space:  global
        .offset:         56
        .size:           8
        .value_kind:     global_buffer
      - .offset:         64
        .size:           8
        .value_kind:     by_value
    .group_segment_fixed_size: 0
    .kernarg_segment_align: 8
    .kernarg_segment_size: 72
    .language:       OpenCL C
    .language_version:
      - 2
      - 0
    .max_flat_workgroup_size: 256
    .name:           _ZN9rocsolver6v33100L18geqr2_kernel_smallILi256EdidPdEEvT1_S3_T3_lS3_lPT2_lPT0_l
    .private_segment_fixed_size: 0
    .sgpr_count:     52
    .sgpr_spill_count: 0
    .symbol:         _ZN9rocsolver6v33100L18geqr2_kernel_smallILi256EdidPdEEvT1_S3_T3_lS3_lPT2_lPT0_l.kd
    .uniform_work_group_size: 1
    .uses_dynamic_stack: false
    .vgpr_count:     30
    .vgpr_spill_count: 0
    .wavefront_size: 64
  - .args:
      - .address_space:  global
        .offset:         0
        .size:           8
        .value_kind:     global_buffer
      - .offset:         8
        .size:           8
        .value_kind:     by_value
      - .offset:         16
        .size:           4
        .value_kind:     by_value
      - .offset:         20
        .size:           4
        .value_kind:     by_value
      - .offset:         24
        .size:           4
        .value_kind:     hidden_block_count_x
      - .offset:         28
        .size:           4
        .value_kind:     hidden_block_count_y
      - .offset:         32
        .size:           4
        .value_kind:     hidden_block_count_z
      - .offset:         36
        .size:           2
        .value_kind:     hidden_group_size_x
      - .offset:         38
        .size:           2
        .value_kind:     hidden_group_size_y
      - .offset:         40
        .size:           2
        .value_kind:     hidden_group_size_z
      - .offset:         42
        .size:           2
        .value_kind:     hidden_remainder_x
      - .offset:         44
        .size:           2
        .value_kind:     hidden_remainder_y
      - .offset:         46
        .size:           2
        .value_kind:     hidden_remainder_z
      - .offset:         64
        .size:           8
        .value_kind:     hidden_global_offset_x
      - .offset:         72
        .size:           8
        .value_kind:     hidden_global_offset_y
      - .offset:         80
        .size:           8
        .value_kind:     hidden_global_offset_z
      - .offset:         88
        .size:           2
        .value_kind:     hidden_grid_dims
    .group_segment_fixed_size: 0
    .kernarg_segment_align: 8
    .kernarg_segment_size: 280
    .language:       OpenCL C
    .language_version:
      - 2
      - 0
    .max_flat_workgroup_size: 1024
    .name:           _ZN9rocsolver6v33100L16reset_batch_infoIdiiPdEEvT2_lT0_T1_
    .private_segment_fixed_size: 0
    .sgpr_count:     16
    .sgpr_spill_count: 0
    .symbol:         _ZN9rocsolver6v33100L16reset_batch_infoIdiiPdEEvT2_lT0_T1_.kd
    .uniform_work_group_size: 1
    .uses_dynamic_stack: false
    .vgpr_count:     5
    .vgpr_spill_count: 0
    .wavefront_size: 64
  - .args:
      - .address_space:  global
        .offset:         0
        .size:           8
        .value_kind:     global_buffer
      - .offset:         8
        .size:           8
        .value_kind:     by_value
      - .offset:         16
        .size:           8
        .value_kind:     by_value
      - .address_space:  global
        .offset:         24
        .size:           8
        .value_kind:     global_buffer
      - .offset:         32
        .size:           8
        .value_kind:     by_value
      - .offset:         40
        .size:           4
        .value_kind:     by_value
      - .offset:         48
        .size:           8
        .value_kind:     by_value
      - .offset:         56
        .size:           4
        .value_kind:     by_value
      - .offset:         60
        .size:           1
        .value_kind:     by_value
      - .offset:         64
        .size:           4
        .value_kind:     hidden_block_count_x
      - .offset:         68
        .size:           4
        .value_kind:     hidden_block_count_y
      - .offset:         72
        .size:           4
        .value_kind:     hidden_block_count_z
      - .offset:         76
        .size:           2
        .value_kind:     hidden_group_size_x
      - .offset:         78
        .size:           2
        .value_kind:     hidden_group_size_y
      - .offset:         80
        .size:           2
        .value_kind:     hidden_group_size_z
      - .offset:         82
        .size:           2
        .value_kind:     hidden_remainder_x
      - .offset:         84
        .size:           2
        .value_kind:     hidden_remainder_y
      - .offset:         86
        .size:           2
        .value_kind:     hidden_remainder_z
      - .offset:         104
        .size:           8
        .value_kind:     hidden_global_offset_x
      - .offset:         112
        .size:           8
        .value_kind:     hidden_global_offset_y
      - .offset:         120
        .size:           8
        .value_kind:     hidden_global_offset_z
      - .offset:         128
        .size:           2
        .value_kind:     hidden_grid_dims
    .group_segment_fixed_size: 0
    .kernarg_segment_align: 8
    .kernarg_segment_size: 320
    .language:       OpenCL C
    .language_version:
      - 2
      - 0
    .max_flat_workgroup_size: 1024
    .name:           _ZN9rocsolver6v33100L8set_diagIdidPdTnNSt9enable_ifIXoont18rocblas_is_complexIT_E18rocblas_is_complexIT1_EEiE4typeELi0EEEvPS5_llT2_lT0_lSA_b
    .private_segment_fixed_size: 0
    .sgpr_count:     22
    .sgpr_spill_count: 0
    .symbol:         _ZN9rocsolver6v33100L8set_diagIdidPdTnNSt9enable_ifIXoont18rocblas_is_complexIT_E18rocblas_is_complexIT1_EEiE4typeELi0EEEvPS5_llT2_lT0_lSA_b.kd
    .uniform_work_group_size: 1
    .uses_dynamic_stack: false
    .vgpr_count:     8
    .vgpr_spill_count: 0
    .wavefront_size: 64
  - .args:
      - .address_space:  global
        .offset:         0
        .size:           8
        .value_kind:     global_buffer
      - .offset:         8
        .size:           8
        .value_kind:     by_value
      - .address_space:  global
        .offset:         16
        .size:           8
        .value_kind:     global_buffer
      - .address_space:  global
        .offset:         24
        .size:           8
        .value_kind:     global_buffer
      - .offset:         32
        .size:           8
        .value_kind:     by_value
      - .offset:         40
        .size:           8
        .value_kind:     by_value
      - .address_space:  global
        .offset:         48
        .size:           8
        .value_kind:     global_buffer
      - .offset:         56
        .size:           8
        .value_kind:     by_value
      - .offset:         64
        .size:           8
        .value_kind:     by_value
    .group_segment_fixed_size: 0
    .kernarg_segment_align: 8
    .kernarg_segment_size: 72
    .language:       OpenCL C
    .language_version:
      - 2
      - 0
    .max_flat_workgroup_size: 1024
    .name:           _ZN9rocsolver6v33100L11set_taubetaIdidPdEEvPT_lS4_T2_llPT1_ll
    .private_segment_fixed_size: 0
    .sgpr_count:     30
    .sgpr_spill_count: 0
    .symbol:         _ZN9rocsolver6v33100L11set_taubetaIdidPdEEvPT_lS4_T2_llPT1_ll.kd
    .uniform_work_group_size: 1
    .uses_dynamic_stack: false
    .vgpr_count:     13
    .vgpr_spill_count: 0
    .wavefront_size: 64
  - .args:
      - .offset:         0
        .size:           4
        .value_kind:     by_value
      - .offset:         4
        .size:           4
        .value_kind:     by_value
      - .address_space:  global
        .offset:         8
        .size:           8
        .value_kind:     global_buffer
      - .offset:         16
        .size:           8
        .value_kind:     by_value
      - .offset:         24
        .size:           4
        .value_kind:     by_value
      - .offset:         32
        .size:           8
        .value_kind:     by_value
    .group_segment_fixed_size: 0
    .kernarg_segment_align: 8
    .kernarg_segment_size: 40
    .language:       OpenCL C
    .language_version:
      - 2
      - 0
    .max_flat_workgroup_size: 1024
    .name:           _ZN9rocsolver6v33100L13conj_in_placeIdiPdTnNSt9enable_ifIXnt18rocblas_is_complexIT_EEiE4typeELi0EEEvT0_S7_T1_lS7_l
    .private_segment_fixed_size: 0
    .sgpr_count:     4
    .sgpr_spill_count: 0
    .symbol:         _ZN9rocsolver6v33100L13conj_in_placeIdiPdTnNSt9enable_ifIXnt18rocblas_is_complexIT_EEiE4typeELi0EEEvT0_S7_T1_lS7_l.kd
    .uniform_work_group_size: 1
    .uses_dynamic_stack: false
    .vgpr_count:     0
    .vgpr_spill_count: 0
    .wavefront_size: 64
  - .args:
      - .offset:         0
        .size:           4
        .value_kind:     by_value
      - .offset:         4
        .size:           4
        .value_kind:     by_value
      - .address_space:  global
        .offset:         8
        .size:           8
        .value_kind:     global_buffer
      - .offset:         16
        .size:           8
        .value_kind:     by_value
      - .offset:         24
        .size:           4
        .value_kind:     by_value
      - .offset:         32
        .size:           8
        .value_kind:     by_value
      - .address_space:  global
        .offset:         40
        .size:           8
        .value_kind:     global_buffer
      - .offset:         48
        .size:           8
        .value_kind:     by_value
      - .address_space:  global
        .offset:         56
        .size:           8
        .value_kind:     global_buffer
      - .offset:         64
        .size:           8
        .value_kind:     by_value
      - .offset:         72
        .size:           4
        .value_kind:     by_value
      - .offset:         80
        .size:           8
        .value_kind:     by_value
    .group_segment_fixed_size: 0
    .kernarg_segment_align: 8
    .kernarg_segment_size: 88
    .language:       OpenCL C
    .language_version:
      - 2
      - 0
    .max_flat_workgroup_size: 1024
    .name:           _ZN9rocsolver6v33100L16larf_left_kernelILi1024EdiPdEEvT1_S3_T2_lS3_lPKT0_lS4_lS3_l
    .private_segment_fixed_size: 0
    .sgpr_count:     40
    .sgpr_spill_count: 0
    .symbol:         _ZN9rocsolver6v33100L16larf_left_kernelILi1024EdiPdEEvT1_S3_T2_lS3_lPKT0_lS4_lS3_l.kd
    .uniform_work_group_size: 1
    .uses_dynamic_stack: false
    .vgpr_count:     12
    .vgpr_spill_count: 0
    .wavefront_size: 64
  - .args:
      - .offset:         0
        .size:           4
        .value_kind:     by_value
      - .offset:         4
        .size:           4
        .value_kind:     by_value
      - .address_space:  global
        .offset:         8
        .size:           8
        .value_kind:     global_buffer
      - .offset:         16
        .size:           8
        .value_kind:     by_value
      - .offset:         24
        .size:           4
        .value_kind:     by_value
      - .offset:         32
        .size:           8
        .value_kind:     by_value
      - .address_space:  global
        .offset:         40
        .size:           8
        .value_kind:     global_buffer
      - .offset:         48
        .size:           8
        .value_kind:     by_value
      - .address_space:  global
        .offset:         56
        .size:           8
        .value_kind:     global_buffer
      - .offset:         64
        .size:           8
        .value_kind:     by_value
      - .offset:         72
        .size:           4
        .value_kind:     by_value
      - .offset:         80
        .size:           8
        .value_kind:     by_value
    .group_segment_fixed_size: 0
    .kernarg_segment_align: 8
    .kernarg_segment_size: 88
    .language:       OpenCL C
    .language_version:
      - 2
      - 0
    .max_flat_workgroup_size: 1024
    .name:           _ZN9rocsolver6v33100L17larf_right_kernelILi1024EdiPdEEvT1_S3_T2_lS3_lPKT0_lS4_lS3_l
    .private_segment_fixed_size: 0
    .sgpr_count:     40
    .sgpr_spill_count: 0
    .symbol:         _ZN9rocsolver6v33100L17larf_right_kernelILi1024EdiPdEEvT1_S3_T2_lS3_lPKT0_lS4_lS3_l.kd
    .uniform_work_group_size: 1
    .uses_dynamic_stack: false
    .vgpr_count:     15
    .vgpr_spill_count: 0
    .wavefront_size: 64
  - .args:
      - .address_space:  global
        .offset:         0
        .size:           8
        .value_kind:     global_buffer
      - .offset:         8
        .size:           8
        .value_kind:     by_value
      - .offset:         16
        .size:           8
        .value_kind:     by_value
      - .address_space:  global
        .offset:         24
        .size:           8
        .value_kind:     global_buffer
      - .offset:         32
        .size:           8
        .value_kind:     by_value
      - .offset:         40
        .size:           4
        .value_kind:     by_value
      - .offset:         48
        .size:           8
        .value_kind:     by_value
      - .offset:         56
        .size:           4
        .value_kind:     by_value
      - .offset:         64
        .size:           4
        .value_kind:     hidden_block_count_x
      - .offset:         68
        .size:           4
        .value_kind:     hidden_block_count_y
      - .offset:         72
        .size:           4
        .value_kind:     hidden_block_count_z
      - .offset:         76
        .size:           2
        .value_kind:     hidden_group_size_x
      - .offset:         78
        .size:           2
        .value_kind:     hidden_group_size_y
      - .offset:         80
        .size:           2
        .value_kind:     hidden_group_size_z
      - .offset:         82
        .size:           2
        .value_kind:     hidden_remainder_x
      - .offset:         84
        .size:           2
        .value_kind:     hidden_remainder_y
      - .offset:         86
        .size:           2
        .value_kind:     hidden_remainder_z
      - .offset:         104
        .size:           8
        .value_kind:     hidden_global_offset_x
      - .offset:         112
        .size:           8
        .value_kind:     hidden_global_offset_y
      - .offset:         120
        .size:           8
        .value_kind:     hidden_global_offset_z
      - .offset:         128
        .size:           2
        .value_kind:     hidden_grid_dims
    .group_segment_fixed_size: 0
    .kernarg_segment_align: 8
    .kernarg_segment_size: 320
    .language:       OpenCL C
    .language_version:
      - 2
      - 0
    .max_flat_workgroup_size: 1024
    .name:           _ZN9rocsolver6v33100L12restore_diagIdidPdEEvPT1_llT2_lT0_lS6_
    .private_segment_fixed_size: 0
    .sgpr_count:     21
    .sgpr_spill_count: 0
    .symbol:         _ZN9rocsolver6v33100L12restore_diagIdidPdEEvPT1_llT2_lT0_lS6_.kd
    .uniform_work_group_size: 1
    .uses_dynamic_stack: false
    .vgpr_count:     5
    .vgpr_spill_count: 0
    .wavefront_size: 64
  - .args:
      - .offset:         0
        .size:           4
        .value_kind:     by_value
      - .offset:         4
        .size:           4
        .value_kind:     by_value
      - .address_space:  global
        .offset:         8
        .size:           8
        .value_kind:     global_buffer
      - .offset:         16
        .size:           4
        .value_kind:     by_value
      - .offset:         20
        .size:           4
        .value_kind:     by_value
      - .offset:         24
        .size:           8
        .value_kind:     by_value
      - .address_space:  global
        .offset:         32
        .size:           8
        .value_kind:     global_buffer
      - .offset:         40
        .size:           8
        .value_kind:     by_value
      - .address_space:  global
        .offset:         48
        .size:           8
        .value_kind:     global_buffer
      - .offset:         56
        .size:           4
        .value_kind:     by_value
      - .offset:         64
        .size:           8
        .value_kind:     by_value
      - .offset:         72
        .size:           4
        .value_kind:     by_value
      - .offset:         76
        .size:           4
        .value_kind:     by_value
      - .offset:         80
        .size:           1
        .value_kind:     by_value
      - .offset:         88
        .size:           4
        .value_kind:     hidden_block_count_x
      - .offset:         92
        .size:           4
        .value_kind:     hidden_block_count_y
      - .offset:         96
        .size:           4
        .value_kind:     hidden_block_count_z
      - .offset:         100
        .size:           2
        .value_kind:     hidden_group_size_x
      - .offset:         102
        .size:           2
        .value_kind:     hidden_group_size_y
      - .offset:         104
        .size:           2
        .value_kind:     hidden_group_size_z
      - .offset:         106
        .size:           2
        .value_kind:     hidden_remainder_x
      - .offset:         108
        .size:           2
        .value_kind:     hidden_remainder_y
      - .offset:         110
        .size:           2
        .value_kind:     hidden_remainder_z
      - .offset:         128
        .size:           8
        .value_kind:     hidden_global_offset_x
      - .offset:         136
        .size:           8
        .value_kind:     hidden_global_offset_y
      - .offset:         144
        .size:           8
        .value_kind:     hidden_global_offset_z
      - .offset:         152
        .size:           2
        .value_kind:     hidden_grid_dims
    .group_segment_fixed_size: 0
    .kernarg_segment_align: 8
    .kernarg_segment_size: 344
    .language:       OpenCL C
    .language_version:
      - 2
      - 0
    .max_flat_workgroup_size: 1024
    .name:           _ZN9rocsolver6v33100L14set_triangularIdPdTnNSt9enable_ifIXnt18rocblas_is_complexIT_EEiE4typeELi0EEEviiT0_iilPS4_lS8_il15rocblas_direct_15rocblas_storev_b
    .private_segment_fixed_size: 0
    .sgpr_count:     27
    .sgpr_spill_count: 0
    .symbol:         _ZN9rocsolver6v33100L14set_triangularIdPdTnNSt9enable_ifIXnt18rocblas_is_complexIT_EEiE4typeELi0EEEviiT0_iilPS4_lS8_il15rocblas_direct_15rocblas_storev_b.kd
    .uniform_work_group_size: 1
    .uses_dynamic_stack: false
    .vgpr_count:     16
    .vgpr_spill_count: 0
    .wavefront_size: 64
  - .args:
      - .offset:         0
        .size:           4
        .value_kind:     by_value
      - .address_space:  global
        .offset:         8
        .size:           8
        .value_kind:     global_buffer
      - .offset:         16
        .size:           8
        .value_kind:     by_value
      - .offset:         24
        .size:           4
        .value_kind:     hidden_block_count_x
      - .offset:         28
        .size:           4
        .value_kind:     hidden_block_count_y
      - .offset:         32
        .size:           4
        .value_kind:     hidden_block_count_z
      - .offset:         36
        .size:           2
        .value_kind:     hidden_group_size_x
      - .offset:         38
        .size:           2
        .value_kind:     hidden_group_size_y
      - .offset:         40
        .size:           2
        .value_kind:     hidden_group_size_z
      - .offset:         42
        .size:           2
        .value_kind:     hidden_remainder_x
      - .offset:         44
        .size:           2
        .value_kind:     hidden_remainder_y
      - .offset:         46
        .size:           2
        .value_kind:     hidden_remainder_z
      - .offset:         64
        .size:           8
        .value_kind:     hidden_global_offset_x
      - .offset:         72
        .size:           8
        .value_kind:     hidden_global_offset_y
      - .offset:         80
        .size:           8
        .value_kind:     hidden_global_offset_z
      - .offset:         88
        .size:           2
        .value_kind:     hidden_grid_dims
    .group_segment_fixed_size: 0
    .kernarg_segment_align: 8
    .kernarg_segment_size: 280
    .language:       OpenCL C
    .language_version:
      - 2
      - 0
    .max_flat_workgroup_size: 1024
    .name:           _ZN9rocsolver6v33100L7set_tauIdEEviPT_l
    .private_segment_fixed_size: 0
    .sgpr_count:     12
    .sgpr_spill_count: 0
    .symbol:         _ZN9rocsolver6v33100L7set_tauIdEEviPT_l.kd
    .uniform_work_group_size: 1
    .uses_dynamic_stack: false
    .vgpr_count:     4
    .vgpr_spill_count: 0
    .wavefront_size: 64
  - .args:
      - .offset:         0
        .size:           4
        .value_kind:     by_value
      - .offset:         4
        .size:           4
        .value_kind:     by_value
      - .offset:         8
        .size:           4
        .value_kind:     by_value
      - .address_space:  global
        .offset:         16
        .size:           8
        .value_kind:     global_buffer
      - .offset:         24
        .size:           4
        .value_kind:     by_value
      - .offset:         28
        .size:           4
        .value_kind:     by_value
      - .offset:         32
        .size:           8
        .value_kind:     by_value
      - .address_space:  global
        .offset:         40
        .size:           8
        .value_kind:     global_buffer
      - .offset:         48
        .size:           8
        .value_kind:     by_value
      - .address_space:  global
        .offset:         56
        .size:           8
        .value_kind:     global_buffer
      - .offset:         64
        .size:           4
        .value_kind:     by_value
      - .offset:         72
        .size:           8
        .value_kind:     by_value
      - .offset:         80
        .size:           4
        .value_kind:     hidden_block_count_x
      - .offset:         84
        .size:           4
        .value_kind:     hidden_block_count_y
      - .offset:         88
        .size:           4
        .value_kind:     hidden_block_count_z
      - .offset:         92
        .size:           2
        .value_kind:     hidden_group_size_x
      - .offset:         94
        .size:           2
        .value_kind:     hidden_group_size_y
      - .offset:         96
        .size:           2
        .value_kind:     hidden_group_size_z
      - .offset:         98
        .size:           2
        .value_kind:     hidden_remainder_x
      - .offset:         100
        .size:           2
        .value_kind:     hidden_remainder_y
      - .offset:         102
        .size:           2
        .value_kind:     hidden_remainder_z
      - .offset:         120
        .size:           8
        .value_kind:     hidden_global_offset_x
      - .offset:         128
        .size:           8
        .value_kind:     hidden_global_offset_y
      - .offset:         136
        .size:           8
        .value_kind:     hidden_global_offset_z
      - .offset:         144
        .size:           2
        .value_kind:     hidden_grid_dims
      - .offset:         200
        .size:           4
        .value_kind:     hidden_dynamic_lds_size
    .group_segment_fixed_size: 0
    .kernarg_segment_align: 8
    .kernarg_segment_size: 336
    .language:       OpenCL C
    .language_version:
      - 2
      - 0
    .max_flat_workgroup_size: 1024
    .name:           _ZN9rocsolver6v33100L20larft_kernel_forwardIdPdEEv15rocblas_storev_iiT0_iilPT_lS6_il
    .private_segment_fixed_size: 0
    .sgpr_count:     54
    .sgpr_spill_count: 0
    .symbol:         _ZN9rocsolver6v33100L20larft_kernel_forwardIdPdEEv15rocblas_storev_iiT0_iilPT_lS6_il.kd
    .uniform_work_group_size: 1
    .uses_dynamic_stack: false
    .vgpr_count:     19
    .vgpr_spill_count: 0
    .wavefront_size: 64
  - .args:
      - .offset:         0
        .size:           4
        .value_kind:     by_value
      - .offset:         4
        .size:           4
        .value_kind:     by_value
      - .offset:         8
        .size:           4
        .value_kind:     by_value
      - .address_space:  global
        .offset:         16
        .size:           8
        .value_kind:     global_buffer
      - .offset:         24
        .size:           4
        .value_kind:     by_value
      - .offset:         28
        .size:           4
        .value_kind:     by_value
      - .offset:         32
        .size:           8
        .value_kind:     by_value
      - .address_space:  global
        .offset:         40
        .size:           8
        .value_kind:     global_buffer
      - .offset:         48
        .size:           8
        .value_kind:     by_value
      - .address_space:  global
        .offset:         56
        .size:           8
        .value_kind:     global_buffer
      - .offset:         64
        .size:           4
        .value_kind:     by_value
      - .offset:         72
        .size:           8
        .value_kind:     by_value
      - .offset:         80
        .size:           4
        .value_kind:     hidden_block_count_x
      - .offset:         84
        .size:           4
        .value_kind:     hidden_block_count_y
      - .offset:         88
        .size:           4
        .value_kind:     hidden_block_count_z
      - .offset:         92
        .size:           2
        .value_kind:     hidden_group_size_x
      - .offset:         94
        .size:           2
        .value_kind:     hidden_group_size_y
      - .offset:         96
        .size:           2
        .value_kind:     hidden_group_size_z
      - .offset:         98
        .size:           2
        .value_kind:     hidden_remainder_x
      - .offset:         100
        .size:           2
        .value_kind:     hidden_remainder_y
      - .offset:         102
        .size:           2
        .value_kind:     hidden_remainder_z
      - .offset:         120
        .size:           8
        .value_kind:     hidden_global_offset_x
      - .offset:         128
        .size:           8
        .value_kind:     hidden_global_offset_y
      - .offset:         136
        .size:           8
        .value_kind:     hidden_global_offset_z
      - .offset:         144
        .size:           2
        .value_kind:     hidden_grid_dims
      - .offset:         200
        .size:           4
        .value_kind:     hidden_dynamic_lds_size
    .group_segment_fixed_size: 0
    .kernarg_segment_align: 8
    .kernarg_segment_size: 336
    .language:       OpenCL C
    .language_version:
      - 2
      - 0
    .max_flat_workgroup_size: 1024
    .name:           _ZN9rocsolver6v33100L21larft_kernel_backwardIdPdEEv15rocblas_storev_iiT0_iilPT_lS6_il
    .private_segment_fixed_size: 0
    .sgpr_count:     54
    .sgpr_spill_count: 0
    .symbol:         _ZN9rocsolver6v33100L21larft_kernel_backwardIdPdEEv15rocblas_storev_iiT0_iilPT_lS6_il.kd
    .uniform_work_group_size: 1
    .uses_dynamic_stack: false
    .vgpr_count:     15
    .vgpr_spill_count: 0
    .wavefront_size: 64
  - .args:
      - .offset:         0
        .size:           4
        .value_kind:     by_value
      - .offset:         4
        .size:           4
        .value_kind:     by_value
      - .address_space:  global
        .offset:         8
        .size:           8
        .value_kind:     global_buffer
      - .offset:         16
        .size:           4
        .value_kind:     by_value
      - .offset:         20
        .size:           4
        .value_kind:     by_value
      - .offset:         24
        .size:           8
        .value_kind:     by_value
      - .address_space:  global
        .offset:         32
        .size:           8
        .value_kind:     global_buffer
      - .offset:         40
        .size:           4
        .value_kind:     hidden_block_count_x
      - .offset:         44
        .size:           4
        .value_kind:     hidden_block_count_y
      - .offset:         48
        .size:           4
        .value_kind:     hidden_block_count_z
      - .offset:         52
        .size:           2
        .value_kind:     hidden_group_size_x
      - .offset:         54
        .size:           2
        .value_kind:     hidden_group_size_y
      - .offset:         56
        .size:           2
        .value_kind:     hidden_group_size_z
      - .offset:         58
        .size:           2
        .value_kind:     hidden_remainder_x
      - .offset:         60
        .size:           2
        .value_kind:     hidden_remainder_y
      - .offset:         62
        .size:           2
        .value_kind:     hidden_remainder_z
      - .offset:         80
        .size:           8
        .value_kind:     hidden_global_offset_x
      - .offset:         88
        .size:           8
        .value_kind:     hidden_global_offset_y
      - .offset:         96
        .size:           8
        .value_kind:     hidden_global_offset_z
      - .offset:         104
        .size:           2
        .value_kind:     hidden_grid_dims
    .group_segment_fixed_size: 0
    .kernarg_segment_align: 8
    .kernarg_segment_size: 296
    .language:       OpenCL C
    .language_version:
      - 2
      - 0
    .max_flat_workgroup_size: 1024
    .name:           _ZN9rocsolver6v33100L9copymatA1IdPdEEviiT0_iilPT_
    .private_segment_fixed_size: 0
    .sgpr_count:     24
    .sgpr_spill_count: 0
    .symbol:         _ZN9rocsolver6v33100L9copymatA1IdPdEEviiT0_iilPT_.kd
    .uniform_work_group_size: 1
    .uses_dynamic_stack: false
    .vgpr_count:     7
    .vgpr_spill_count: 0
    .wavefront_size: 64
  - .args:
      - .offset:         0
        .size:           4
        .value_kind:     by_value
      - .offset:         4
        .size:           4
        .value_kind:     by_value
      - .address_space:  global
        .offset:         8
        .size:           8
        .value_kind:     global_buffer
      - .offset:         16
        .size:           4
        .value_kind:     by_value
      - .offset:         20
        .size:           4
        .value_kind:     by_value
      - .offset:         24
        .size:           8
        .value_kind:     by_value
      - .address_space:  global
        .offset:         32
        .size:           8
        .value_kind:     global_buffer
      - .offset:         40
        .size:           4
        .value_kind:     hidden_block_count_x
      - .offset:         44
        .size:           4
        .value_kind:     hidden_block_count_y
      - .offset:         48
        .size:           4
        .value_kind:     hidden_block_count_z
      - .offset:         52
        .size:           2
        .value_kind:     hidden_group_size_x
      - .offset:         54
        .size:           2
        .value_kind:     hidden_group_size_y
      - .offset:         56
        .size:           2
        .value_kind:     hidden_group_size_z
      - .offset:         58
        .size:           2
        .value_kind:     hidden_remainder_x
      - .offset:         60
        .size:           2
        .value_kind:     hidden_remainder_y
      - .offset:         62
        .size:           2
        .value_kind:     hidden_remainder_z
      - .offset:         80
        .size:           8
        .value_kind:     hidden_global_offset_x
      - .offset:         88
        .size:           8
        .value_kind:     hidden_global_offset_y
      - .offset:         96
        .size:           8
        .value_kind:     hidden_global_offset_z
      - .offset:         104
        .size:           2
        .value_kind:     hidden_grid_dims
    .group_segment_fixed_size: 0
    .kernarg_segment_align: 8
    .kernarg_segment_size: 296
    .language:       OpenCL C
    .language_version:
      - 2
      - 0
    .max_flat_workgroup_size: 1024
    .name:           _ZN9rocsolver6v33100L8addmatA1IdPdEEviiT0_iilPT_
    .private_segment_fixed_size: 0
    .sgpr_count:     24
    .sgpr_spill_count: 0
    .symbol:         _ZN9rocsolver6v33100L8addmatA1IdPdEEviiT0_iilPT_.kd
    .uniform_work_group_size: 1
    .uses_dynamic_stack: false
    .vgpr_count:     7
    .vgpr_spill_count: 0
    .wavefront_size: 64
  - .args:
      - .offset:         0
        .size:           4
        .value_kind:     by_value
      - .address_space:  global
        .offset:         8
        .size:           8
        .value_kind:     global_buffer
      - .offset:         16
        .size:           8
        .value_kind:     by_value
      - .address_space:  global
        .offset:         24
        .size:           8
        .value_kind:     global_buffer
      - .offset:         32
        .size:           4
        .value_kind:     by_value
      - .offset:         40
        .size:           8
        .value_kind:     by_value
      - .address_space:  global
        .offset:         48
        .size:           8
        .value_kind:     global_buffer
      - .offset:         56
        .size:           4
        .value_kind:     by_value
      - .offset:         64
        .size:           8
        .value_kind:     by_value
      - .offset:         72
        .size:           4
        .value_kind:     hidden_block_count_x
      - .offset:         76
        .size:           4
        .value_kind:     hidden_block_count_y
      - .offset:         80
        .size:           4
        .value_kind:     hidden_block_count_z
      - .offset:         84
        .size:           2
        .value_kind:     hidden_group_size_x
      - .offset:         86
        .size:           2
        .value_kind:     hidden_group_size_y
      - .offset:         88
        .size:           2
        .value_kind:     hidden_group_size_z
      - .offset:         90
        .size:           2
        .value_kind:     hidden_remainder_x
      - .offset:         92
        .size:           2
        .value_kind:     hidden_remainder_y
      - .offset:         94
        .size:           2
        .value_kind:     hidden_remainder_z
      - .offset:         112
        .size:           8
        .value_kind:     hidden_global_offset_x
      - .offset:         120
        .size:           8
        .value_kind:     hidden_global_offset_y
      - .offset:         128
        .size:           8
        .value_kind:     hidden_global_offset_z
      - .offset:         136
        .size:           2
        .value_kind:     hidden_grid_dims
    .group_segment_fixed_size: 0
    .kernarg_segment_align: 8
    .kernarg_segment_size: 328
    .language:       OpenCL C
    .language_version:
      - 2
      - 0
    .max_flat_workgroup_size: 1024
    .name:           _ZN9rocsolver6v33100L15gesvdj_finalizeIddEEviPT0_lPT_ilS5_il
    .private_segment_fixed_size: 0
    .sgpr_count:     26
    .sgpr_spill_count: 0
    .symbol:         _ZN9rocsolver6v33100L15gesvdj_finalizeIddEEviPT0_lPT_ilS5_il.kd
    .uniform_work_group_size: 1
    .uses_dynamic_stack: false
    .vgpr_count:     6
    .vgpr_spill_count: 0
    .wavefront_size: 64
  - .args:
      - .offset:         0
        .size:           4
        .value_kind:     by_value
      - .offset:         4
        .size:           4
        .value_kind:     by_value
      - .offset:         8
        .size:           4
        .value_kind:     by_value
      - .address_space:  global
        .offset:         16
        .size:           8
        .value_kind:     global_buffer
      - .offset:         24
        .size:           4
        .value_kind:     by_value
      - .offset:         28
        .size:           4
        .value_kind:     by_value
      - .offset:         32
        .size:           8
        .value_kind:     by_value
      - .offset:         40
        .size:           4
        .value_kind:     hidden_block_count_x
      - .offset:         44
        .size:           4
        .value_kind:     hidden_block_count_y
      - .offset:         48
        .size:           4
        .value_kind:     hidden_block_count_z
      - .offset:         52
        .size:           2
        .value_kind:     hidden_group_size_x
      - .offset:         54
        .size:           2
        .value_kind:     hidden_group_size_y
      - .offset:         56
        .size:           2
        .value_kind:     hidden_group_size_z
      - .offset:         58
        .size:           2
        .value_kind:     hidden_remainder_x
      - .offset:         60
        .size:           2
        .value_kind:     hidden_remainder_y
      - .offset:         62
        .size:           2
        .value_kind:     hidden_remainder_z
      - .offset:         80
        .size:           8
        .value_kind:     hidden_global_offset_x
      - .offset:         88
        .size:           8
        .value_kind:     hidden_global_offset_y
      - .offset:         96
        .size:           8
        .value_kind:     hidden_global_offset_z
      - .offset:         104
        .size:           2
        .value_kind:     hidden_grid_dims
    .group_segment_fixed_size: 0
    .kernarg_segment_align: 8
    .kernarg_segment_size: 296
    .language:       OpenCL C
    .language_version:
      - 2
      - 0
    .max_flat_workgroup_size: 1024
    .name:           _ZN9rocsolver6v33100L16org2r_init_identIdPdEEviiiT0_iil
    .private_segment_fixed_size: 0
    .sgpr_count:     20
    .sgpr_spill_count: 0
    .symbol:         _ZN9rocsolver6v33100L16org2r_init_identIdPdEEviiiT0_iil.kd
    .uniform_work_group_size: 1
    .uses_dynamic_stack: false
    .vgpr_count:     5
    .vgpr_spill_count: 0
    .wavefront_size: 64
  - .args:
      - .offset:         0
        .size:           4
        .value_kind:     by_value
      - .offset:         4
        .size:           4
        .value_kind:     by_value
      - .address_space:  global
        .offset:         8
        .size:           8
        .value_kind:     global_buffer
      - .offset:         16
        .size:           4
        .value_kind:     by_value
      - .offset:         20
        .size:           4
        .value_kind:     by_value
      - .offset:         24
        .size:           8
        .value_kind:     by_value
      - .address_space:  global
        .offset:         32
        .size:           8
        .value_kind:     global_buffer
      - .offset:         40
        .size:           8
        .value_kind:     by_value
    .group_segment_fixed_size: 0
    .kernarg_segment_align: 8
    .kernarg_segment_size: 48
    .language:       OpenCL C
    .language_version:
      - 2
      - 0
    .max_flat_workgroup_size: 1024
    .name:           _ZN9rocsolver6v33100L12subtract_tauIdPdEEviiT0_iilPT_l
    .private_segment_fixed_size: 0
    .sgpr_count:     20
    .sgpr_spill_count: 0
    .symbol:         _ZN9rocsolver6v33100L12subtract_tauIdPdEEviiT0_iilPT_l.kd
    .uniform_work_group_size: 1
    .uses_dynamic_stack: false
    .vgpr_count:     5
    .vgpr_spill_count: 0
    .wavefront_size: 64
  - .args:
      - .offset:         0
        .size:           4
        .value_kind:     by_value
      - .address_space:  global
        .offset:         8
        .size:           8
        .value_kind:     global_buffer
      - .offset:         16
        .size:           8
        .value_kind:     by_value
      - .offset:         24
        .size:           4
        .value_kind:     hidden_block_count_x
      - .offset:         28
        .size:           4
        .value_kind:     hidden_block_count_y
      - .offset:         32
        .size:           4
        .value_kind:     hidden_block_count_z
      - .offset:         36
        .size:           2
        .value_kind:     hidden_group_size_x
      - .offset:         38
        .size:           2
        .value_kind:     hidden_group_size_y
      - .offset:         40
        .size:           2
        .value_kind:     hidden_group_size_z
      - .offset:         42
        .size:           2
        .value_kind:     hidden_remainder_x
      - .offset:         44
        .size:           2
        .value_kind:     hidden_remainder_y
      - .offset:         46
        .size:           2
        .value_kind:     hidden_remainder_z
      - .offset:         64
        .size:           8
        .value_kind:     hidden_global_offset_x
      - .offset:         72
        .size:           8
        .value_kind:     hidden_global_offset_y
      - .offset:         80
        .size:           8
        .value_kind:     hidden_global_offset_z
      - .offset:         88
        .size:           2
        .value_kind:     hidden_grid_dims
    .group_segment_fixed_size: 0
    .kernarg_segment_align: 8
    .kernarg_segment_size: 280
    .language:       OpenCL C
    .language_version:
      - 2
      - 0
    .max_flat_workgroup_size: 1024
    .name:           _ZN9rocsolver6v33100L6restauIdEEviPT_l
    .private_segment_fixed_size: 0
    .sgpr_count:     12
    .sgpr_spill_count: 0
    .symbol:         _ZN9rocsolver6v33100L6restauIdEEviPT_l.kd
    .uniform_work_group_size: 1
    .uses_dynamic_stack: false
    .vgpr_count:     4
    .vgpr_spill_count: 0
    .wavefront_size: 64
  - .args:
      - .offset:         0
        .size:           4
        .value_kind:     by_value
      - .offset:         4
        .size:           4
        .value_kind:     by_value
      - .address_space:  global
        .offset:         8
        .size:           8
        .value_kind:     global_buffer
      - .offset:         16
        .size:           4
        .value_kind:     by_value
      - .offset:         20
        .size:           4
        .value_kind:     by_value
      - .offset:         24
        .size:           8
        .value_kind:     by_value
      - .offset:         32
        .size:           4
        .value_kind:     by_value
      - .offset:         40
        .size:           4
        .value_kind:     hidden_block_count_x
      - .offset:         44
        .size:           4
        .value_kind:     hidden_block_count_y
      - .offset:         48
        .size:           4
        .value_kind:     hidden_block_count_z
      - .offset:         52
        .size:           2
        .value_kind:     hidden_group_size_x
      - .offset:         54
        .size:           2
        .value_kind:     hidden_group_size_y
      - .offset:         56
        .size:           2
        .value_kind:     hidden_group_size_z
      - .offset:         58
        .size:           2
        .value_kind:     hidden_remainder_x
      - .offset:         60
        .size:           2
        .value_kind:     hidden_remainder_y
      - .offset:         62
        .size:           2
        .value_kind:     hidden_remainder_z
      - .offset:         80
        .size:           8
        .value_kind:     hidden_global_offset_x
      - .offset:         88
        .size:           8
        .value_kind:     hidden_global_offset_y
      - .offset:         96
        .size:           8
        .value_kind:     hidden_global_offset_z
      - .offset:         104
        .size:           2
        .value_kind:     hidden_grid_dims
    .group_segment_fixed_size: 0
    .kernarg_segment_align: 8
    .kernarg_segment_size: 296
    .language:       OpenCL C
    .language_version:
      - 2
      - 0
    .max_flat_workgroup_size: 1024
    .name:           _ZN9rocsolver6v33100L8set_zeroIdPdEEviiT0_iil13rocblas_fill_
    .private_segment_fixed_size: 0
    .sgpr_count:     13
    .sgpr_spill_count: 0
    .symbol:         _ZN9rocsolver6v33100L8set_zeroIdPdEEviiT0_iil13rocblas_fill_.kd
    .uniform_work_group_size: 1
    .uses_dynamic_stack: false
    .vgpr_count:     4
    .vgpr_spill_count: 0
    .wavefront_size: 64
  - .args:
      - .offset:         0
        .size:           4
        .value_kind:     by_value
      - .offset:         4
        .size:           4
        .value_kind:     by_value
      - .offset:         8
        .size:           4
        .value_kind:     by_value
      - .address_space:  global
        .offset:         16
        .size:           8
        .value_kind:     global_buffer
      - .offset:         24
        .size:           4
        .value_kind:     by_value
      - .offset:         28
        .size:           4
        .value_kind:     by_value
      - .offset:         32
        .size:           8
        .value_kind:     by_value
      - .address_space:  global
        .offset:         40
        .size:           8
        .value_kind:     global_buffer
      - .offset:         48
        .size:           4
        .value_kind:     by_value
      - .offset:         52
        .size:           4
        .value_kind:     by_value
      - .offset:         56
        .size:           8
        .value_kind:     by_value
      - .offset:         64
        .size:           1
        .value_kind:     by_value
      - .offset:         68
        .size:           4
        .value_kind:     by_value
      - .offset:         72
        .size:           4
        .value_kind:     by_value
      - .offset:         80
        .size:           4
        .value_kind:     hidden_block_count_x
      - .offset:         84
        .size:           4
        .value_kind:     hidden_block_count_y
      - .offset:         88
        .size:           4
        .value_kind:     hidden_block_count_z
      - .offset:         92
        .size:           2
        .value_kind:     hidden_group_size_x
      - .offset:         94
        .size:           2
        .value_kind:     hidden_group_size_y
      - .offset:         96
        .size:           2
        .value_kind:     hidden_group_size_z
      - .offset:         98
        .size:           2
        .value_kind:     hidden_remainder_x
      - .offset:         100
        .size:           2
        .value_kind:     hidden_remainder_y
      - .offset:         102
        .size:           2
        .value_kind:     hidden_remainder_z
      - .offset:         120
        .size:           8
        .value_kind:     hidden_global_offset_x
      - .offset:         128
        .size:           8
        .value_kind:     hidden_global_offset_y
      - .offset:         136
        .size:           8
        .value_kind:     hidden_global_offset_z
      - .offset:         144
        .size:           2
        .value_kind:     hidden_grid_dims
    .group_segment_fixed_size: 0
    .kernarg_segment_align: 8
    .kernarg_segment_size: 336
    .language:       OpenCL C
    .language_version:
      - 2
      - 0
    .max_flat_workgroup_size: 1024
    .name:           _ZN9rocsolver6v33100L14copy_trans_matIddPdS2_NS0_7no_maskEEEv18rocblas_operation_iiT1_iilT2_iilT3_13rocblas_fill_17rocblas_diagonal_
    .private_segment_fixed_size: 0
    .sgpr_count:     28
    .sgpr_spill_count: 0
    .symbol:         _ZN9rocsolver6v33100L14copy_trans_matIddPdS2_NS0_7no_maskEEEv18rocblas_operation_iiT1_iilT2_iilT3_13rocblas_fill_17rocblas_diagonal_.kd
    .uniform_work_group_size: 1
    .uses_dynamic_stack: false
    .vgpr_count:     6
    .vgpr_spill_count: 0
    .wavefront_size: 64
  - .args:
      - .offset:         0
        .size:           4
        .value_kind:     by_value
      - .offset:         4
        .size:           4
        .value_kind:     by_value
      - .offset:         8
        .size:           4
        .value_kind:     by_value
      - .address_space:  global
        .offset:         16
        .size:           8
        .value_kind:     global_buffer
      - .offset:         24
        .size:           4
        .value_kind:     by_value
      - .offset:         28
        .size:           4
        .value_kind:     by_value
      - .offset:         32
        .size:           8
        .value_kind:     by_value
      - .offset:         40
        .size:           4
        .value_kind:     hidden_block_count_x
      - .offset:         44
        .size:           4
        .value_kind:     hidden_block_count_y
      - .offset:         48
        .size:           4
        .value_kind:     hidden_block_count_z
      - .offset:         52
        .size:           2
        .value_kind:     hidden_group_size_x
      - .offset:         54
        .size:           2
        .value_kind:     hidden_group_size_y
      - .offset:         56
        .size:           2
        .value_kind:     hidden_group_size_z
      - .offset:         58
        .size:           2
        .value_kind:     hidden_remainder_x
      - .offset:         60
        .size:           2
        .value_kind:     hidden_remainder_y
      - .offset:         62
        .size:           2
        .value_kind:     hidden_remainder_z
      - .offset:         80
        .size:           8
        .value_kind:     hidden_global_offset_x
      - .offset:         88
        .size:           8
        .value_kind:     hidden_global_offset_y
      - .offset:         96
        .size:           8
        .value_kind:     hidden_global_offset_z
      - .offset:         104
        .size:           2
        .value_kind:     hidden_grid_dims
    .group_segment_fixed_size: 0
    .kernarg_segment_align: 8
    .kernarg_segment_size: 296
    .language:       OpenCL C
    .language_version:
      - 2
      - 0
    .max_flat_workgroup_size: 1024
    .name:           _ZN9rocsolver6v33100L16orgl2_init_identIdPdEEviiiT0_iil
    .private_segment_fixed_size: 0
    .sgpr_count:     20
    .sgpr_spill_count: 0
    .symbol:         _ZN9rocsolver6v33100L16orgl2_init_identIdPdEEviiiT0_iil.kd
    .uniform_work_group_size: 1
    .uses_dynamic_stack: false
    .vgpr_count:     5
    .vgpr_spill_count: 0
    .wavefront_size: 64
  - .args:
      - .address_space:  global
        .offset:         0
        .size:           8
        .value_kind:     global_buffer
      - .offset:         8
        .size:           4
        .value_kind:     by_value
      - .offset:         12
        .size:           8
        .value_kind:     by_value
    .group_segment_fixed_size: 0
    .kernarg_segment_align: 8
    .kernarg_segment_size: 20
    .language:       OpenCL C
    .language_version:
      - 2
      - 0
    .max_flat_workgroup_size: 32
    .name:           _ZN9rocsolver6v33100L6iota_nI19rocblas_complex_numIfEEEvPT_jS4_
    .private_segment_fixed_size: 0
    .sgpr_count:     10
    .sgpr_spill_count: 0
    .symbol:         _ZN9rocsolver6v33100L6iota_nI19rocblas_complex_numIfEEEvPT_jS4_.kd
    .uniform_work_group_size: 1
    .uses_dynamic_stack: false
    .vgpr_count:     3
    .vgpr_spill_count: 0
    .wavefront_size: 64
  - .args:
      - .offset:         0
        .size:           4
        .value_kind:     by_value
      - .address_space:  global
        .offset:         8
        .size:           8
        .value_kind:     global_buffer
      - .offset:         16
        .size:           8
        .value_kind:     by_value
      - .address_space:  global
        .offset:         24
        .size:           8
        .value_kind:     global_buffer
      - .offset:         32
        .size:           8
        .value_kind:     by_value
      - .offset:         40
        .size:           4
        .value_kind:     by_value
      - .offset:         48
        .size:           4
        .value_kind:     hidden_block_count_x
      - .offset:         52
        .size:           4
        .value_kind:     hidden_block_count_y
      - .offset:         56
        .size:           4
        .value_kind:     hidden_block_count_z
      - .offset:         60
        .size:           2
        .value_kind:     hidden_group_size_x
      - .offset:         62
        .size:           2
        .value_kind:     hidden_group_size_y
      - .offset:         64
        .size:           2
        .value_kind:     hidden_group_size_z
      - .offset:         66
        .size:           2
        .value_kind:     hidden_remainder_x
      - .offset:         68
        .size:           2
        .value_kind:     hidden_remainder_y
      - .offset:         70
        .size:           2
        .value_kind:     hidden_remainder_z
      - .offset:         88
        .size:           8
        .value_kind:     hidden_global_offset_x
      - .offset:         96
        .size:           8
        .value_kind:     hidden_global_offset_y
      - .offset:         104
        .size:           8
        .value_kind:     hidden_global_offset_z
      - .offset:         112
        .size:           2
        .value_kind:     hidden_grid_dims
    .group_segment_fixed_size: 0
    .kernarg_segment_align: 8
    .kernarg_segment_size: 304
    .language:       OpenCL C
    .language_version:
      - 2
      - 0
    .max_flat_workgroup_size: 1024
    .name:           _ZN9rocsolver6v33100L16syev_scalar_caseI19rocblas_complex_numIfEfPS3_TnNSt9enable_ifIX18rocblas_is_complexIT_EEiE4typeELi0EEEv14rocblas_evect_T1_lPT0_li
    .private_segment_fixed_size: 0
    .sgpr_count:     20
    .sgpr_spill_count: 0
    .symbol:         _ZN9rocsolver6v33100L16syev_scalar_caseI19rocblas_complex_numIfEfPS3_TnNSt9enable_ifIX18rocblas_is_complexIT_EEiE4typeELi0EEEv14rocblas_evect_T1_lPT0_li.kd
    .uniform_work_group_size: 1
    .uses_dynamic_stack: false
    .vgpr_count:     7
    .vgpr_spill_count: 0
    .wavefront_size: 64
  - .args:
      - .offset:         0
        .size:           4
        .value_kind:     by_value
      - .offset:         4
        .size:           4
        .value_kind:     by_value
      - .offset:         8
        .size:           4
        .value_kind:     by_value
      - .offset:         12
        .size:           4
        .value_kind:     by_value
      - .address_space:  global
        .offset:         16
        .size:           8
        .value_kind:     global_buffer
      - .offset:         24
        .size:           4
        .value_kind:     by_value
      - .offset:         28
        .size:           4
        .value_kind:     by_value
      - .offset:         32
        .size:           8
        .value_kind:     by_value
      - .offset:         40
        .size:           4
        .value_kind:     by_value
      - .offset:         44
        .size:           4
        .value_kind:     by_value
      - .address_space:  global
        .offset:         48
        .size:           8
        .value_kind:     global_buffer
      - .offset:         56
        .size:           4
        .value_kind:     by_value
      - .address_space:  global
        .offset:         64
        .size:           8
        .value_kind:     global_buffer
      - .address_space:  global
        .offset:         72
        .size:           8
        .value_kind:     global_buffer
      - .offset:         80
        .size:           8
        .value_kind:     by_value
      - .address_space:  global
        .offset:         88
        .size:           8
        .value_kind:     global_buffer
      - .address_space:  global
        .offset:         96
        .size:           8
        .value_kind:     global_buffer
    .group_segment_fixed_size: 0
    .kernarg_segment_align: 8
    .kernarg_segment_size: 104
    .language:       OpenCL C
    .language_version:
      - 2
      - 0
    .max_flat_workgroup_size: 1024
    .name:           _ZN9rocsolver6v33100L18syevj_small_kernelI19rocblas_complex_numIfEfPS3_EEv14rocblas_esort_14rocblas_evect_13rocblas_fill_iT1_iilT0_S9_PS9_iPiSA_lSB_PT_
    .private_segment_fixed_size: 0
    .sgpr_count:     90
    .sgpr_spill_count: 0
    .symbol:         _ZN9rocsolver6v33100L18syevj_small_kernelI19rocblas_complex_numIfEfPS3_EEv14rocblas_esort_14rocblas_evect_13rocblas_fill_iT1_iilT0_S9_PS9_iPiSA_lSB_PT_.kd
    .uniform_work_group_size: 1
    .uses_dynamic_stack: false
    .vgpr_count:     40
    .vgpr_spill_count: 0
    .wavefront_size: 64
  - .args:
      - .offset:         0
        .size:           4
        .value_kind:     by_value
      - .offset:         4
        .size:           4
        .value_kind:     by_value
      - .offset:         8
        .size:           4
        .value_kind:     by_value
      - .offset:         12
        .size:           4
        .value_kind:     by_value
      - .address_space:  global
        .offset:         16
        .size:           8
        .value_kind:     global_buffer
      - .offset:         24
        .size:           4
        .value_kind:     by_value
      - .offset:         28
        .size:           4
        .value_kind:     by_value
      - .offset:         32
        .size:           8
        .value_kind:     by_value
      - .offset:         40
        .size:           4
        .value_kind:     by_value
      - .address_space:  global
        .offset:         48
        .size:           8
        .value_kind:     global_buffer
      - .address_space:  global
        .offset:         56
        .size:           8
        .value_kind:     global_buffer
      - .address_space:  global
        .offset:         64
        .size:           8
        .value_kind:     global_buffer
      - .address_space:  global
        .offset:         72
        .size:           8
        .value_kind:     global_buffer
      - .address_space:  global
        .offset:         80
        .size:           8
        .value_kind:     global_buffer
      - .address_space:  global
        .offset:         88
        .size:           8
        .value_kind:     global_buffer
      - .offset:         96
        .size:           4
        .value_kind:     hidden_block_count_x
      - .offset:         100
        .size:           4
        .value_kind:     hidden_block_count_y
      - .offset:         104
        .size:           4
        .value_kind:     hidden_block_count_z
      - .offset:         108
        .size:           2
        .value_kind:     hidden_group_size_x
      - .offset:         110
        .size:           2
        .value_kind:     hidden_group_size_y
      - .offset:         112
        .size:           2
        .value_kind:     hidden_group_size_z
      - .offset:         114
        .size:           2
        .value_kind:     hidden_remainder_x
      - .offset:         116
        .size:           2
        .value_kind:     hidden_remainder_y
      - .offset:         118
        .size:           2
        .value_kind:     hidden_remainder_z
      - .offset:         136
        .size:           8
        .value_kind:     hidden_global_offset_x
      - .offset:         144
        .size:           8
        .value_kind:     hidden_global_offset_y
      - .offset:         152
        .size:           8
        .value_kind:     hidden_global_offset_z
      - .offset:         160
        .size:           2
        .value_kind:     hidden_grid_dims
      - .offset:         216
        .size:           4
        .value_kind:     hidden_dynamic_lds_size
    .group_segment_fixed_size: 0
    .kernarg_segment_align: 8
    .kernarg_segment_size: 352
    .language:       OpenCL C
    .language_version:
      - 2
      - 0
    .max_flat_workgroup_size: 1024
    .name:           _ZN9rocsolver6v33100L10syevj_initI19rocblas_complex_numIfEfPS3_EEv14rocblas_evect_13rocblas_fill_iiT1_iilT0_PS8_PT_S9_PiSC_SC_
    .private_segment_fixed_size: 0
    .sgpr_count:     57
    .sgpr_spill_count: 0
    .symbol:         _ZN9rocsolver6v33100L10syevj_initI19rocblas_complex_numIfEfPS3_EEv14rocblas_evect_13rocblas_fill_iiT1_iilT0_PS8_PT_S9_PiSC_SC_.kd
    .uniform_work_group_size: 1
    .uses_dynamic_stack: false
    .vgpr_count:     29
    .vgpr_spill_count: 0
    .wavefront_size: 64
  - .args:
      - .offset:         0
        .size:           4
        .value_kind:     by_value
      - .address_space:  global
        .offset:         8
        .size:           8
        .value_kind:     global_buffer
      - .offset:         16
        .size:           4
        .value_kind:     by_value
      - .offset:         20
        .size:           4
        .value_kind:     by_value
      - .offset:         24
        .size:           8
        .value_kind:     by_value
      - .offset:         32
        .size:           4
        .value_kind:     by_value
      - .address_space:  global
        .offset:         40
        .size:           8
        .value_kind:     global_buffer
      - .address_space:  global
        .offset:         48
        .size:           8
        .value_kind:     global_buffer
      - .offset:         56
        .size:           4
        .value_kind:     hidden_block_count_x
      - .offset:         60
        .size:           4
        .value_kind:     hidden_block_count_y
      - .offset:         64
        .size:           4
        .value_kind:     hidden_block_count_z
      - .offset:         68
        .size:           2
        .value_kind:     hidden_group_size_x
      - .offset:         70
        .size:           2
        .value_kind:     hidden_group_size_y
      - .offset:         72
        .size:           2
        .value_kind:     hidden_group_size_z
      - .offset:         74
        .size:           2
        .value_kind:     hidden_remainder_x
      - .offset:         76
        .size:           2
        .value_kind:     hidden_remainder_y
      - .offset:         78
        .size:           2
        .value_kind:     hidden_remainder_z
      - .offset:         96
        .size:           8
        .value_kind:     hidden_global_offset_x
      - .offset:         104
        .size:           8
        .value_kind:     hidden_global_offset_y
      - .offset:         112
        .size:           8
        .value_kind:     hidden_global_offset_z
      - .offset:         120
        .size:           2
        .value_kind:     hidden_grid_dims
      - .offset:         176
        .size:           4
        .value_kind:     hidden_dynamic_lds_size
    .group_segment_fixed_size: 0
    .kernarg_segment_align: 8
    .kernarg_segment_size: 312
    .language:       OpenCL C
    .language_version:
      - 2
      - 0
    .max_flat_workgroup_size: 1024
    .name:           _ZN9rocsolver6v33100L17syevj_diag_kernelI19rocblas_complex_numIfEfPS3_EEviT1_iilT0_PT_Pi
    .private_segment_fixed_size: 0
    .sgpr_count:     43
    .sgpr_spill_count: 0
    .symbol:         _ZN9rocsolver6v33100L17syevj_diag_kernelI19rocblas_complex_numIfEfPS3_EEviT1_iilT0_PT_Pi.kd
    .uniform_work_group_size: 1
    .uses_dynamic_stack: false
    .vgpr_count:     36
    .vgpr_spill_count: 0
    .wavefront_size: 64
  - .args:
      - .offset:         0
        .size:           1
        .value_kind:     by_value
      - .offset:         4
        .size:           4
        .value_kind:     by_value
      - .address_space:  global
        .offset:         8
        .size:           8
        .value_kind:     global_buffer
      - .offset:         16
        .size:           4
        .value_kind:     by_value
      - .offset:         20
        .size:           4
        .value_kind:     by_value
      - .offset:         24
        .size:           8
        .value_kind:     by_value
      - .address_space:  global
        .offset:         32
        .size:           8
        .value_kind:     global_buffer
      - .address_space:  global
        .offset:         40
        .size:           8
        .value_kind:     global_buffer
      - .offset:         48
        .size:           4
        .value_kind:     hidden_block_count_x
      - .offset:         52
        .size:           4
        .value_kind:     hidden_block_count_y
      - .offset:         56
        .size:           4
        .value_kind:     hidden_block_count_z
      - .offset:         60
        .size:           2
        .value_kind:     hidden_group_size_x
      - .offset:         62
        .size:           2
        .value_kind:     hidden_group_size_y
      - .offset:         64
        .size:           2
        .value_kind:     hidden_group_size_z
      - .offset:         66
        .size:           2
        .value_kind:     hidden_remainder_x
      - .offset:         68
        .size:           2
        .value_kind:     hidden_remainder_y
      - .offset:         70
        .size:           2
        .value_kind:     hidden_remainder_z
      - .offset:         88
        .size:           8
        .value_kind:     hidden_global_offset_x
      - .offset:         96
        .size:           8
        .value_kind:     hidden_global_offset_y
      - .offset:         104
        .size:           8
        .value_kind:     hidden_global_offset_z
      - .offset:         112
        .size:           2
        .value_kind:     hidden_grid_dims
    .group_segment_fixed_size: 0
    .kernarg_segment_align: 8
    .kernarg_segment_size: 304
    .language:       OpenCL C
    .language_version:
      - 2
      - 0
    .max_flat_workgroup_size: 1024
    .name:           _ZN9rocsolver6v33100L21syevj_diag_rotate_orgILb0E19rocblas_complex_numIfEfPS3_EEvbiT2_iilPT0_Pi
    .private_segment_fixed_size: 0
    .sgpr_count:     24
    .sgpr_spill_count: 0
    .symbol:         _ZN9rocsolver6v33100L21syevj_diag_rotate_orgILb0E19rocblas_complex_numIfEfPS3_EEvbiT2_iilPT0_Pi.kd
    .uniform_work_group_size: 1
    .uses_dynamic_stack: false
    .vgpr_count:     13
    .vgpr_spill_count: 0
    .wavefront_size: 64
  - .args:
      - .offset:         0
        .size:           1
        .value_kind:     by_value
      - .offset:         4
        .size:           4
        .value_kind:     by_value
      - .address_space:  global
        .offset:         8
        .size:           8
        .value_kind:     global_buffer
      - .offset:         16
        .size:           4
        .value_kind:     by_value
      - .offset:         20
        .size:           4
        .value_kind:     by_value
      - .offset:         24
        .size:           8
        .value_kind:     by_value
      - .address_space:  global
        .offset:         32
        .size:           8
        .value_kind:     global_buffer
      - .address_space:  global
        .offset:         40
        .size:           8
        .value_kind:     global_buffer
      - .offset:         48
        .size:           4
        .value_kind:     hidden_block_count_x
      - .offset:         52
        .size:           4
        .value_kind:     hidden_block_count_y
      - .offset:         56
        .size:           4
        .value_kind:     hidden_block_count_z
      - .offset:         60
        .size:           2
        .value_kind:     hidden_group_size_x
      - .offset:         62
        .size:           2
        .value_kind:     hidden_group_size_y
      - .offset:         64
        .size:           2
        .value_kind:     hidden_group_size_z
      - .offset:         66
        .size:           2
        .value_kind:     hidden_remainder_x
      - .offset:         68
        .size:           2
        .value_kind:     hidden_remainder_y
      - .offset:         70
        .size:           2
        .value_kind:     hidden_remainder_z
      - .offset:         88
        .size:           8
        .value_kind:     hidden_global_offset_x
      - .offset:         96
        .size:           8
        .value_kind:     hidden_global_offset_y
      - .offset:         104
        .size:           8
        .value_kind:     hidden_global_offset_z
      - .offset:         112
        .size:           2
        .value_kind:     hidden_grid_dims
    .group_segment_fixed_size: 0
    .kernarg_segment_align: 8
    .kernarg_segment_size: 304
    .language:       OpenCL C
    .language_version:
      - 2
      - 0
    .max_flat_workgroup_size: 1024
    .name:           _ZN9rocsolver6v33100L21syevj_diag_rotate_orgILb1E19rocblas_complex_numIfEfPS3_EEvbiT2_iilPT0_Pi
    .private_segment_fixed_size: 0
    .sgpr_count:     24
    .sgpr_spill_count: 0
    .symbol:         _ZN9rocsolver6v33100L21syevj_diag_rotate_orgILb1E19rocblas_complex_numIfEfPS3_EEvbiT2_iilPT0_Pi.kd
    .uniform_work_group_size: 1
    .uses_dynamic_stack: false
    .vgpr_count:     13
    .vgpr_spill_count: 0
    .wavefront_size: 64
  - .args:
      - .offset:         0
        .size:           1
        .value_kind:     by_value
      - .offset:         4
        .size:           4
        .value_kind:     by_value
      - .offset:         8
        .size:           4
        .value_kind:     by_value
      - .address_space:  global
        .offset:         16
        .size:           8
        .value_kind:     global_buffer
      - .offset:         24
        .size:           4
        .value_kind:     by_value
      - .offset:         28
        .size:           4
        .value_kind:     by_value
      - .offset:         32
        .size:           8
        .value_kind:     by_value
      - .address_space:  global
        .offset:         40
        .size:           8
        .value_kind:     global_buffer
      - .address_space:  global
        .offset:         48
        .size:           8
        .value_kind:     global_buffer
      - .offset:         56
        .size:           4
        .value_kind:     by_value
      - .offset:         64
        .size:           4
        .value_kind:     hidden_block_count_x
      - .offset:         68
        .size:           4
        .value_kind:     hidden_block_count_y
      - .offset:         72
        .size:           4
        .value_kind:     hidden_block_count_z
      - .offset:         76
        .size:           2
        .value_kind:     hidden_group_size_x
      - .offset:         78
        .size:           2
        .value_kind:     hidden_group_size_y
      - .offset:         80
        .size:           2
        .value_kind:     hidden_group_size_z
      - .offset:         82
        .size:           2
        .value_kind:     hidden_remainder_x
      - .offset:         84
        .size:           2
        .value_kind:     hidden_remainder_y
      - .offset:         86
        .size:           2
        .value_kind:     hidden_remainder_z
      - .offset:         104
        .size:           8
        .value_kind:     hidden_global_offset_x
      - .offset:         112
        .size:           8
        .value_kind:     hidden_global_offset_y
      - .offset:         120
        .size:           8
        .value_kind:     hidden_global_offset_z
      - .offset:         128
        .size:           2
        .value_kind:     hidden_grid_dims
      - .offset:         144
        .size:           8
        .value_kind:     hidden_hostcall_buffer
      - .offset:         184
        .size:           4
        .value_kind:     hidden_dynamic_lds_size
    .group_segment_fixed_size: 0
    .kernarg_segment_align: 8
    .kernarg_segment_size: 320
    .language:       OpenCL C
    .language_version:
      - 2
      - 0
    .max_flat_workgroup_size: 1024
    .name:           _ZN9rocsolver6v33100L17syevj_diag_rotateILb0E19rocblas_complex_numIfEfPS3_EEvbiiT2_iilPT0_Pii
    .private_segment_fixed_size: 64
    .sgpr_count:     84
    .sgpr_spill_count: 0
    .symbol:         _ZN9rocsolver6v33100L17syevj_diag_rotateILb0E19rocblas_complex_numIfEfPS3_EEvbiiT2_iilPT0_Pii.kd
    .uniform_work_group_size: 1
    .uses_dynamic_stack: false
    .vgpr_count:     43
    .vgpr_spill_count: 0
    .wavefront_size: 64
  - .args:
      - .offset:         0
        .size:           1
        .value_kind:     by_value
      - .offset:         4
        .size:           4
        .value_kind:     by_value
      - .offset:         8
        .size:           4
        .value_kind:     by_value
      - .address_space:  global
        .offset:         16
        .size:           8
        .value_kind:     global_buffer
      - .offset:         24
        .size:           4
        .value_kind:     by_value
      - .offset:         28
        .size:           4
        .value_kind:     by_value
      - .offset:         32
        .size:           8
        .value_kind:     by_value
      - .address_space:  global
        .offset:         40
        .size:           8
        .value_kind:     global_buffer
      - .address_space:  global
        .offset:         48
        .size:           8
        .value_kind:     global_buffer
      - .offset:         56
        .size:           4
        .value_kind:     by_value
      - .offset:         64
        .size:           4
        .value_kind:     hidden_block_count_x
      - .offset:         68
        .size:           4
        .value_kind:     hidden_block_count_y
      - .offset:         72
        .size:           4
        .value_kind:     hidden_block_count_z
      - .offset:         76
        .size:           2
        .value_kind:     hidden_group_size_x
      - .offset:         78
        .size:           2
        .value_kind:     hidden_group_size_y
      - .offset:         80
        .size:           2
        .value_kind:     hidden_group_size_z
      - .offset:         82
        .size:           2
        .value_kind:     hidden_remainder_x
      - .offset:         84
        .size:           2
        .value_kind:     hidden_remainder_y
      - .offset:         86
        .size:           2
        .value_kind:     hidden_remainder_z
      - .offset:         104
        .size:           8
        .value_kind:     hidden_global_offset_x
      - .offset:         112
        .size:           8
        .value_kind:     hidden_global_offset_y
      - .offset:         120
        .size:           8
        .value_kind:     hidden_global_offset_z
      - .offset:         128
        .size:           2
        .value_kind:     hidden_grid_dims
      - .offset:         144
        .size:           8
        .value_kind:     hidden_hostcall_buffer
      - .offset:         184
        .size:           4
        .value_kind:     hidden_dynamic_lds_size
    .group_segment_fixed_size: 0
    .kernarg_segment_align: 8
    .kernarg_segment_size: 320
    .language:       OpenCL C
    .language_version:
      - 2
      - 0
    .max_flat_workgroup_size: 1024
    .name:           _ZN9rocsolver6v33100L17syevj_diag_rotateILb1E19rocblas_complex_numIfEfPS3_EEvbiiT2_iilPT0_Pii
    .private_segment_fixed_size: 64
    .sgpr_count:     82
    .sgpr_spill_count: 0
    .symbol:         _ZN9rocsolver6v33100L17syevj_diag_rotateILb1E19rocblas_complex_numIfEfPS3_EEvbiiT2_iilPT0_Pii.kd
    .uniform_work_group_size: 1
    .uses_dynamic_stack: false
    .vgpr_count:     43
    .vgpr_spill_count: 0
    .wavefront_size: 64
  - .args:
      - .offset:         0
        .size:           4
        .value_kind:     by_value
      - .offset:         4
        .size:           4
        .value_kind:     by_value
      - .address_space:  global
        .offset:         8
        .size:           8
        .value_kind:     global_buffer
      - .offset:         16
        .size:           4
        .value_kind:     by_value
      - .offset:         20
        .size:           4
        .value_kind:     by_value
      - .offset:         24
        .size:           8
        .value_kind:     by_value
      - .offset:         32
        .size:           4
        .value_kind:     by_value
      - .address_space:  global
        .offset:         40
        .size:           8
        .value_kind:     global_buffer
      - .address_space:  global
        .offset:         48
        .size:           8
        .value_kind:     global_buffer
      - .address_space:  global
        .offset:         56
        .size:           8
        .value_kind:     global_buffer
      - .address_space:  global
        .offset:         64
        .size:           8
        .value_kind:     global_buffer
      - .offset:         72
        .size:           4
        .value_kind:     hidden_block_count_x
      - .offset:         76
        .size:           4
        .value_kind:     hidden_block_count_y
      - .offset:         80
        .size:           4
        .value_kind:     hidden_block_count_z
      - .offset:         84
        .size:           2
        .value_kind:     hidden_group_size_x
      - .offset:         86
        .size:           2
        .value_kind:     hidden_group_size_y
      - .offset:         88
        .size:           2
        .value_kind:     hidden_group_size_z
      - .offset:         90
        .size:           2
        .value_kind:     hidden_remainder_x
      - .offset:         92
        .size:           2
        .value_kind:     hidden_remainder_y
      - .offset:         94
        .size:           2
        .value_kind:     hidden_remainder_z
      - .offset:         112
        .size:           8
        .value_kind:     hidden_global_offset_x
      - .offset:         120
        .size:           8
        .value_kind:     hidden_global_offset_y
      - .offset:         128
        .size:           8
        .value_kind:     hidden_global_offset_z
      - .offset:         136
        .size:           2
        .value_kind:     hidden_grid_dims
      - .offset:         192
        .size:           4
        .value_kind:     hidden_dynamic_lds_size
    .group_segment_fixed_size: 0
    .kernarg_segment_align: 8
    .kernarg_segment_size: 328
    .language:       OpenCL C
    .language_version:
      - 2
      - 0
    .max_flat_workgroup_size: 1024
    .name:           _ZN9rocsolver6v33100L21syevj_offd_kernel_orgI19rocblas_complex_numIfEfPS3_EEviiT1_iilT0_PT_PiS9_S9_
    .private_segment_fixed_size: 0
    .sgpr_count:     42
    .sgpr_spill_count: 0
    .symbol:         _ZN9rocsolver6v33100L21syevj_offd_kernel_orgI19rocblas_complex_numIfEfPS3_EEviiT1_iilT0_PT_PiS9_S9_.kd
    .uniform_work_group_size: 1
    .uses_dynamic_stack: false
    .vgpr_count:     48
    .vgpr_spill_count: 0
    .wavefront_size: 64
  - .args:
      - .offset:         0
        .size:           4
        .value_kind:     by_value
      - .offset:         4
        .size:           4
        .value_kind:     by_value
      - .address_space:  global
        .offset:         8
        .size:           8
        .value_kind:     global_buffer
      - .offset:         16
        .size:           4
        .value_kind:     by_value
      - .offset:         20
        .size:           4
        .value_kind:     by_value
      - .offset:         24
        .size:           8
        .value_kind:     by_value
      - .offset:         32
        .size:           4
        .value_kind:     by_value
      - .address_space:  global
        .offset:         40
        .size:           8
        .value_kind:     global_buffer
      - .address_space:  global
        .offset:         48
        .size:           8
        .value_kind:     global_buffer
      - .address_space:  global
        .offset:         56
        .size:           8
        .value_kind:     global_buffer
      - .address_space:  global
        .offset:         64
        .size:           8
        .value_kind:     global_buffer
      - .offset:         72
        .size:           4
        .value_kind:     by_value
      - .offset:         80
        .size:           4
        .value_kind:     hidden_block_count_x
      - .offset:         84
        .size:           4
        .value_kind:     hidden_block_count_y
      - .offset:         88
        .size:           4
        .value_kind:     hidden_block_count_z
      - .offset:         92
        .size:           2
        .value_kind:     hidden_group_size_x
      - .offset:         94
        .size:           2
        .value_kind:     hidden_group_size_y
      - .offset:         96
        .size:           2
        .value_kind:     hidden_group_size_z
      - .offset:         98
        .size:           2
        .value_kind:     hidden_remainder_x
      - .offset:         100
        .size:           2
        .value_kind:     hidden_remainder_y
      - .offset:         102
        .size:           2
        .value_kind:     hidden_remainder_z
      - .offset:         120
        .size:           8
        .value_kind:     hidden_global_offset_x
      - .offset:         128
        .size:           8
        .value_kind:     hidden_global_offset_y
      - .offset:         136
        .size:           8
        .value_kind:     hidden_global_offset_z
      - .offset:         144
        .size:           2
        .value_kind:     hidden_grid_dims
      - .offset:         200
        .size:           4
        .value_kind:     hidden_dynamic_lds_size
    .group_segment_fixed_size: 0
    .kernarg_segment_align: 8
    .kernarg_segment_size: 336
    .language:       OpenCL C
    .language_version:
      - 2
      - 0
    .max_flat_workgroup_size: 1024
    .name:           _ZN9rocsolver6v33100L17syevj_offd_kernelI19rocblas_complex_numIfEfPS3_EEviiT1_iilT0_PT_PiS9_S9_i
    .private_segment_fixed_size: 0
    .sgpr_count:     89
    .sgpr_spill_count: 0
    .symbol:         _ZN9rocsolver6v33100L17syevj_offd_kernelI19rocblas_complex_numIfEfPS3_EEviiT1_iilT0_PT_PiS9_S9_i.kd
    .uniform_work_group_size: 1
    .uses_dynamic_stack: false
    .vgpr_count:     45
    .vgpr_spill_count: 0
    .wavefront_size: 64
  - .args:
      - .offset:         0
        .size:           1
        .value_kind:     by_value
      - .offset:         4
        .size:           4
        .value_kind:     by_value
      - .offset:         8
        .size:           4
        .value_kind:     by_value
      - .address_space:  global
        .offset:         16
        .size:           8
        .value_kind:     global_buffer
      - .offset:         24
        .size:           4
        .value_kind:     by_value
      - .offset:         28
        .size:           4
        .value_kind:     by_value
      - .offset:         32
        .size:           8
        .value_kind:     by_value
      - .address_space:  global
        .offset:         40
        .size:           8
        .value_kind:     global_buffer
      - .address_space:  global
        .offset:         48
        .size:           8
        .value_kind:     global_buffer
      - .address_space:  global
        .offset:         56
        .size:           8
        .value_kind:     global_buffer
      - .address_space:  global
        .offset:         64
        .size:           8
        .value_kind:     global_buffer
      - .offset:         72
        .size:           4
        .value_kind:     hidden_block_count_x
      - .offset:         76
        .size:           4
        .value_kind:     hidden_block_count_y
      - .offset:         80
        .size:           4
        .value_kind:     hidden_block_count_z
      - .offset:         84
        .size:           2
        .value_kind:     hidden_group_size_x
      - .offset:         86
        .size:           2
        .value_kind:     hidden_group_size_y
      - .offset:         88
        .size:           2
        .value_kind:     hidden_group_size_z
      - .offset:         90
        .size:           2
        .value_kind:     hidden_remainder_x
      - .offset:         92
        .size:           2
        .value_kind:     hidden_remainder_y
      - .offset:         94
        .size:           2
        .value_kind:     hidden_remainder_z
      - .offset:         112
        .size:           8
        .value_kind:     hidden_global_offset_x
      - .offset:         120
        .size:           8
        .value_kind:     hidden_global_offset_y
      - .offset:         128
        .size:           8
        .value_kind:     hidden_global_offset_z
      - .offset:         136
        .size:           2
        .value_kind:     hidden_grid_dims
    .group_segment_fixed_size: 0
    .kernarg_segment_align: 8
    .kernarg_segment_size: 328
    .language:       OpenCL C
    .language_version:
      - 2
      - 0
    .max_flat_workgroup_size: 1024
    .name:           _ZN9rocsolver6v33100L21syevj_offd_rotate_orgILb0E19rocblas_complex_numIfEfPS3_EEvbiiT2_iilPT0_PiS8_S8_
    .private_segment_fixed_size: 0
    .sgpr_count:     26
    .sgpr_spill_count: 0
    .symbol:         _ZN9rocsolver6v33100L21syevj_offd_rotate_orgILb0E19rocblas_complex_numIfEfPS3_EEvbiiT2_iilPT0_PiS8_S8_.kd
    .uniform_work_group_size: 1
    .uses_dynamic_stack: false
    .vgpr_count:     20
    .vgpr_spill_count: 0
    .wavefront_size: 64
  - .args:
      - .offset:         0
        .size:           1
        .value_kind:     by_value
      - .offset:         4
        .size:           4
        .value_kind:     by_value
      - .offset:         8
        .size:           4
        .value_kind:     by_value
      - .address_space:  global
        .offset:         16
        .size:           8
        .value_kind:     global_buffer
      - .offset:         24
        .size:           4
        .value_kind:     by_value
      - .offset:         28
        .size:           4
        .value_kind:     by_value
      - .offset:         32
        .size:           8
        .value_kind:     by_value
      - .address_space:  global
        .offset:         40
        .size:           8
        .value_kind:     global_buffer
      - .address_space:  global
        .offset:         48
        .size:           8
        .value_kind:     global_buffer
      - .address_space:  global
        .offset:         56
        .size:           8
        .value_kind:     global_buffer
      - .address_space:  global
        .offset:         64
        .size:           8
        .value_kind:     global_buffer
      - .offset:         72
        .size:           4
        .value_kind:     by_value
      - .offset:         80
        .size:           4
        .value_kind:     hidden_block_count_x
      - .offset:         84
        .size:           4
        .value_kind:     hidden_block_count_y
      - .offset:         88
        .size:           4
        .value_kind:     hidden_block_count_z
      - .offset:         92
        .size:           2
        .value_kind:     hidden_group_size_x
      - .offset:         94
        .size:           2
        .value_kind:     hidden_group_size_y
      - .offset:         96
        .size:           2
        .value_kind:     hidden_group_size_z
      - .offset:         98
        .size:           2
        .value_kind:     hidden_remainder_x
      - .offset:         100
        .size:           2
        .value_kind:     hidden_remainder_y
      - .offset:         102
        .size:           2
        .value_kind:     hidden_remainder_z
      - .offset:         120
        .size:           8
        .value_kind:     hidden_global_offset_x
      - .offset:         128
        .size:           8
        .value_kind:     hidden_global_offset_y
      - .offset:         136
        .size:           8
        .value_kind:     hidden_global_offset_z
      - .offset:         144
        .size:           2
        .value_kind:     hidden_grid_dims
      - .offset:         200
        .size:           4
        .value_kind:     hidden_dynamic_lds_size
    .group_segment_fixed_size: 0
    .kernarg_segment_align: 8
    .kernarg_segment_size: 336
    .language:       OpenCL C
    .language_version:
      - 2
      - 0
    .max_flat_workgroup_size: 1024
    .name:           _ZN9rocsolver6v33100L17syevj_offd_rotateILb0E19rocblas_complex_numIfEfPS3_EEvbiiT2_iilPT0_PiS8_S8_i
    .private_segment_fixed_size: 0
    .sgpr_count:     86
    .sgpr_spill_count: 0
    .symbol:         _ZN9rocsolver6v33100L17syevj_offd_rotateILb0E19rocblas_complex_numIfEfPS3_EEvbiiT2_iilPT0_PiS8_S8_i.kd
    .uniform_work_group_size: 1
    .uses_dynamic_stack: false
    .vgpr_count:     22
    .vgpr_spill_count: 0
    .wavefront_size: 64
  - .args:
      - .offset:         0
        .size:           1
        .value_kind:     by_value
      - .offset:         4
        .size:           4
        .value_kind:     by_value
      - .offset:         8
        .size:           4
        .value_kind:     by_value
      - .address_space:  global
        .offset:         16
        .size:           8
        .value_kind:     global_buffer
      - .offset:         24
        .size:           4
        .value_kind:     by_value
      - .offset:         28
        .size:           4
        .value_kind:     by_value
      - .offset:         32
        .size:           8
        .value_kind:     by_value
      - .address_space:  global
        .offset:         40
        .size:           8
        .value_kind:     global_buffer
      - .address_space:  global
        .offset:         48
        .size:           8
        .value_kind:     global_buffer
      - .address_space:  global
        .offset:         56
        .size:           8
        .value_kind:     global_buffer
      - .address_space:  global
        .offset:         64
        .size:           8
        .value_kind:     global_buffer
      - .offset:         72
        .size:           4
        .value_kind:     hidden_block_count_x
      - .offset:         76
        .size:           4
        .value_kind:     hidden_block_count_y
      - .offset:         80
        .size:           4
        .value_kind:     hidden_block_count_z
      - .offset:         84
        .size:           2
        .value_kind:     hidden_group_size_x
      - .offset:         86
        .size:           2
        .value_kind:     hidden_group_size_y
      - .offset:         88
        .size:           2
        .value_kind:     hidden_group_size_z
      - .offset:         90
        .size:           2
        .value_kind:     hidden_remainder_x
      - .offset:         92
        .size:           2
        .value_kind:     hidden_remainder_y
      - .offset:         94
        .size:           2
        .value_kind:     hidden_remainder_z
      - .offset:         112
        .size:           8
        .value_kind:     hidden_global_offset_x
      - .offset:         120
        .size:           8
        .value_kind:     hidden_global_offset_y
      - .offset:         128
        .size:           8
        .value_kind:     hidden_global_offset_z
      - .offset:         136
        .size:           2
        .value_kind:     hidden_grid_dims
    .group_segment_fixed_size: 0
    .kernarg_segment_align: 8
    .kernarg_segment_size: 328
    .language:       OpenCL C
    .language_version:
      - 2
      - 0
    .max_flat_workgroup_size: 1024
    .name:           _ZN9rocsolver6v33100L21syevj_offd_rotate_orgILb1E19rocblas_complex_numIfEfPS3_EEvbiiT2_iilPT0_PiS8_S8_
    .private_segment_fixed_size: 0
    .sgpr_count:     26
    .sgpr_spill_count: 0
    .symbol:         _ZN9rocsolver6v33100L21syevj_offd_rotate_orgILb1E19rocblas_complex_numIfEfPS3_EEvbiiT2_iilPT0_PiS8_S8_.kd
    .uniform_work_group_size: 1
    .uses_dynamic_stack: false
    .vgpr_count:     16
    .vgpr_spill_count: 0
    .wavefront_size: 64
  - .args:
      - .offset:         0
        .size:           1
        .value_kind:     by_value
      - .offset:         4
        .size:           4
        .value_kind:     by_value
      - .offset:         8
        .size:           4
        .value_kind:     by_value
      - .address_space:  global
        .offset:         16
        .size:           8
        .value_kind:     global_buffer
      - .offset:         24
        .size:           4
        .value_kind:     by_value
      - .offset:         28
        .size:           4
        .value_kind:     by_value
      - .offset:         32
        .size:           8
        .value_kind:     by_value
      - .address_space:  global
        .offset:         40
        .size:           8
        .value_kind:     global_buffer
      - .address_space:  global
        .offset:         48
        .size:           8
        .value_kind:     global_buffer
      - .address_space:  global
        .offset:         56
        .size:           8
        .value_kind:     global_buffer
      - .address_space:  global
        .offset:         64
        .size:           8
        .value_kind:     global_buffer
      - .offset:         72
        .size:           4
        .value_kind:     by_value
      - .offset:         80
        .size:           4
        .value_kind:     hidden_block_count_x
      - .offset:         84
        .size:           4
        .value_kind:     hidden_block_count_y
      - .offset:         88
        .size:           4
        .value_kind:     hidden_block_count_z
      - .offset:         92
        .size:           2
        .value_kind:     hidden_group_size_x
      - .offset:         94
        .size:           2
        .value_kind:     hidden_group_size_y
      - .offset:         96
        .size:           2
        .value_kind:     hidden_group_size_z
      - .offset:         98
        .size:           2
        .value_kind:     hidden_remainder_x
      - .offset:         100
        .size:           2
        .value_kind:     hidden_remainder_y
      - .offset:         102
        .size:           2
        .value_kind:     hidden_remainder_z
      - .offset:         120
        .size:           8
        .value_kind:     hidden_global_offset_x
      - .offset:         128
        .size:           8
        .value_kind:     hidden_global_offset_y
      - .offset:         136
        .size:           8
        .value_kind:     hidden_global_offset_z
      - .offset:         144
        .size:           2
        .value_kind:     hidden_grid_dims
      - .offset:         200
        .size:           4
        .value_kind:     hidden_dynamic_lds_size
    .group_segment_fixed_size: 0
    .kernarg_segment_align: 8
    .kernarg_segment_size: 336
    .language:       OpenCL C
    .language_version:
      - 2
      - 0
    .max_flat_workgroup_size: 1024
    .name:           _ZN9rocsolver6v33100L17syevj_offd_rotateILb1E19rocblas_complex_numIfEfPS3_EEvbiiT2_iilPT0_PiS8_S8_i
    .private_segment_fixed_size: 0
    .sgpr_count:     82
    .sgpr_spill_count: 0
    .symbol:         _ZN9rocsolver6v33100L17syevj_offd_rotateILb1E19rocblas_complex_numIfEfPS3_EEvbiiT2_iilPT0_PiS8_S8_i.kd
    .uniform_work_group_size: 1
    .uses_dynamic_stack: false
    .vgpr_count:     24
    .vgpr_spill_count: 0
    .wavefront_size: 64
  - .args:
      - .offset:         0
        .size:           4
        .value_kind:     by_value
      - .address_space:  global
        .offset:         8
        .size:           8
        .value_kind:     global_buffer
      - .address_space:  global
        .offset:         16
        .size:           8
        .value_kind:     global_buffer
      - .offset:         24
        .size:           4
        .value_kind:     hidden_block_count_x
      - .offset:         28
        .size:           4
        .value_kind:     hidden_block_count_y
      - .offset:         32
        .size:           4
        .value_kind:     hidden_block_count_z
      - .offset:         36
        .size:           2
        .value_kind:     hidden_group_size_x
      - .offset:         38
        .size:           2
        .value_kind:     hidden_group_size_y
      - .offset:         40
        .size:           2
        .value_kind:     hidden_group_size_z
      - .offset:         42
        .size:           2
        .value_kind:     hidden_remainder_x
      - .offset:         44
        .size:           2
        .value_kind:     hidden_remainder_y
      - .offset:         46
        .size:           2
        .value_kind:     hidden_remainder_z
      - .offset:         64
        .size:           8
        .value_kind:     hidden_global_offset_x
      - .offset:         72
        .size:           8
        .value_kind:     hidden_global_offset_y
      - .offset:         80
        .size:           8
        .value_kind:     hidden_global_offset_z
      - .offset:         88
        .size:           2
        .value_kind:     hidden_grid_dims
    .group_segment_fixed_size: 0
    .kernarg_segment_align: 8
    .kernarg_segment_size: 280
    .language:       OpenCL C
    .language_version:
      - 2
      - 0
    .max_flat_workgroup_size: 1024
    .name:           _ZN9rocsolver6v33100L17syevj_cycle_pairsI19rocblas_complex_numIfEEEviPiS4_
    .private_segment_fixed_size: 0
    .sgpr_count:     20
    .sgpr_spill_count: 0
    .symbol:         _ZN9rocsolver6v33100L17syevj_cycle_pairsI19rocblas_complex_numIfEEEviPiS4_.kd
    .uniform_work_group_size: 1
    .uses_dynamic_stack: false
    .vgpr_count:     11
    .vgpr_spill_count: 0
    .wavefront_size: 64
  - .args:
      - .offset:         0
        .size:           4
        .value_kind:     by_value
      - .offset:         4
        .size:           4
        .value_kind:     by_value
      - .address_space:  global
        .offset:         8
        .size:           8
        .value_kind:     global_buffer
      - .address_space:  global
        .offset:         16
        .size:           8
        .value_kind:     global_buffer
      - .address_space:  global
        .offset:         24
        .size:           8
        .value_kind:     global_buffer
      - .address_space:  global
        .offset:         32
        .size:           8
        .value_kind:     global_buffer
      - .offset:         40
        .size:           4
        .value_kind:     hidden_block_count_x
      - .offset:         44
        .size:           4
        .value_kind:     hidden_block_count_y
      - .offset:         48
        .size:           4
        .value_kind:     hidden_block_count_z
      - .offset:         52
        .size:           2
        .value_kind:     hidden_group_size_x
      - .offset:         54
        .size:           2
        .value_kind:     hidden_group_size_y
      - .offset:         56
        .size:           2
        .value_kind:     hidden_group_size_z
      - .offset:         58
        .size:           2
        .value_kind:     hidden_remainder_x
      - .offset:         60
        .size:           2
        .value_kind:     hidden_remainder_y
      - .offset:         62
        .size:           2
        .value_kind:     hidden_remainder_z
      - .offset:         80
        .size:           8
        .value_kind:     hidden_global_offset_x
      - .offset:         88
        .size:           8
        .value_kind:     hidden_global_offset_y
      - .offset:         96
        .size:           8
        .value_kind:     hidden_global_offset_z
      - .offset:         104
        .size:           2
        .value_kind:     hidden_grid_dims
      - .offset:         160
        .size:           4
        .value_kind:     hidden_dynamic_lds_size
    .group_segment_fixed_size: 0
    .kernarg_segment_align: 8
    .kernarg_segment_size: 296
    .language:       OpenCL C
    .language_version:
      - 2
      - 0
    .max_flat_workgroup_size: 1024
    .name:           _ZN9rocsolver6v33100L15syevj_calc_normI19rocblas_complex_numIfEfEEviiPT0_PT_S5_Pi
    .private_segment_fixed_size: 0
    .sgpr_count:     28
    .sgpr_spill_count: 0
    .symbol:         _ZN9rocsolver6v33100L15syevj_calc_normI19rocblas_complex_numIfEfEEviiPT0_PT_S5_Pi.kd
    .uniform_work_group_size: 1
    .uses_dynamic_stack: false
    .vgpr_count:     11
    .vgpr_spill_count: 0
    .wavefront_size: 64
  - .args:
      - .offset:         0
        .size:           4
        .value_kind:     by_value
      - .offset:         4
        .size:           4
        .value_kind:     by_value
      - .offset:         8
        .size:           4
        .value_kind:     by_value
      - .address_space:  global
        .offset:         16
        .size:           8
        .value_kind:     global_buffer
      - .offset:         24
        .size:           4
        .value_kind:     by_value
      - .offset:         28
        .size:           4
        .value_kind:     by_value
      - .offset:         32
        .size:           8
        .value_kind:     by_value
      - .address_space:  global
        .offset:         40
        .size:           8
        .value_kind:     global_buffer
      - .offset:         48
        .size:           4
        .value_kind:     by_value
      - .address_space:  global
        .offset:         56
        .size:           8
        .value_kind:     global_buffer
      - .address_space:  global
        .offset:         64
        .size:           8
        .value_kind:     global_buffer
      - .offset:         72
        .size:           8
        .value_kind:     by_value
      - .address_space:  global
        .offset:         80
        .size:           8
        .value_kind:     global_buffer
      - .address_space:  global
        .offset:         88
        .size:           8
        .value_kind:     global_buffer
      - .address_space:  global
        .offset:         96
        .size:           8
        .value_kind:     global_buffer
      - .offset:         104
        .size:           4
        .value_kind:     hidden_block_count_x
      - .offset:         108
        .size:           4
        .value_kind:     hidden_block_count_y
      - .offset:         112
        .size:           4
        .value_kind:     hidden_block_count_z
      - .offset:         116
        .size:           2
        .value_kind:     hidden_group_size_x
      - .offset:         118
        .size:           2
        .value_kind:     hidden_group_size_y
      - .offset:         120
        .size:           2
        .value_kind:     hidden_group_size_z
      - .offset:         122
        .size:           2
        .value_kind:     hidden_remainder_x
      - .offset:         124
        .size:           2
        .value_kind:     hidden_remainder_y
      - .offset:         126
        .size:           2
        .value_kind:     hidden_remainder_z
      - .offset:         144
        .size:           8
        .value_kind:     hidden_global_offset_x
      - .offset:         152
        .size:           8
        .value_kind:     hidden_global_offset_y
      - .offset:         160
        .size:           8
        .value_kind:     hidden_global_offset_z
      - .offset:         168
        .size:           2
        .value_kind:     hidden_grid_dims
    .group_segment_fixed_size: 0
    .kernarg_segment_align: 8
    .kernarg_segment_size: 360
    .language:       OpenCL C
    .language_version:
      - 2
      - 0
    .max_flat_workgroup_size: 1024
    .name:           _ZN9rocsolver6v33100L14syevj_finalizeI19rocblas_complex_numIfEfPS3_EEv14rocblas_esort_14rocblas_evect_iT1_iilPT0_iPiS9_lSA_PT_SA_
    .private_segment_fixed_size: 0
    .sgpr_count:     34
    .sgpr_spill_count: 0
    .symbol:         _ZN9rocsolver6v33100L14syevj_finalizeI19rocblas_complex_numIfEfPS3_EEv14rocblas_esort_14rocblas_evect_iT1_iilPT0_iPiS9_lSA_PT_SA_.kd
    .uniform_work_group_size: 1
    .uses_dynamic_stack: false
    .vgpr_count:     11
    .vgpr_spill_count: 0
    .wavefront_size: 64
  - .args:
      - .offset:         0
        .size:           4
        .value_kind:     by_value
      - .offset:         4
        .size:           4
        .value_kind:     by_value
      - .address_space:  global
        .offset:         8
        .size:           8
        .value_kind:     global_buffer
      - .offset:         16
        .size:           8
        .value_kind:     by_value
      - .offset:         24
        .size:           4
        .value_kind:     by_value
      - .offset:         32
        .size:           8
        .value_kind:     by_value
      - .address_space:  global
        .offset:         40
        .size:           8
        .value_kind:     global_buffer
      - .offset:         48
        .size:           8
        .value_kind:     by_value
      - .address_space:  global
        .offset:         56
        .size:           8
        .value_kind:     global_buffer
      - .offset:         64
        .size:           8
        .value_kind:     by_value
    .group_segment_fixed_size: 0
    .kernarg_segment_align: 8
    .kernarg_segment_size: 72
    .language:       OpenCL C
    .language_version:
      - 2
      - 0
    .max_flat_workgroup_size: 256
    .name:           _ZN9rocsolver6v33100L18geqr2_kernel_smallILi256E19rocblas_complex_numIfEifPS3_EEvT1_S5_T3_lS5_lPT2_lPT0_l
    .private_segment_fixed_size: 0
    .sgpr_count:     49
    .sgpr_spill_count: 0
    .symbol:         _ZN9rocsolver6v33100L18geqr2_kernel_smallILi256E19rocblas_complex_numIfEifPS3_EEvT1_S5_T3_lS5_lPT2_lPT0_l.kd
    .uniform_work_group_size: 1
    .uses_dynamic_stack: false
    .vgpr_count:     28
    .vgpr_spill_count: 0
    .wavefront_size: 64
  - .args:
      - .address_space:  global
        .offset:         0
        .size:           8
        .value_kind:     global_buffer
      - .offset:         8
        .size:           8
        .value_kind:     by_value
      - .offset:         16
        .size:           4
        .value_kind:     by_value
      - .offset:         20
        .size:           4
        .value_kind:     by_value
      - .offset:         24
        .size:           4
        .value_kind:     hidden_block_count_x
      - .offset:         28
        .size:           4
        .value_kind:     hidden_block_count_y
      - .offset:         32
        .size:           4
        .value_kind:     hidden_block_count_z
      - .offset:         36
        .size:           2
        .value_kind:     hidden_group_size_x
      - .offset:         38
        .size:           2
        .value_kind:     hidden_group_size_y
      - .offset:         40
        .size:           2
        .value_kind:     hidden_group_size_z
      - .offset:         42
        .size:           2
        .value_kind:     hidden_remainder_x
      - .offset:         44
        .size:           2
        .value_kind:     hidden_remainder_y
      - .offset:         46
        .size:           2
        .value_kind:     hidden_remainder_z
      - .offset:         64
        .size:           8
        .value_kind:     hidden_global_offset_x
      - .offset:         72
        .size:           8
        .value_kind:     hidden_global_offset_y
      - .offset:         80
        .size:           8
        .value_kind:     hidden_global_offset_z
      - .offset:         88
        .size:           2
        .value_kind:     hidden_grid_dims
    .group_segment_fixed_size: 0
    .kernarg_segment_align: 8
    .kernarg_segment_size: 280
    .language:       OpenCL C
    .language_version:
      - 2
      - 0
    .max_flat_workgroup_size: 1024
    .name:           _ZN9rocsolver6v33100L16reset_batch_infoI19rocblas_complex_numIfEiiPS3_EEvT2_lT0_T1_
    .private_segment_fixed_size: 0
    .sgpr_count:     16
    .sgpr_spill_count: 0
    .symbol:         _ZN9rocsolver6v33100L16reset_batch_infoI19rocblas_complex_numIfEiiPS3_EEvT2_lT0_T1_.kd
    .uniform_work_group_size: 1
    .uses_dynamic_stack: false
    .vgpr_count:     4
    .vgpr_spill_count: 0
    .wavefront_size: 64
  - .args:
      - .address_space:  global
        .offset:         0
        .size:           8
        .value_kind:     global_buffer
      - .offset:         8
        .size:           8
        .value_kind:     by_value
      - .offset:         16
        .size:           8
        .value_kind:     by_value
      - .address_space:  global
        .offset:         24
        .size:           8
        .value_kind:     global_buffer
      - .offset:         32
        .size:           8
        .value_kind:     by_value
      - .offset:         40
        .size:           4
        .value_kind:     by_value
      - .offset:         48
        .size:           8
        .value_kind:     by_value
      - .offset:         56
        .size:           4
        .value_kind:     by_value
      - .offset:         60
        .size:           1
        .value_kind:     by_value
      - .offset:         64
        .size:           4
        .value_kind:     hidden_block_count_x
      - .offset:         68
        .size:           4
        .value_kind:     hidden_block_count_y
      - .offset:         72
        .size:           4
        .value_kind:     hidden_block_count_z
      - .offset:         76
        .size:           2
        .value_kind:     hidden_group_size_x
      - .offset:         78
        .size:           2
        .value_kind:     hidden_group_size_y
      - .offset:         80
        .size:           2
        .value_kind:     hidden_group_size_z
      - .offset:         82
        .size:           2
        .value_kind:     hidden_remainder_x
      - .offset:         84
        .size:           2
        .value_kind:     hidden_remainder_y
      - .offset:         86
        .size:           2
        .value_kind:     hidden_remainder_z
      - .offset:         104
        .size:           8
        .value_kind:     hidden_global_offset_x
      - .offset:         112
        .size:           8
        .value_kind:     hidden_global_offset_y
      - .offset:         120
        .size:           8
        .value_kind:     hidden_global_offset_z
      - .offset:         128
        .size:           2
        .value_kind:     hidden_grid_dims
    .group_segment_fixed_size: 0
    .kernarg_segment_align: 8
    .kernarg_segment_size: 320
    .language:       OpenCL C
    .language_version:
      - 2
      - 0
    .max_flat_workgroup_size: 1024
    .name:           _ZN9rocsolver6v33100L8set_diagI19rocblas_complex_numIfEifPS3_TnNSt9enable_ifIXaa18rocblas_is_complexIT_Ent18rocblas_is_complexIT1_EEiE4typeELi0EEEvPS7_llT2_lT0_lSC_b
    .private_segment_fixed_size: 0
    .sgpr_count:     23
    .sgpr_spill_count: 0
    .symbol:         _ZN9rocsolver6v33100L8set_diagI19rocblas_complex_numIfEifPS3_TnNSt9enable_ifIXaa18rocblas_is_complexIT_Ent18rocblas_is_complexIT1_EEiE4typeELi0EEEvPS7_llT2_lT0_lSC_b.kd
    .uniform_work_group_size: 1
    .uses_dynamic_stack: false
    .vgpr_count:     6
    .vgpr_spill_count: 0
    .wavefront_size: 64
  - .args:
      - .address_space:  global
        .offset:         0
        .size:           8
        .value_kind:     global_buffer
      - .offset:         8
        .size:           8
        .value_kind:     by_value
      - .address_space:  global
        .offset:         16
        .size:           8
        .value_kind:     global_buffer
      - .address_space:  global
        .offset:         24
        .size:           8
        .value_kind:     global_buffer
      - .offset:         32
        .size:           8
        .value_kind:     by_value
      - .offset:         40
        .size:           8
        .value_kind:     by_value
      - .address_space:  global
        .offset:         48
        .size:           8
        .value_kind:     global_buffer
      - .offset:         56
        .size:           8
        .value_kind:     by_value
      - .offset:         64
        .size:           8
        .value_kind:     by_value
    .group_segment_fixed_size: 0
    .kernarg_segment_align: 8
    .kernarg_segment_size: 72
    .language:       OpenCL C
    .language_version:
      - 2
      - 0
    .max_flat_workgroup_size: 1024
    .name:           _ZN9rocsolver6v33100L11set_taubetaI19rocblas_complex_numIfEifPS3_EEvPT_lS6_T2_llPT1_ll
    .private_segment_fixed_size: 0
    .sgpr_count:     30
    .sgpr_spill_count: 0
    .symbol:         _ZN9rocsolver6v33100L11set_taubetaI19rocblas_complex_numIfEifPS3_EEvPT_lS6_T2_llPT1_ll.kd
    .uniform_work_group_size: 1
    .uses_dynamic_stack: false
    .vgpr_count:     21
    .vgpr_spill_count: 0
    .wavefront_size: 64
  - .args:
      - .offset:         0
        .size:           4
        .value_kind:     by_value
      - .offset:         4
        .size:           4
        .value_kind:     by_value
      - .address_space:  global
        .offset:         8
        .size:           8
        .value_kind:     global_buffer
      - .offset:         16
        .size:           8
        .value_kind:     by_value
      - .offset:         24
        .size:           4
        .value_kind:     by_value
      - .offset:         32
        .size:           8
        .value_kind:     by_value
      - .offset:         40
        .size:           4
        .value_kind:     hidden_block_count_x
      - .offset:         44
        .size:           4
        .value_kind:     hidden_block_count_y
      - .offset:         48
        .size:           4
        .value_kind:     hidden_block_count_z
      - .offset:         52
        .size:           2
        .value_kind:     hidden_group_size_x
      - .offset:         54
        .size:           2
        .value_kind:     hidden_group_size_y
      - .offset:         56
        .size:           2
        .value_kind:     hidden_group_size_z
      - .offset:         58
        .size:           2
        .value_kind:     hidden_remainder_x
      - .offset:         60
        .size:           2
        .value_kind:     hidden_remainder_y
      - .offset:         62
        .size:           2
        .value_kind:     hidden_remainder_z
      - .offset:         80
        .size:           8
        .value_kind:     hidden_global_offset_x
      - .offset:         88
        .size:           8
        .value_kind:     hidden_global_offset_y
      - .offset:         96
        .size:           8
        .value_kind:     hidden_global_offset_z
      - .offset:         104
        .size:           2
        .value_kind:     hidden_grid_dims
    .group_segment_fixed_size: 0
    .kernarg_segment_align: 8
    .kernarg_segment_size: 296
    .language:       OpenCL C
    .language_version:
      - 2
      - 0
    .max_flat_workgroup_size: 1024
    .name:           _ZN9rocsolver6v33100L13conj_in_placeI19rocblas_complex_numIfEiPS3_TnNSt9enable_ifIX18rocblas_is_complexIT_EEiE4typeELi0EEEvT0_S9_T1_lS9_l
    .private_segment_fixed_size: 0
    .sgpr_count:     14
    .sgpr_spill_count: 0
    .symbol:         _ZN9rocsolver6v33100L13conj_in_placeI19rocblas_complex_numIfEiPS3_TnNSt9enable_ifIX18rocblas_is_complexIT_EEiE4typeELi0EEEvT0_S9_T1_lS9_l.kd
    .uniform_work_group_size: 1
    .uses_dynamic_stack: false
    .vgpr_count:     7
    .vgpr_spill_count: 0
    .wavefront_size: 64
  - .args:
      - .offset:         0
        .size:           4
        .value_kind:     by_value
      - .offset:         4
        .size:           4
        .value_kind:     by_value
      - .address_space:  global
        .offset:         8
        .size:           8
        .value_kind:     global_buffer
      - .offset:         16
        .size:           8
        .value_kind:     by_value
      - .offset:         24
        .size:           4
        .value_kind:     by_value
      - .offset:         32
        .size:           8
        .value_kind:     by_value
      - .address_space:  global
        .offset:         40
        .size:           8
        .value_kind:     global_buffer
      - .offset:         48
        .size:           8
        .value_kind:     by_value
      - .address_space:  global
        .offset:         56
        .size:           8
        .value_kind:     global_buffer
      - .offset:         64
        .size:           8
        .value_kind:     by_value
      - .offset:         72
        .size:           4
        .value_kind:     by_value
      - .offset:         80
        .size:           8
        .value_kind:     by_value
    .group_segment_fixed_size: 0
    .kernarg_segment_align: 8
    .kernarg_segment_size: 88
    .language:       OpenCL C
    .language_version:
      - 2
      - 0
    .max_flat_workgroup_size: 1024
    .name:           _ZN9rocsolver6v33100L16larf_left_kernelILi1024E19rocblas_complex_numIfEiPS3_EEvT1_S5_T2_lS5_lPKT0_lS6_lS5_l
    .private_segment_fixed_size: 0
    .sgpr_count:     40
    .sgpr_spill_count: 0
    .symbol:         _ZN9rocsolver6v33100L16larf_left_kernelILi1024E19rocblas_complex_numIfEiPS3_EEvT1_S5_T2_lS5_lPKT0_lS6_lS5_l.kd
    .uniform_work_group_size: 1
    .uses_dynamic_stack: false
    .vgpr_count:     16
    .vgpr_spill_count: 0
    .wavefront_size: 64
  - .args:
      - .offset:         0
        .size:           4
        .value_kind:     by_value
      - .offset:         4
        .size:           4
        .value_kind:     by_value
      - .address_space:  global
        .offset:         8
        .size:           8
        .value_kind:     global_buffer
      - .offset:         16
        .size:           8
        .value_kind:     by_value
      - .offset:         24
        .size:           4
        .value_kind:     by_value
      - .offset:         32
        .size:           8
        .value_kind:     by_value
      - .address_space:  global
        .offset:         40
        .size:           8
        .value_kind:     global_buffer
      - .offset:         48
        .size:           8
        .value_kind:     by_value
      - .address_space:  global
        .offset:         56
        .size:           8
        .value_kind:     global_buffer
      - .offset:         64
        .size:           8
        .value_kind:     by_value
      - .offset:         72
        .size:           4
        .value_kind:     by_value
      - .offset:         80
        .size:           8
        .value_kind:     by_value
    .group_segment_fixed_size: 0
    .kernarg_segment_align: 8
    .kernarg_segment_size: 88
    .language:       OpenCL C
    .language_version:
      - 2
      - 0
    .max_flat_workgroup_size: 1024
    .name:           _ZN9rocsolver6v33100L17larf_right_kernelILi1024E19rocblas_complex_numIfEiPS3_EEvT1_S5_T2_lS5_lPKT0_lS6_lS5_l
    .private_segment_fixed_size: 0
    .sgpr_count:     40
    .sgpr_spill_count: 0
    .symbol:         _ZN9rocsolver6v33100L17larf_right_kernelILi1024E19rocblas_complex_numIfEiPS3_EEvT1_S5_T2_lS5_lPKT0_lS6_lS5_l.kd
    .uniform_work_group_size: 1
    .uses_dynamic_stack: false
    .vgpr_count:     17
    .vgpr_spill_count: 0
    .wavefront_size: 64
  - .args:
      - .address_space:  global
        .offset:         0
        .size:           8
        .value_kind:     global_buffer
      - .offset:         8
        .size:           8
        .value_kind:     by_value
      - .offset:         16
        .size:           8
        .value_kind:     by_value
      - .address_space:  global
        .offset:         24
        .size:           8
        .value_kind:     global_buffer
      - .offset:         32
        .size:           8
        .value_kind:     by_value
      - .offset:         40
        .size:           4
        .value_kind:     by_value
      - .offset:         48
        .size:           8
        .value_kind:     by_value
      - .offset:         56
        .size:           4
        .value_kind:     by_value
      - .offset:         64
        .size:           4
        .value_kind:     hidden_block_count_x
      - .offset:         68
        .size:           4
        .value_kind:     hidden_block_count_y
      - .offset:         72
        .size:           4
        .value_kind:     hidden_block_count_z
      - .offset:         76
        .size:           2
        .value_kind:     hidden_group_size_x
      - .offset:         78
        .size:           2
        .value_kind:     hidden_group_size_y
      - .offset:         80
        .size:           2
        .value_kind:     hidden_group_size_z
      - .offset:         82
        .size:           2
        .value_kind:     hidden_remainder_x
      - .offset:         84
        .size:           2
        .value_kind:     hidden_remainder_y
      - .offset:         86
        .size:           2
        .value_kind:     hidden_remainder_z
      - .offset:         104
        .size:           8
        .value_kind:     hidden_global_offset_x
      - .offset:         112
        .size:           8
        .value_kind:     hidden_global_offset_y
      - .offset:         120
        .size:           8
        .value_kind:     hidden_global_offset_z
      - .offset:         128
        .size:           2
        .value_kind:     hidden_grid_dims
    .group_segment_fixed_size: 0
    .kernarg_segment_align: 8
    .kernarg_segment_size: 320
    .language:       OpenCL C
    .language_version:
      - 2
      - 0
    .max_flat_workgroup_size: 1024
    .name:           _ZN9rocsolver6v33100L12restore_diagI19rocblas_complex_numIfEifPS3_EEvPT1_llT2_lT0_lS8_
    .private_segment_fixed_size: 0
    .sgpr_count:     21
    .sgpr_spill_count: 0
    .symbol:         _ZN9rocsolver6v33100L12restore_diagI19rocblas_complex_numIfEifPS3_EEvPT1_llT2_lT0_lS8_.kd
    .uniform_work_group_size: 1
    .uses_dynamic_stack: false
    .vgpr_count:     5
    .vgpr_spill_count: 0
    .wavefront_size: 64
  - .args:
      - .offset:         0
        .size:           4
        .value_kind:     by_value
      - .offset:         4
        .size:           4
        .value_kind:     by_value
      - .address_space:  global
        .offset:         8
        .size:           8
        .value_kind:     global_buffer
      - .offset:         16
        .size:           4
        .value_kind:     by_value
      - .offset:         20
        .size:           4
        .value_kind:     by_value
      - .offset:         24
        .size:           8
        .value_kind:     by_value
      - .address_space:  global
        .offset:         32
        .size:           8
        .value_kind:     global_buffer
      - .offset:         40
        .size:           8
        .value_kind:     by_value
      - .address_space:  global
        .offset:         48
        .size:           8
        .value_kind:     global_buffer
      - .offset:         56
        .size:           4
        .value_kind:     by_value
      - .offset:         64
        .size:           8
        .value_kind:     by_value
      - .offset:         72
        .size:           4
        .value_kind:     by_value
      - .offset:         76
        .size:           4
        .value_kind:     by_value
      - .offset:         80
        .size:           1
        .value_kind:     by_value
      - .offset:         88
        .size:           4
        .value_kind:     hidden_block_count_x
      - .offset:         92
        .size:           4
        .value_kind:     hidden_block_count_y
      - .offset:         96
        .size:           4
        .value_kind:     hidden_block_count_z
      - .offset:         100
        .size:           2
        .value_kind:     hidden_group_size_x
      - .offset:         102
        .size:           2
        .value_kind:     hidden_group_size_y
      - .offset:         104
        .size:           2
        .value_kind:     hidden_group_size_z
      - .offset:         106
        .size:           2
        .value_kind:     hidden_remainder_x
      - .offset:         108
        .size:           2
        .value_kind:     hidden_remainder_y
      - .offset:         110
        .size:           2
        .value_kind:     hidden_remainder_z
      - .offset:         128
        .size:           8
        .value_kind:     hidden_global_offset_x
      - .offset:         136
        .size:           8
        .value_kind:     hidden_global_offset_y
      - .offset:         144
        .size:           8
        .value_kind:     hidden_global_offset_z
      - .offset:         152
        .size:           2
        .value_kind:     hidden_grid_dims
    .group_segment_fixed_size: 0
    .kernarg_segment_align: 8
    .kernarg_segment_size: 344
    .language:       OpenCL C
    .language_version:
      - 2
      - 0
    .max_flat_workgroup_size: 1024
    .name:           _ZN9rocsolver6v33100L14set_triangularI19rocblas_complex_numIfEPS3_TnNSt9enable_ifIX18rocblas_is_complexIT_EEiE4typeELi0EEEviiT0_iilPS6_lSA_il15rocblas_direct_15rocblas_storev_b
    .private_segment_fixed_size: 0
    .sgpr_count:     27
    .sgpr_spill_count: 0
    .symbol:         _ZN9rocsolver6v33100L14set_triangularI19rocblas_complex_numIfEPS3_TnNSt9enable_ifIX18rocblas_is_complexIT_EEiE4typeELi0EEEviiT0_iilPS6_lSA_il15rocblas_direct_15rocblas_storev_b.kd
    .uniform_work_group_size: 1
    .uses_dynamic_stack: false
    .vgpr_count:     16
    .vgpr_spill_count: 0
    .wavefront_size: 64
  - .args:
      - .offset:         0
        .size:           4
        .value_kind:     by_value
      - .address_space:  global
        .offset:         8
        .size:           8
        .value_kind:     global_buffer
      - .offset:         16
        .size:           8
        .value_kind:     by_value
      - .offset:         24
        .size:           4
        .value_kind:     hidden_block_count_x
      - .offset:         28
        .size:           4
        .value_kind:     hidden_block_count_y
      - .offset:         32
        .size:           4
        .value_kind:     hidden_block_count_z
      - .offset:         36
        .size:           2
        .value_kind:     hidden_group_size_x
      - .offset:         38
        .size:           2
        .value_kind:     hidden_group_size_y
      - .offset:         40
        .size:           2
        .value_kind:     hidden_group_size_z
      - .offset:         42
        .size:           2
        .value_kind:     hidden_remainder_x
      - .offset:         44
        .size:           2
        .value_kind:     hidden_remainder_y
      - .offset:         46
        .size:           2
        .value_kind:     hidden_remainder_z
      - .offset:         64
        .size:           8
        .value_kind:     hidden_global_offset_x
      - .offset:         72
        .size:           8
        .value_kind:     hidden_global_offset_y
      - .offset:         80
        .size:           8
        .value_kind:     hidden_global_offset_z
      - .offset:         88
        .size:           2
        .value_kind:     hidden_grid_dims
    .group_segment_fixed_size: 0
    .kernarg_segment_align: 8
    .kernarg_segment_size: 280
    .language:       OpenCL C
    .language_version:
      - 2
      - 0
    .max_flat_workgroup_size: 1024
    .name:           _ZN9rocsolver6v33100L7set_tauI19rocblas_complex_numIfEEEviPT_l
    .private_segment_fixed_size: 0
    .sgpr_count:     12
    .sgpr_spill_count: 0
    .symbol:         _ZN9rocsolver6v33100L7set_tauI19rocblas_complex_numIfEEEviPT_l.kd
    .uniform_work_group_size: 1
    .uses_dynamic_stack: false
    .vgpr_count:     4
    .vgpr_spill_count: 0
    .wavefront_size: 64
  - .args:
      - .offset:         0
        .size:           4
        .value_kind:     by_value
      - .offset:         4
        .size:           4
        .value_kind:     by_value
      - .offset:         8
        .size:           4
        .value_kind:     by_value
      - .address_space:  global
        .offset:         16
        .size:           8
        .value_kind:     global_buffer
      - .offset:         24
        .size:           4
        .value_kind:     by_value
      - .offset:         28
        .size:           4
        .value_kind:     by_value
      - .offset:         32
        .size:           8
        .value_kind:     by_value
      - .address_space:  global
        .offset:         40
        .size:           8
        .value_kind:     global_buffer
      - .offset:         48
        .size:           8
        .value_kind:     by_value
      - .address_space:  global
        .offset:         56
        .size:           8
        .value_kind:     global_buffer
      - .offset:         64
        .size:           4
        .value_kind:     by_value
      - .offset:         72
        .size:           8
        .value_kind:     by_value
      - .offset:         80
        .size:           4
        .value_kind:     hidden_block_count_x
      - .offset:         84
        .size:           4
        .value_kind:     hidden_block_count_y
      - .offset:         88
        .size:           4
        .value_kind:     hidden_block_count_z
      - .offset:         92
        .size:           2
        .value_kind:     hidden_group_size_x
      - .offset:         94
        .size:           2
        .value_kind:     hidden_group_size_y
      - .offset:         96
        .size:           2
        .value_kind:     hidden_group_size_z
      - .offset:         98
        .size:           2
        .value_kind:     hidden_remainder_x
      - .offset:         100
        .size:           2
        .value_kind:     hidden_remainder_y
      - .offset:         102
        .size:           2
        .value_kind:     hidden_remainder_z
      - .offset:         120
        .size:           8
        .value_kind:     hidden_global_offset_x
      - .offset:         128
        .size:           8
        .value_kind:     hidden_global_offset_y
      - .offset:         136
        .size:           8
        .value_kind:     hidden_global_offset_z
      - .offset:         144
        .size:           2
        .value_kind:     hidden_grid_dims
      - .offset:         200
        .size:           4
        .value_kind:     hidden_dynamic_lds_size
    .group_segment_fixed_size: 0
    .kernarg_segment_align: 8
    .kernarg_segment_size: 336
    .language:       OpenCL C
    .language_version:
      - 2
      - 0
    .max_flat_workgroup_size: 1024
    .name:           _ZN9rocsolver6v33100L20larft_kernel_forwardI19rocblas_complex_numIfEPS3_EEv15rocblas_storev_iiT0_iilPT_lS8_il
    .private_segment_fixed_size: 0
    .sgpr_count:     56
    .sgpr_spill_count: 0
    .symbol:         _ZN9rocsolver6v33100L20larft_kernel_forwardI19rocblas_complex_numIfEPS3_EEv15rocblas_storev_iiT0_iilPT_lS8_il.kd
    .uniform_work_group_size: 1
    .uses_dynamic_stack: false
    .vgpr_count:     20
    .vgpr_spill_count: 0
    .wavefront_size: 64
  - .args:
      - .offset:         0
        .size:           4
        .value_kind:     by_value
      - .offset:         4
        .size:           4
        .value_kind:     by_value
      - .offset:         8
        .size:           4
        .value_kind:     by_value
      - .address_space:  global
        .offset:         16
        .size:           8
        .value_kind:     global_buffer
      - .offset:         24
        .size:           4
        .value_kind:     by_value
      - .offset:         28
        .size:           4
        .value_kind:     by_value
      - .offset:         32
        .size:           8
        .value_kind:     by_value
      - .address_space:  global
        .offset:         40
        .size:           8
        .value_kind:     global_buffer
      - .offset:         48
        .size:           8
        .value_kind:     by_value
      - .address_space:  global
        .offset:         56
        .size:           8
        .value_kind:     global_buffer
      - .offset:         64
        .size:           4
        .value_kind:     by_value
      - .offset:         72
        .size:           8
        .value_kind:     by_value
      - .offset:         80
        .size:           4
        .value_kind:     hidden_block_count_x
      - .offset:         84
        .size:           4
        .value_kind:     hidden_block_count_y
      - .offset:         88
        .size:           4
        .value_kind:     hidden_block_count_z
      - .offset:         92
        .size:           2
        .value_kind:     hidden_group_size_x
      - .offset:         94
        .size:           2
        .value_kind:     hidden_group_size_y
      - .offset:         96
        .size:           2
        .value_kind:     hidden_group_size_z
      - .offset:         98
        .size:           2
        .value_kind:     hidden_remainder_x
      - .offset:         100
        .size:           2
        .value_kind:     hidden_remainder_y
      - .offset:         102
        .size:           2
        .value_kind:     hidden_remainder_z
      - .offset:         120
        .size:           8
        .value_kind:     hidden_global_offset_x
      - .offset:         128
        .size:           8
        .value_kind:     hidden_global_offset_y
      - .offset:         136
        .size:           8
        .value_kind:     hidden_global_offset_z
      - .offset:         144
        .size:           2
        .value_kind:     hidden_grid_dims
      - .offset:         200
        .size:           4
        .value_kind:     hidden_dynamic_lds_size
    .group_segment_fixed_size: 0
    .kernarg_segment_align: 8
    .kernarg_segment_size: 336
    .language:       OpenCL C
    .language_version:
      - 2
      - 0
    .max_flat_workgroup_size: 1024
    .name:           _ZN9rocsolver6v33100L21larft_kernel_backwardI19rocblas_complex_numIfEPS3_EEv15rocblas_storev_iiT0_iilPT_lS8_il
    .private_segment_fixed_size: 0
    .sgpr_count:     56
    .sgpr_spill_count: 0
    .symbol:         _ZN9rocsolver6v33100L21larft_kernel_backwardI19rocblas_complex_numIfEPS3_EEv15rocblas_storev_iiT0_iilPT_lS8_il.kd
    .uniform_work_group_size: 1
    .uses_dynamic_stack: false
    .vgpr_count:     16
    .vgpr_spill_count: 0
    .wavefront_size: 64
  - .args:
      - .offset:         0
        .size:           4
        .value_kind:     by_value
      - .offset:         4
        .size:           4
        .value_kind:     by_value
      - .address_space:  global
        .offset:         8
        .size:           8
        .value_kind:     global_buffer
      - .offset:         16
        .size:           4
        .value_kind:     by_value
      - .offset:         20
        .size:           4
        .value_kind:     by_value
      - .offset:         24
        .size:           8
        .value_kind:     by_value
      - .address_space:  global
        .offset:         32
        .size:           8
        .value_kind:     global_buffer
      - .offset:         40
        .size:           4
        .value_kind:     hidden_block_count_x
      - .offset:         44
        .size:           4
        .value_kind:     hidden_block_count_y
      - .offset:         48
        .size:           4
        .value_kind:     hidden_block_count_z
      - .offset:         52
        .size:           2
        .value_kind:     hidden_group_size_x
      - .offset:         54
        .size:           2
        .value_kind:     hidden_group_size_y
      - .offset:         56
        .size:           2
        .value_kind:     hidden_group_size_z
      - .offset:         58
        .size:           2
        .value_kind:     hidden_remainder_x
      - .offset:         60
        .size:           2
        .value_kind:     hidden_remainder_y
      - .offset:         62
        .size:           2
        .value_kind:     hidden_remainder_z
      - .offset:         80
        .size:           8
        .value_kind:     hidden_global_offset_x
      - .offset:         88
        .size:           8
        .value_kind:     hidden_global_offset_y
      - .offset:         96
        .size:           8
        .value_kind:     hidden_global_offset_z
      - .offset:         104
        .size:           2
        .value_kind:     hidden_grid_dims
    .group_segment_fixed_size: 0
    .kernarg_segment_align: 8
    .kernarg_segment_size: 296
    .language:       OpenCL C
    .language_version:
      - 2
      - 0
    .max_flat_workgroup_size: 1024
    .name:           _ZN9rocsolver6v33100L9copymatA1I19rocblas_complex_numIfEPS3_EEviiT0_iilPT_
    .private_segment_fixed_size: 0
    .sgpr_count:     24
    .sgpr_spill_count: 0
    .symbol:         _ZN9rocsolver6v33100L9copymatA1I19rocblas_complex_numIfEPS3_EEviiT0_iilPT_.kd
    .uniform_work_group_size: 1
    .uses_dynamic_stack: false
    .vgpr_count:     7
    .vgpr_spill_count: 0
    .wavefront_size: 64
  - .args:
      - .offset:         0
        .size:           4
        .value_kind:     by_value
      - .offset:         4
        .size:           4
        .value_kind:     by_value
      - .address_space:  global
        .offset:         8
        .size:           8
        .value_kind:     global_buffer
      - .offset:         16
        .size:           4
        .value_kind:     by_value
      - .offset:         20
        .size:           4
        .value_kind:     by_value
      - .offset:         24
        .size:           8
        .value_kind:     by_value
      - .address_space:  global
        .offset:         32
        .size:           8
        .value_kind:     global_buffer
      - .offset:         40
        .size:           4
        .value_kind:     hidden_block_count_x
      - .offset:         44
        .size:           4
        .value_kind:     hidden_block_count_y
      - .offset:         48
        .size:           4
        .value_kind:     hidden_block_count_z
      - .offset:         52
        .size:           2
        .value_kind:     hidden_group_size_x
      - .offset:         54
        .size:           2
        .value_kind:     hidden_group_size_y
      - .offset:         56
        .size:           2
        .value_kind:     hidden_group_size_z
      - .offset:         58
        .size:           2
        .value_kind:     hidden_remainder_x
      - .offset:         60
        .size:           2
        .value_kind:     hidden_remainder_y
      - .offset:         62
        .size:           2
        .value_kind:     hidden_remainder_z
      - .offset:         80
        .size:           8
        .value_kind:     hidden_global_offset_x
      - .offset:         88
        .size:           8
        .value_kind:     hidden_global_offset_y
      - .offset:         96
        .size:           8
        .value_kind:     hidden_global_offset_z
      - .offset:         104
        .size:           2
        .value_kind:     hidden_grid_dims
    .group_segment_fixed_size: 0
    .kernarg_segment_align: 8
    .kernarg_segment_size: 296
    .language:       OpenCL C
    .language_version:
      - 2
      - 0
    .max_flat_workgroup_size: 1024
    .name:           _ZN9rocsolver6v33100L8addmatA1I19rocblas_complex_numIfEPS3_EEviiT0_iilPT_
    .private_segment_fixed_size: 0
    .sgpr_count:     24
    .sgpr_spill_count: 0
    .symbol:         _ZN9rocsolver6v33100L8addmatA1I19rocblas_complex_numIfEPS3_EEviiT0_iilPT_.kd
    .uniform_work_group_size: 1
    .uses_dynamic_stack: false
    .vgpr_count:     8
    .vgpr_spill_count: 0
    .wavefront_size: 64
  - .args:
      - .offset:         0
        .size:           4
        .value_kind:     by_value
      - .address_space:  global
        .offset:         8
        .size:           8
        .value_kind:     global_buffer
      - .offset:         16
        .size:           8
        .value_kind:     by_value
      - .address_space:  global
        .offset:         24
        .size:           8
        .value_kind:     global_buffer
      - .offset:         32
        .size:           4
        .value_kind:     by_value
      - .offset:         40
        .size:           8
        .value_kind:     by_value
      - .address_space:  global
        .offset:         48
        .size:           8
        .value_kind:     global_buffer
      - .offset:         56
        .size:           4
        .value_kind:     by_value
      - .offset:         64
        .size:           8
        .value_kind:     by_value
      - .offset:         72
        .size:           4
        .value_kind:     hidden_block_count_x
      - .offset:         76
        .size:           4
        .value_kind:     hidden_block_count_y
      - .offset:         80
        .size:           4
        .value_kind:     hidden_block_count_z
      - .offset:         84
        .size:           2
        .value_kind:     hidden_group_size_x
      - .offset:         86
        .size:           2
        .value_kind:     hidden_group_size_y
      - .offset:         88
        .size:           2
        .value_kind:     hidden_group_size_z
      - .offset:         90
        .size:           2
        .value_kind:     hidden_remainder_x
      - .offset:         92
        .size:           2
        .value_kind:     hidden_remainder_y
      - .offset:         94
        .size:           2
        .value_kind:     hidden_remainder_z
      - .offset:         112
        .size:           8
        .value_kind:     hidden_global_offset_x
      - .offset:         120
        .size:           8
        .value_kind:     hidden_global_offset_y
      - .offset:         128
        .size:           8
        .value_kind:     hidden_global_offset_z
      - .offset:         136
        .size:           2
        .value_kind:     hidden_grid_dims
    .group_segment_fixed_size: 0
    .kernarg_segment_align: 8
    .kernarg_segment_size: 328
    .language:       OpenCL C
    .language_version:
      - 2
      - 0
    .max_flat_workgroup_size: 1024
    .name:           _ZN9rocsolver6v33100L15gesvdj_finalizeI19rocblas_complex_numIfEfEEviPT0_lPT_ilS7_il
    .private_segment_fixed_size: 0
    .sgpr_count:     26
    .sgpr_spill_count: 0
    .symbol:         _ZN9rocsolver6v33100L15gesvdj_finalizeI19rocblas_complex_numIfEfEEviPT0_lPT_ilS7_il.kd
    .uniform_work_group_size: 1
    .uses_dynamic_stack: false
    .vgpr_count:     7
    .vgpr_spill_count: 0
    .wavefront_size: 64
  - .args:
      - .offset:         0
        .size:           4
        .value_kind:     by_value
      - .offset:         4
        .size:           4
        .value_kind:     by_value
      - .offset:         8
        .size:           4
        .value_kind:     by_value
      - .address_space:  global
        .offset:         16
        .size:           8
        .value_kind:     global_buffer
      - .offset:         24
        .size:           4
        .value_kind:     by_value
      - .offset:         28
        .size:           4
        .value_kind:     by_value
      - .offset:         32
        .size:           8
        .value_kind:     by_value
      - .offset:         40
        .size:           4
        .value_kind:     hidden_block_count_x
      - .offset:         44
        .size:           4
        .value_kind:     hidden_block_count_y
      - .offset:         48
        .size:           4
        .value_kind:     hidden_block_count_z
      - .offset:         52
        .size:           2
        .value_kind:     hidden_group_size_x
      - .offset:         54
        .size:           2
        .value_kind:     hidden_group_size_y
      - .offset:         56
        .size:           2
        .value_kind:     hidden_group_size_z
      - .offset:         58
        .size:           2
        .value_kind:     hidden_remainder_x
      - .offset:         60
        .size:           2
        .value_kind:     hidden_remainder_y
      - .offset:         62
        .size:           2
        .value_kind:     hidden_remainder_z
      - .offset:         80
        .size:           8
        .value_kind:     hidden_global_offset_x
      - .offset:         88
        .size:           8
        .value_kind:     hidden_global_offset_y
      - .offset:         96
        .size:           8
        .value_kind:     hidden_global_offset_z
      - .offset:         104
        .size:           2
        .value_kind:     hidden_grid_dims
    .group_segment_fixed_size: 0
    .kernarg_segment_align: 8
    .kernarg_segment_size: 296
    .language:       OpenCL C
    .language_version:
      - 2
      - 0
    .max_flat_workgroup_size: 1024
    .name:           _ZN9rocsolver6v33100L16org2r_init_identI19rocblas_complex_numIfEPS3_EEviiiT0_iil
    .private_segment_fixed_size: 0
    .sgpr_count:     20
    .sgpr_spill_count: 0
    .symbol:         _ZN9rocsolver6v33100L16org2r_init_identI19rocblas_complex_numIfEPS3_EEviiiT0_iil.kd
    .uniform_work_group_size: 1
    .uses_dynamic_stack: false
    .vgpr_count:     5
    .vgpr_spill_count: 0
    .wavefront_size: 64
  - .args:
      - .offset:         0
        .size:           4
        .value_kind:     by_value
      - .offset:         4
        .size:           4
        .value_kind:     by_value
      - .address_space:  global
        .offset:         8
        .size:           8
        .value_kind:     global_buffer
      - .offset:         16
        .size:           4
        .value_kind:     by_value
      - .offset:         20
        .size:           4
        .value_kind:     by_value
      - .offset:         24
        .size:           8
        .value_kind:     by_value
      - .address_space:  global
        .offset:         32
        .size:           8
        .value_kind:     global_buffer
      - .offset:         40
        .size:           8
        .value_kind:     by_value
    .group_segment_fixed_size: 0
    .kernarg_segment_align: 8
    .kernarg_segment_size: 48
    .language:       OpenCL C
    .language_version:
      - 2
      - 0
    .max_flat_workgroup_size: 1024
    .name:           _ZN9rocsolver6v33100L12subtract_tauI19rocblas_complex_numIfEPS3_EEviiT0_iilPT_l
    .private_segment_fixed_size: 0
    .sgpr_count:     20
    .sgpr_spill_count: 0
    .symbol:         _ZN9rocsolver6v33100L12subtract_tauI19rocblas_complex_numIfEPS3_EEviiT0_iilPT_l.kd
    .uniform_work_group_size: 1
    .uses_dynamic_stack: false
    .vgpr_count:     3
    .vgpr_spill_count: 0
    .wavefront_size: 64
  - .args:
      - .offset:         0
        .size:           4
        .value_kind:     by_value
      - .address_space:  global
        .offset:         8
        .size:           8
        .value_kind:     global_buffer
      - .offset:         16
        .size:           8
        .value_kind:     by_value
      - .offset:         24
        .size:           4
        .value_kind:     hidden_block_count_x
      - .offset:         28
        .size:           4
        .value_kind:     hidden_block_count_y
      - .offset:         32
        .size:           4
        .value_kind:     hidden_block_count_z
      - .offset:         36
        .size:           2
        .value_kind:     hidden_group_size_x
      - .offset:         38
        .size:           2
        .value_kind:     hidden_group_size_y
      - .offset:         40
        .size:           2
        .value_kind:     hidden_group_size_z
      - .offset:         42
        .size:           2
        .value_kind:     hidden_remainder_x
      - .offset:         44
        .size:           2
        .value_kind:     hidden_remainder_y
      - .offset:         46
        .size:           2
        .value_kind:     hidden_remainder_z
      - .offset:         64
        .size:           8
        .value_kind:     hidden_global_offset_x
      - .offset:         72
        .size:           8
        .value_kind:     hidden_global_offset_y
      - .offset:         80
        .size:           8
        .value_kind:     hidden_global_offset_z
      - .offset:         88
        .size:           2
        .value_kind:     hidden_grid_dims
    .group_segment_fixed_size: 0
    .kernarg_segment_align: 8
    .kernarg_segment_size: 280
    .language:       OpenCL C
    .language_version:
      - 2
      - 0
    .max_flat_workgroup_size: 1024
    .name:           _ZN9rocsolver6v33100L6restauI19rocblas_complex_numIfEEEviPT_l
    .private_segment_fixed_size: 0
    .sgpr_count:     12
    .sgpr_spill_count: 0
    .symbol:         _ZN9rocsolver6v33100L6restauI19rocblas_complex_numIfEEEviPT_l.kd
    .uniform_work_group_size: 1
    .uses_dynamic_stack: false
    .vgpr_count:     4
    .vgpr_spill_count: 0
    .wavefront_size: 64
  - .args:
      - .offset:         0
        .size:           4
        .value_kind:     by_value
      - .offset:         4
        .size:           4
        .value_kind:     by_value
      - .address_space:  global
        .offset:         8
        .size:           8
        .value_kind:     global_buffer
      - .offset:         16
        .size:           4
        .value_kind:     by_value
      - .offset:         20
        .size:           4
        .value_kind:     by_value
      - .offset:         24
        .size:           8
        .value_kind:     by_value
      - .offset:         32
        .size:           4
        .value_kind:     by_value
      - .offset:         40
        .size:           4
        .value_kind:     hidden_block_count_x
      - .offset:         44
        .size:           4
        .value_kind:     hidden_block_count_y
      - .offset:         48
        .size:           4
        .value_kind:     hidden_block_count_z
      - .offset:         52
        .size:           2
        .value_kind:     hidden_group_size_x
      - .offset:         54
        .size:           2
        .value_kind:     hidden_group_size_y
      - .offset:         56
        .size:           2
        .value_kind:     hidden_group_size_z
      - .offset:         58
        .size:           2
        .value_kind:     hidden_remainder_x
      - .offset:         60
        .size:           2
        .value_kind:     hidden_remainder_y
      - .offset:         62
        .size:           2
        .value_kind:     hidden_remainder_z
      - .offset:         80
        .size:           8
        .value_kind:     hidden_global_offset_x
      - .offset:         88
        .size:           8
        .value_kind:     hidden_global_offset_y
      - .offset:         96
        .size:           8
        .value_kind:     hidden_global_offset_z
      - .offset:         104
        .size:           2
        .value_kind:     hidden_grid_dims
    .group_segment_fixed_size: 0
    .kernarg_segment_align: 8
    .kernarg_segment_size: 296
    .language:       OpenCL C
    .language_version:
      - 2
      - 0
    .max_flat_workgroup_size: 1024
    .name:           _ZN9rocsolver6v33100L8set_zeroI19rocblas_complex_numIfEPS3_EEviiT0_iil13rocblas_fill_
    .private_segment_fixed_size: 0
    .sgpr_count:     13
    .sgpr_spill_count: 0
    .symbol:         _ZN9rocsolver6v33100L8set_zeroI19rocblas_complex_numIfEPS3_EEviiT0_iil13rocblas_fill_.kd
    .uniform_work_group_size: 1
    .uses_dynamic_stack: false
    .vgpr_count:     4
    .vgpr_spill_count: 0
    .wavefront_size: 64
  - .args:
      - .offset:         0
        .size:           4
        .value_kind:     by_value
      - .offset:         4
        .size:           4
        .value_kind:     by_value
      - .offset:         8
        .size:           4
        .value_kind:     by_value
      - .address_space:  global
        .offset:         16
        .size:           8
        .value_kind:     global_buffer
      - .offset:         24
        .size:           4
        .value_kind:     by_value
      - .offset:         28
        .size:           4
        .value_kind:     by_value
      - .offset:         32
        .size:           8
        .value_kind:     by_value
      - .address_space:  global
        .offset:         40
        .size:           8
        .value_kind:     global_buffer
      - .offset:         48
        .size:           4
        .value_kind:     by_value
      - .offset:         52
        .size:           4
        .value_kind:     by_value
      - .offset:         56
        .size:           8
        .value_kind:     by_value
      - .offset:         64
        .size:           1
        .value_kind:     by_value
      - .offset:         68
        .size:           4
        .value_kind:     by_value
      - .offset:         72
        .size:           4
        .value_kind:     by_value
      - .offset:         80
        .size:           4
        .value_kind:     hidden_block_count_x
      - .offset:         84
        .size:           4
        .value_kind:     hidden_block_count_y
      - .offset:         88
        .size:           4
        .value_kind:     hidden_block_count_z
      - .offset:         92
        .size:           2
        .value_kind:     hidden_group_size_x
      - .offset:         94
        .size:           2
        .value_kind:     hidden_group_size_y
      - .offset:         96
        .size:           2
        .value_kind:     hidden_group_size_z
      - .offset:         98
        .size:           2
        .value_kind:     hidden_remainder_x
      - .offset:         100
        .size:           2
        .value_kind:     hidden_remainder_y
      - .offset:         102
        .size:           2
        .value_kind:     hidden_remainder_z
      - .offset:         120
        .size:           8
        .value_kind:     hidden_global_offset_x
      - .offset:         128
        .size:           8
        .value_kind:     hidden_global_offset_y
      - .offset:         136
        .size:           8
        .value_kind:     hidden_global_offset_z
      - .offset:         144
        .size:           2
        .value_kind:     hidden_grid_dims
    .group_segment_fixed_size: 0
    .kernarg_segment_align: 8
    .kernarg_segment_size: 336
    .language:       OpenCL C
    .language_version:
      - 2
      - 0
    .max_flat_workgroup_size: 1024
    .name:           _ZN9rocsolver6v33100L14copy_trans_matI19rocblas_complex_numIfES3_PS3_S4_NS0_7no_maskEEEv18rocblas_operation_iiT1_iilT2_iilT3_13rocblas_fill_17rocblas_diagonal_
    .private_segment_fixed_size: 0
    .sgpr_count:     28
    .sgpr_spill_count: 0
    .symbol:         _ZN9rocsolver6v33100L14copy_trans_matI19rocblas_complex_numIfES3_PS3_S4_NS0_7no_maskEEEv18rocblas_operation_iiT1_iilT2_iilT3_13rocblas_fill_17rocblas_diagonal_.kd
    .uniform_work_group_size: 1
    .uses_dynamic_stack: false
    .vgpr_count:     9
    .vgpr_spill_count: 0
    .wavefront_size: 64
  - .args:
      - .address_space:  global
        .offset:         0
        .size:           8
        .value_kind:     global_buffer
      - .offset:         8
        .size:           8
        .value_kind:     by_value
      - .offset:         16
        .size:           8
        .value_kind:     by_value
      - .address_space:  global
        .offset:         24
        .size:           8
        .value_kind:     global_buffer
      - .offset:         32
        .size:           8
        .value_kind:     by_value
      - .offset:         40
        .size:           4
        .value_kind:     by_value
      - .offset:         48
        .size:           8
        .value_kind:     by_value
      - .offset:         56
        .size:           4
        .value_kind:     by_value
      - .offset:         60
        .size:           1
        .value_kind:     by_value
      - .offset:         64
        .size:           4
        .value_kind:     hidden_block_count_x
      - .offset:         68
        .size:           4
        .value_kind:     hidden_block_count_y
      - .offset:         72
        .size:           4
        .value_kind:     hidden_block_count_z
      - .offset:         76
        .size:           2
        .value_kind:     hidden_group_size_x
      - .offset:         78
        .size:           2
        .value_kind:     hidden_group_size_y
      - .offset:         80
        .size:           2
        .value_kind:     hidden_group_size_z
      - .offset:         82
        .size:           2
        .value_kind:     hidden_remainder_x
      - .offset:         84
        .size:           2
        .value_kind:     hidden_remainder_y
      - .offset:         86
        .size:           2
        .value_kind:     hidden_remainder_z
      - .offset:         104
        .size:           8
        .value_kind:     hidden_global_offset_x
      - .offset:         112
        .size:           8
        .value_kind:     hidden_global_offset_y
      - .offset:         120
        .size:           8
        .value_kind:     hidden_global_offset_z
      - .offset:         128
        .size:           2
        .value_kind:     hidden_grid_dims
    .group_segment_fixed_size: 0
    .kernarg_segment_align: 8
    .kernarg_segment_size: 320
    .language:       OpenCL C
    .language_version:
      - 2
      - 0
    .max_flat_workgroup_size: 1024
    .name:           _ZN9rocsolver6v33100L8set_diagI19rocblas_complex_numIfEiS3_PS3_TnNSt9enable_ifIXoont18rocblas_is_complexIT_E18rocblas_is_complexIT1_EEiE4typeELi0EEEvPS7_llT2_lT0_lSC_b
    .private_segment_fixed_size: 0
    .sgpr_count:     23
    .sgpr_spill_count: 0
    .symbol:         _ZN9rocsolver6v33100L8set_diagI19rocblas_complex_numIfEiS3_PS3_TnNSt9enable_ifIXoont18rocblas_is_complexIT_E18rocblas_is_complexIT1_EEiE4typeELi0EEEvPS7_llT2_lT0_lSC_b.kd
    .uniform_work_group_size: 1
    .uses_dynamic_stack: false
    .vgpr_count:     7
    .vgpr_spill_count: 0
    .wavefront_size: 64
  - .args:
      - .address_space:  global
        .offset:         0
        .size:           8
        .value_kind:     global_buffer
      - .offset:         8
        .size:           8
        .value_kind:     by_value
      - .offset:         16
        .size:           8
        .value_kind:     by_value
      - .address_space:  global
        .offset:         24
        .size:           8
        .value_kind:     global_buffer
      - .offset:         32
        .size:           8
        .value_kind:     by_value
      - .offset:         40
        .size:           4
        .value_kind:     by_value
      - .offset:         48
        .size:           8
        .value_kind:     by_value
      - .offset:         56
        .size:           4
        .value_kind:     by_value
      - .offset:         64
        .size:           4
        .value_kind:     hidden_block_count_x
      - .offset:         68
        .size:           4
        .value_kind:     hidden_block_count_y
      - .offset:         72
        .size:           4
        .value_kind:     hidden_block_count_z
      - .offset:         76
        .size:           2
        .value_kind:     hidden_group_size_x
      - .offset:         78
        .size:           2
        .value_kind:     hidden_group_size_y
      - .offset:         80
        .size:           2
        .value_kind:     hidden_group_size_z
      - .offset:         82
        .size:           2
        .value_kind:     hidden_remainder_x
      - .offset:         84
        .size:           2
        .value_kind:     hidden_remainder_y
      - .offset:         86
        .size:           2
        .value_kind:     hidden_remainder_z
      - .offset:         104
        .size:           8
        .value_kind:     hidden_global_offset_x
      - .offset:         112
        .size:           8
        .value_kind:     hidden_global_offset_y
      - .offset:         120
        .size:           8
        .value_kind:     hidden_global_offset_z
      - .offset:         128
        .size:           2
        .value_kind:     hidden_grid_dims
    .group_segment_fixed_size: 0
    .kernarg_segment_align: 8
    .kernarg_segment_size: 320
    .language:       OpenCL C
    .language_version:
      - 2
      - 0
    .max_flat_workgroup_size: 1024
    .name:           _ZN9rocsolver6v33100L12restore_diagI19rocblas_complex_numIfEiS3_PS3_EEvPT1_llT2_lT0_lS8_
    .private_segment_fixed_size: 0
    .sgpr_count:     21
    .sgpr_spill_count: 0
    .symbol:         _ZN9rocsolver6v33100L12restore_diagI19rocblas_complex_numIfEiS3_PS3_EEvPT1_llT2_lT0_lS8_.kd
    .uniform_work_group_size: 1
    .uses_dynamic_stack: false
    .vgpr_count:     5
    .vgpr_spill_count: 0
    .wavefront_size: 64
  - .args:
      - .offset:         0
        .size:           4
        .value_kind:     by_value
      - .offset:         4
        .size:           4
        .value_kind:     by_value
      - .offset:         8
        .size:           4
        .value_kind:     by_value
      - .address_space:  global
        .offset:         16
        .size:           8
        .value_kind:     global_buffer
      - .offset:         24
        .size:           4
        .value_kind:     by_value
      - .offset:         28
        .size:           4
        .value_kind:     by_value
      - .offset:         32
        .size:           8
        .value_kind:     by_value
      - .offset:         40
        .size:           4
        .value_kind:     hidden_block_count_x
      - .offset:         44
        .size:           4
        .value_kind:     hidden_block_count_y
      - .offset:         48
        .size:           4
        .value_kind:     hidden_block_count_z
      - .offset:         52
        .size:           2
        .value_kind:     hidden_group_size_x
      - .offset:         54
        .size:           2
        .value_kind:     hidden_group_size_y
      - .offset:         56
        .size:           2
        .value_kind:     hidden_group_size_z
      - .offset:         58
        .size:           2
        .value_kind:     hidden_remainder_x
      - .offset:         60
        .size:           2
        .value_kind:     hidden_remainder_y
      - .offset:         62
        .size:           2
        .value_kind:     hidden_remainder_z
      - .offset:         80
        .size:           8
        .value_kind:     hidden_global_offset_x
      - .offset:         88
        .size:           8
        .value_kind:     hidden_global_offset_y
      - .offset:         96
        .size:           8
        .value_kind:     hidden_global_offset_z
      - .offset:         104
        .size:           2
        .value_kind:     hidden_grid_dims
    .group_segment_fixed_size: 0
    .kernarg_segment_align: 8
    .kernarg_segment_size: 296
    .language:       OpenCL C
    .language_version:
      - 2
      - 0
    .max_flat_workgroup_size: 1024
    .name:           _ZN9rocsolver6v33100L16orgl2_init_identI19rocblas_complex_numIfEPS3_EEviiiT0_iil
    .private_segment_fixed_size: 0
    .sgpr_count:     20
    .sgpr_spill_count: 0
    .symbol:         _ZN9rocsolver6v33100L16orgl2_init_identI19rocblas_complex_numIfEPS3_EEviiiT0_iil.kd
    .uniform_work_group_size: 1
    .uses_dynamic_stack: false
    .vgpr_count:     5
    .vgpr_spill_count: 0
    .wavefront_size: 64
  - .args:
      - .address_space:  global
        .offset:         0
        .size:           8
        .value_kind:     global_buffer
      - .offset:         8
        .size:           4
        .value_kind:     by_value
      - .offset:         16
        .size:           16
        .value_kind:     by_value
    .group_segment_fixed_size: 0
    .kernarg_segment_align: 8
    .kernarg_segment_size: 32
    .language:       OpenCL C
    .language_version:
      - 2
      - 0
    .max_flat_workgroup_size: 32
    .name:           _ZN9rocsolver6v33100L6iota_nI19rocblas_complex_numIdEEEvPT_jS4_
    .private_segment_fixed_size: 0
    .sgpr_count:     10
    .sgpr_spill_count: 0
    .symbol:         _ZN9rocsolver6v33100L6iota_nI19rocblas_complex_numIdEEEvPT_jS4_.kd
    .uniform_work_group_size: 1
    .uses_dynamic_stack: false
    .vgpr_count:     5
    .vgpr_spill_count: 0
    .wavefront_size: 64
  - .args:
      - .offset:         0
        .size:           4
        .value_kind:     by_value
      - .address_space:  global
        .offset:         8
        .size:           8
        .value_kind:     global_buffer
      - .offset:         16
        .size:           8
        .value_kind:     by_value
      - .address_space:  global
        .offset:         24
        .size:           8
        .value_kind:     global_buffer
      - .offset:         32
        .size:           8
        .value_kind:     by_value
      - .offset:         40
        .size:           4
        .value_kind:     by_value
      - .offset:         48
        .size:           4
        .value_kind:     hidden_block_count_x
      - .offset:         52
        .size:           4
        .value_kind:     hidden_block_count_y
      - .offset:         56
        .size:           4
        .value_kind:     hidden_block_count_z
      - .offset:         60
        .size:           2
        .value_kind:     hidden_group_size_x
      - .offset:         62
        .size:           2
        .value_kind:     hidden_group_size_y
      - .offset:         64
        .size:           2
        .value_kind:     hidden_group_size_z
      - .offset:         66
        .size:           2
        .value_kind:     hidden_remainder_x
      - .offset:         68
        .size:           2
        .value_kind:     hidden_remainder_y
      - .offset:         70
        .size:           2
        .value_kind:     hidden_remainder_z
      - .offset:         88
        .size:           8
        .value_kind:     hidden_global_offset_x
      - .offset:         96
        .size:           8
        .value_kind:     hidden_global_offset_y
      - .offset:         104
        .size:           8
        .value_kind:     hidden_global_offset_z
      - .offset:         112
        .size:           2
        .value_kind:     hidden_grid_dims
    .group_segment_fixed_size: 0
    .kernarg_segment_align: 8
    .kernarg_segment_size: 304
    .language:       OpenCL C
    .language_version:
      - 2
      - 0
    .max_flat_workgroup_size: 1024
    .name:           _ZN9rocsolver6v33100L16syev_scalar_caseI19rocblas_complex_numIdEdPS3_TnNSt9enable_ifIX18rocblas_is_complexIT_EEiE4typeELi0EEEv14rocblas_evect_T1_lPT0_li
    .private_segment_fixed_size: 0
    .sgpr_count:     20
    .sgpr_spill_count: 0
    .symbol:         _ZN9rocsolver6v33100L16syev_scalar_caseI19rocblas_complex_numIdEdPS3_TnNSt9enable_ifIX18rocblas_is_complexIT_EEiE4typeELi0EEEv14rocblas_evect_T1_lPT0_li.kd
    .uniform_work_group_size: 1
    .uses_dynamic_stack: false
    .vgpr_count:     9
    .vgpr_spill_count: 0
    .wavefront_size: 64
  - .args:
      - .offset:         0
        .size:           4
        .value_kind:     by_value
      - .offset:         4
        .size:           4
        .value_kind:     by_value
      - .offset:         8
        .size:           4
        .value_kind:     by_value
      - .offset:         12
        .size:           4
        .value_kind:     by_value
      - .address_space:  global
        .offset:         16
        .size:           8
        .value_kind:     global_buffer
      - .offset:         24
        .size:           4
        .value_kind:     by_value
      - .offset:         28
        .size:           4
        .value_kind:     by_value
      - .offset:         32
        .size:           8
        .value_kind:     by_value
      - .offset:         40
        .size:           8
        .value_kind:     by_value
      - .offset:         48
        .size:           8
        .value_kind:     by_value
      - .address_space:  global
        .offset:         56
        .size:           8
        .value_kind:     global_buffer
      - .offset:         64
        .size:           4
        .value_kind:     by_value
      - .address_space:  global
        .offset:         72
        .size:           8
        .value_kind:     global_buffer
      - .address_space:  global
        .offset:         80
        .size:           8
        .value_kind:     global_buffer
      - .offset:         88
        .size:           8
        .value_kind:     by_value
      - .address_space:  global
        .offset:         96
        .size:           8
        .value_kind:     global_buffer
      - .address_space:  global
        .offset:         104
        .size:           8
        .value_kind:     global_buffer
    .group_segment_fixed_size: 0
    .kernarg_segment_align: 8
    .kernarg_segment_size: 112
    .language:       OpenCL C
    .language_version:
      - 2
      - 0
    .max_flat_workgroup_size: 1024
    .name:           _ZN9rocsolver6v33100L18syevj_small_kernelI19rocblas_complex_numIdEdPS3_EEv14rocblas_esort_14rocblas_evect_13rocblas_fill_iT1_iilT0_S9_PS9_iPiSA_lSB_PT_
    .private_segment_fixed_size: 24
    .sgpr_count:     96
    .sgpr_spill_count: 0
    .symbol:         _ZN9rocsolver6v33100L18syevj_small_kernelI19rocblas_complex_numIdEdPS3_EEv14rocblas_esort_14rocblas_evect_13rocblas_fill_iT1_iilT0_S9_PS9_iPiSA_lSB_PT_.kd
    .uniform_work_group_size: 1
    .uses_dynamic_stack: false
    .vgpr_count:     61
    .vgpr_spill_count: 0
    .wavefront_size: 64
  - .args:
      - .offset:         0
        .size:           4
        .value_kind:     by_value
      - .offset:         4
        .size:           4
        .value_kind:     by_value
      - .offset:         8
        .size:           4
        .value_kind:     by_value
      - .offset:         12
        .size:           4
        .value_kind:     by_value
      - .address_space:  global
        .offset:         16
        .size:           8
        .value_kind:     global_buffer
      - .offset:         24
        .size:           4
        .value_kind:     by_value
      - .offset:         28
        .size:           4
        .value_kind:     by_value
      - .offset:         32
        .size:           8
        .value_kind:     by_value
      - .offset:         40
        .size:           8
        .value_kind:     by_value
      - .address_space:  global
        .offset:         48
        .size:           8
        .value_kind:     global_buffer
      - .address_space:  global
        .offset:         56
        .size:           8
        .value_kind:     global_buffer
      - .address_space:  global
        .offset:         64
        .size:           8
        .value_kind:     global_buffer
      - .address_space:  global
        .offset:         72
        .size:           8
        .value_kind:     global_buffer
      - .address_space:  global
        .offset:         80
        .size:           8
        .value_kind:     global_buffer
      - .address_space:  global
        .offset:         88
        .size:           8
        .value_kind:     global_buffer
      - .offset:         96
        .size:           4
        .value_kind:     hidden_block_count_x
      - .offset:         100
        .size:           4
        .value_kind:     hidden_block_count_y
      - .offset:         104
        .size:           4
        .value_kind:     hidden_block_count_z
      - .offset:         108
        .size:           2
        .value_kind:     hidden_group_size_x
      - .offset:         110
        .size:           2
        .value_kind:     hidden_group_size_y
      - .offset:         112
        .size:           2
        .value_kind:     hidden_group_size_z
      - .offset:         114
        .size:           2
        .value_kind:     hidden_remainder_x
      - .offset:         116
        .size:           2
        .value_kind:     hidden_remainder_y
      - .offset:         118
        .size:           2
        .value_kind:     hidden_remainder_z
      - .offset:         136
        .size:           8
        .value_kind:     hidden_global_offset_x
      - .offset:         144
        .size:           8
        .value_kind:     hidden_global_offset_y
      - .offset:         152
        .size:           8
        .value_kind:     hidden_global_offset_z
      - .offset:         160
        .size:           2
        .value_kind:     hidden_grid_dims
      - .offset:         216
        .size:           4
        .value_kind:     hidden_dynamic_lds_size
    .group_segment_fixed_size: 0
    .kernarg_segment_align: 8
    .kernarg_segment_size: 352
    .language:       OpenCL C
    .language_version:
      - 2
      - 0
    .max_flat_workgroup_size: 1024
    .name:           _ZN9rocsolver6v33100L10syevj_initI19rocblas_complex_numIdEdPS3_EEv14rocblas_evect_13rocblas_fill_iiT1_iilT0_PS8_PT_S9_PiSC_SC_
    .private_segment_fixed_size: 0
    .sgpr_count:     59
    .sgpr_spill_count: 0
    .symbol:         _ZN9rocsolver6v33100L10syevj_initI19rocblas_complex_numIdEdPS3_EEv14rocblas_evect_13rocblas_fill_iiT1_iilT0_PS8_PT_S9_PiSC_SC_.kd
    .uniform_work_group_size: 1
    .uses_dynamic_stack: false
    .vgpr_count:     37
    .vgpr_spill_count: 0
    .wavefront_size: 64
  - .args:
      - .offset:         0
        .size:           4
        .value_kind:     by_value
      - .address_space:  global
        .offset:         8
        .size:           8
        .value_kind:     global_buffer
      - .offset:         16
        .size:           4
        .value_kind:     by_value
      - .offset:         20
        .size:           4
        .value_kind:     by_value
      - .offset:         24
        .size:           8
        .value_kind:     by_value
      - .offset:         32
        .size:           8
        .value_kind:     by_value
      - .address_space:  global
        .offset:         40
        .size:           8
        .value_kind:     global_buffer
      - .address_space:  global
        .offset:         48
        .size:           8
        .value_kind:     global_buffer
      - .offset:         56
        .size:           4
        .value_kind:     hidden_block_count_x
      - .offset:         60
        .size:           4
        .value_kind:     hidden_block_count_y
      - .offset:         64
        .size:           4
        .value_kind:     hidden_block_count_z
      - .offset:         68
        .size:           2
        .value_kind:     hidden_group_size_x
      - .offset:         70
        .size:           2
        .value_kind:     hidden_group_size_y
      - .offset:         72
        .size:           2
        .value_kind:     hidden_group_size_z
      - .offset:         74
        .size:           2
        .value_kind:     hidden_remainder_x
      - .offset:         76
        .size:           2
        .value_kind:     hidden_remainder_y
      - .offset:         78
        .size:           2
        .value_kind:     hidden_remainder_z
      - .offset:         96
        .size:           8
        .value_kind:     hidden_global_offset_x
      - .offset:         104
        .size:           8
        .value_kind:     hidden_global_offset_y
      - .offset:         112
        .size:           8
        .value_kind:     hidden_global_offset_z
      - .offset:         120
        .size:           2
        .value_kind:     hidden_grid_dims
      - .offset:         176
        .size:           4
        .value_kind:     hidden_dynamic_lds_size
    .group_segment_fixed_size: 0
    .kernarg_segment_align: 8
    .kernarg_segment_size: 312
    .language:       OpenCL C
    .language_version:
      - 2
      - 0
    .max_flat_workgroup_size: 1024
    .name:           _ZN9rocsolver6v33100L17syevj_diag_kernelI19rocblas_complex_numIdEdPS3_EEviT1_iilT0_PT_Pi
    .private_segment_fixed_size: 0
    .sgpr_count:     44
    .sgpr_spill_count: 0
    .symbol:         _ZN9rocsolver6v33100L17syevj_diag_kernelI19rocblas_complex_numIdEdPS3_EEviT1_iilT0_PT_Pi.kd
    .uniform_work_group_size: 1
    .uses_dynamic_stack: false
    .vgpr_count:     53
    .vgpr_spill_count: 0
    .wavefront_size: 64
  - .args:
      - .offset:         0
        .size:           1
        .value_kind:     by_value
      - .offset:         4
        .size:           4
        .value_kind:     by_value
      - .address_space:  global
        .offset:         8
        .size:           8
        .value_kind:     global_buffer
      - .offset:         16
        .size:           4
        .value_kind:     by_value
      - .offset:         20
        .size:           4
        .value_kind:     by_value
      - .offset:         24
        .size:           8
        .value_kind:     by_value
      - .address_space:  global
        .offset:         32
        .size:           8
        .value_kind:     global_buffer
      - .address_space:  global
        .offset:         40
        .size:           8
        .value_kind:     global_buffer
      - .offset:         48
        .size:           4
        .value_kind:     hidden_block_count_x
      - .offset:         52
        .size:           4
        .value_kind:     hidden_block_count_y
      - .offset:         56
        .size:           4
        .value_kind:     hidden_block_count_z
      - .offset:         60
        .size:           2
        .value_kind:     hidden_group_size_x
      - .offset:         62
        .size:           2
        .value_kind:     hidden_group_size_y
      - .offset:         64
        .size:           2
        .value_kind:     hidden_group_size_z
      - .offset:         66
        .size:           2
        .value_kind:     hidden_remainder_x
      - .offset:         68
        .size:           2
        .value_kind:     hidden_remainder_y
      - .offset:         70
        .size:           2
        .value_kind:     hidden_remainder_z
      - .offset:         88
        .size:           8
        .value_kind:     hidden_global_offset_x
      - .offset:         96
        .size:           8
        .value_kind:     hidden_global_offset_y
      - .offset:         104
        .size:           8
        .value_kind:     hidden_global_offset_z
      - .offset:         112
        .size:           2
        .value_kind:     hidden_grid_dims
    .group_segment_fixed_size: 0
    .kernarg_segment_align: 8
    .kernarg_segment_size: 304
    .language:       OpenCL C
    .language_version:
      - 2
      - 0
    .max_flat_workgroup_size: 1024
    .name:           _ZN9rocsolver6v33100L21syevj_diag_rotate_orgILb0E19rocblas_complex_numIdEdPS3_EEvbiT2_iilPT0_Pi
    .private_segment_fixed_size: 0
    .sgpr_count:     24
    .sgpr_spill_count: 0
    .symbol:         _ZN9rocsolver6v33100L21syevj_diag_rotate_orgILb0E19rocblas_complex_numIdEdPS3_EEvbiT2_iilPT0_Pi.kd
    .uniform_work_group_size: 1
    .uses_dynamic_stack: false
    .vgpr_count:     21
    .vgpr_spill_count: 0
    .wavefront_size: 64
  - .args:
      - .offset:         0
        .size:           1
        .value_kind:     by_value
      - .offset:         4
        .size:           4
        .value_kind:     by_value
      - .address_space:  global
        .offset:         8
        .size:           8
        .value_kind:     global_buffer
      - .offset:         16
        .size:           4
        .value_kind:     by_value
      - .offset:         20
        .size:           4
        .value_kind:     by_value
      - .offset:         24
        .size:           8
        .value_kind:     by_value
      - .address_space:  global
        .offset:         32
        .size:           8
        .value_kind:     global_buffer
      - .address_space:  global
        .offset:         40
        .size:           8
        .value_kind:     global_buffer
      - .offset:         48
        .size:           4
        .value_kind:     hidden_block_count_x
      - .offset:         52
        .size:           4
        .value_kind:     hidden_block_count_y
      - .offset:         56
        .size:           4
        .value_kind:     hidden_block_count_z
      - .offset:         60
        .size:           2
        .value_kind:     hidden_group_size_x
      - .offset:         62
        .size:           2
        .value_kind:     hidden_group_size_y
      - .offset:         64
        .size:           2
        .value_kind:     hidden_group_size_z
      - .offset:         66
        .size:           2
        .value_kind:     hidden_remainder_x
      - .offset:         68
        .size:           2
        .value_kind:     hidden_remainder_y
      - .offset:         70
        .size:           2
        .value_kind:     hidden_remainder_z
      - .offset:         88
        .size:           8
        .value_kind:     hidden_global_offset_x
      - .offset:         96
        .size:           8
        .value_kind:     hidden_global_offset_y
      - .offset:         104
        .size:           8
        .value_kind:     hidden_global_offset_z
      - .offset:         112
        .size:           2
        .value_kind:     hidden_grid_dims
    .group_segment_fixed_size: 0
    .kernarg_segment_align: 8
    .kernarg_segment_size: 304
    .language:       OpenCL C
    .language_version:
      - 2
      - 0
    .max_flat_workgroup_size: 1024
    .name:           _ZN9rocsolver6v33100L21syevj_diag_rotate_orgILb1E19rocblas_complex_numIdEdPS3_EEvbiT2_iilPT0_Pi
    .private_segment_fixed_size: 0
    .sgpr_count:     24
    .sgpr_spill_count: 0
    .symbol:         _ZN9rocsolver6v33100L21syevj_diag_rotate_orgILb1E19rocblas_complex_numIdEdPS3_EEvbiT2_iilPT0_Pi.kd
    .uniform_work_group_size: 1
    .uses_dynamic_stack: false
    .vgpr_count:     21
    .vgpr_spill_count: 0
    .wavefront_size: 64
  - .args:
      - .offset:         0
        .size:           1
        .value_kind:     by_value
      - .offset:         4
        .size:           4
        .value_kind:     by_value
      - .offset:         8
        .size:           4
        .value_kind:     by_value
      - .address_space:  global
        .offset:         16
        .size:           8
        .value_kind:     global_buffer
      - .offset:         24
        .size:           4
        .value_kind:     by_value
      - .offset:         28
        .size:           4
        .value_kind:     by_value
      - .offset:         32
        .size:           8
        .value_kind:     by_value
      - .address_space:  global
        .offset:         40
        .size:           8
        .value_kind:     global_buffer
      - .address_space:  global
        .offset:         48
        .size:           8
        .value_kind:     global_buffer
      - .offset:         56
        .size:           4
        .value_kind:     by_value
      - .offset:         64
        .size:           4
        .value_kind:     hidden_block_count_x
      - .offset:         68
        .size:           4
        .value_kind:     hidden_block_count_y
      - .offset:         72
        .size:           4
        .value_kind:     hidden_block_count_z
      - .offset:         76
        .size:           2
        .value_kind:     hidden_group_size_x
      - .offset:         78
        .size:           2
        .value_kind:     hidden_group_size_y
      - .offset:         80
        .size:           2
        .value_kind:     hidden_group_size_z
      - .offset:         82
        .size:           2
        .value_kind:     hidden_remainder_x
      - .offset:         84
        .size:           2
        .value_kind:     hidden_remainder_y
      - .offset:         86
        .size:           2
        .value_kind:     hidden_remainder_z
      - .offset:         104
        .size:           8
        .value_kind:     hidden_global_offset_x
      - .offset:         112
        .size:           8
        .value_kind:     hidden_global_offset_y
      - .offset:         120
        .size:           8
        .value_kind:     hidden_global_offset_z
      - .offset:         128
        .size:           2
        .value_kind:     hidden_grid_dims
      - .offset:         144
        .size:           8
        .value_kind:     hidden_hostcall_buffer
      - .offset:         184
        .size:           4
        .value_kind:     hidden_dynamic_lds_size
    .group_segment_fixed_size: 0
    .kernarg_segment_align: 8
    .kernarg_segment_size: 320
    .language:       OpenCL C
    .language_version:
      - 2
      - 0
    .max_flat_workgroup_size: 1024
    .name:           _ZN9rocsolver6v33100L17syevj_diag_rotateILb0E19rocblas_complex_numIdEdPS3_EEvbiiT2_iilPT0_Pii
    .private_segment_fixed_size: 64
    .sgpr_count:     84
    .sgpr_spill_count: 0
    .symbol:         _ZN9rocsolver6v33100L17syevj_diag_rotateILb0E19rocblas_complex_numIdEdPS3_EEvbiiT2_iilPT0_Pii.kd
    .uniform_work_group_size: 1
    .uses_dynamic_stack: false
    .vgpr_count:     43
    .vgpr_spill_count: 0
    .wavefront_size: 64
  - .args:
      - .offset:         0
        .size:           1
        .value_kind:     by_value
      - .offset:         4
        .size:           4
        .value_kind:     by_value
      - .offset:         8
        .size:           4
        .value_kind:     by_value
      - .address_space:  global
        .offset:         16
        .size:           8
        .value_kind:     global_buffer
      - .offset:         24
        .size:           4
        .value_kind:     by_value
      - .offset:         28
        .size:           4
        .value_kind:     by_value
      - .offset:         32
        .size:           8
        .value_kind:     by_value
      - .address_space:  global
        .offset:         40
        .size:           8
        .value_kind:     global_buffer
      - .address_space:  global
        .offset:         48
        .size:           8
        .value_kind:     global_buffer
      - .offset:         56
        .size:           4
        .value_kind:     by_value
      - .offset:         64
        .size:           4
        .value_kind:     hidden_block_count_x
      - .offset:         68
        .size:           4
        .value_kind:     hidden_block_count_y
      - .offset:         72
        .size:           4
        .value_kind:     hidden_block_count_z
      - .offset:         76
        .size:           2
        .value_kind:     hidden_group_size_x
      - .offset:         78
        .size:           2
        .value_kind:     hidden_group_size_y
      - .offset:         80
        .size:           2
        .value_kind:     hidden_group_size_z
      - .offset:         82
        .size:           2
        .value_kind:     hidden_remainder_x
      - .offset:         84
        .size:           2
        .value_kind:     hidden_remainder_y
      - .offset:         86
        .size:           2
        .value_kind:     hidden_remainder_z
      - .offset:         104
        .size:           8
        .value_kind:     hidden_global_offset_x
      - .offset:         112
        .size:           8
        .value_kind:     hidden_global_offset_y
      - .offset:         120
        .size:           8
        .value_kind:     hidden_global_offset_z
      - .offset:         128
        .size:           2
        .value_kind:     hidden_grid_dims
      - .offset:         144
        .size:           8
        .value_kind:     hidden_hostcall_buffer
      - .offset:         184
        .size:           4
        .value_kind:     hidden_dynamic_lds_size
    .group_segment_fixed_size: 0
    .kernarg_segment_align: 8
    .kernarg_segment_size: 320
    .language:       OpenCL C
    .language_version:
      - 2
      - 0
    .max_flat_workgroup_size: 1024
    .name:           _ZN9rocsolver6v33100L17syevj_diag_rotateILb1E19rocblas_complex_numIdEdPS3_EEvbiiT2_iilPT0_Pii
    .private_segment_fixed_size: 64
    .sgpr_count:     82
    .sgpr_spill_count: 0
    .symbol:         _ZN9rocsolver6v33100L17syevj_diag_rotateILb1E19rocblas_complex_numIdEdPS3_EEvbiiT2_iilPT0_Pii.kd
    .uniform_work_group_size: 1
    .uses_dynamic_stack: false
    .vgpr_count:     43
    .vgpr_spill_count: 0
    .wavefront_size: 64
  - .args:
      - .offset:         0
        .size:           4
        .value_kind:     by_value
      - .offset:         4
        .size:           4
        .value_kind:     by_value
      - .address_space:  global
        .offset:         8
        .size:           8
        .value_kind:     global_buffer
      - .offset:         16
        .size:           4
        .value_kind:     by_value
      - .offset:         20
        .size:           4
        .value_kind:     by_value
      - .offset:         24
        .size:           8
        .value_kind:     by_value
      - .offset:         32
        .size:           8
        .value_kind:     by_value
      - .address_space:  global
        .offset:         40
        .size:           8
        .value_kind:     global_buffer
      - .address_space:  global
        .offset:         48
        .size:           8
        .value_kind:     global_buffer
      - .address_space:  global
        .offset:         56
        .size:           8
        .value_kind:     global_buffer
      - .address_space:  global
        .offset:         64
        .size:           8
        .value_kind:     global_buffer
      - .offset:         72
        .size:           4
        .value_kind:     hidden_block_count_x
      - .offset:         76
        .size:           4
        .value_kind:     hidden_block_count_y
      - .offset:         80
        .size:           4
        .value_kind:     hidden_block_count_z
      - .offset:         84
        .size:           2
        .value_kind:     hidden_group_size_x
      - .offset:         86
        .size:           2
        .value_kind:     hidden_group_size_y
      - .offset:         88
        .size:           2
        .value_kind:     hidden_group_size_z
      - .offset:         90
        .size:           2
        .value_kind:     hidden_remainder_x
      - .offset:         92
        .size:           2
        .value_kind:     hidden_remainder_y
      - .offset:         94
        .size:           2
        .value_kind:     hidden_remainder_z
      - .offset:         112
        .size:           8
        .value_kind:     hidden_global_offset_x
      - .offset:         120
        .size:           8
        .value_kind:     hidden_global_offset_y
      - .offset:         128
        .size:           8
        .value_kind:     hidden_global_offset_z
      - .offset:         136
        .size:           2
        .value_kind:     hidden_grid_dims
      - .offset:         192
        .size:           4
        .value_kind:     hidden_dynamic_lds_size
    .group_segment_fixed_size: 0
    .kernarg_segment_align: 8
    .kernarg_segment_size: 328
    .language:       OpenCL C
    .language_version:
      - 2
      - 0
    .max_flat_workgroup_size: 1024
    .name:           _ZN9rocsolver6v33100L21syevj_offd_kernel_orgI19rocblas_complex_numIdEdPS3_EEviiT1_iilT0_PT_PiS9_S9_
    .private_segment_fixed_size: 0
    .sgpr_count:     44
    .sgpr_spill_count: 0
    .symbol:         _ZN9rocsolver6v33100L21syevj_offd_kernel_orgI19rocblas_complex_numIdEdPS3_EEviiT1_iilT0_PT_PiS9_S9_.kd
    .uniform_work_group_size: 1
    .uses_dynamic_stack: false
    .vgpr_count:     63
    .vgpr_spill_count: 0
    .wavefront_size: 64
  - .args:
      - .offset:         0
        .size:           4
        .value_kind:     by_value
      - .offset:         4
        .size:           4
        .value_kind:     by_value
      - .address_space:  global
        .offset:         8
        .size:           8
        .value_kind:     global_buffer
      - .offset:         16
        .size:           4
        .value_kind:     by_value
      - .offset:         20
        .size:           4
        .value_kind:     by_value
      - .offset:         24
        .size:           8
        .value_kind:     by_value
      - .offset:         32
        .size:           8
        .value_kind:     by_value
      - .address_space:  global
        .offset:         40
        .size:           8
        .value_kind:     global_buffer
      - .address_space:  global
        .offset:         48
        .size:           8
        .value_kind:     global_buffer
      - .address_space:  global
        .offset:         56
        .size:           8
        .value_kind:     global_buffer
      - .address_space:  global
        .offset:         64
        .size:           8
        .value_kind:     global_buffer
      - .offset:         72
        .size:           4
        .value_kind:     by_value
      - .offset:         80
        .size:           4
        .value_kind:     hidden_block_count_x
      - .offset:         84
        .size:           4
        .value_kind:     hidden_block_count_y
      - .offset:         88
        .size:           4
        .value_kind:     hidden_block_count_z
      - .offset:         92
        .size:           2
        .value_kind:     hidden_group_size_x
      - .offset:         94
        .size:           2
        .value_kind:     hidden_group_size_y
      - .offset:         96
        .size:           2
        .value_kind:     hidden_group_size_z
      - .offset:         98
        .size:           2
        .value_kind:     hidden_remainder_x
      - .offset:         100
        .size:           2
        .value_kind:     hidden_remainder_y
      - .offset:         102
        .size:           2
        .value_kind:     hidden_remainder_z
      - .offset:         120
        .size:           8
        .value_kind:     hidden_global_offset_x
      - .offset:         128
        .size:           8
        .value_kind:     hidden_global_offset_y
      - .offset:         136
        .size:           8
        .value_kind:     hidden_global_offset_z
      - .offset:         144
        .size:           2
        .value_kind:     hidden_grid_dims
      - .offset:         200
        .size:           4
        .value_kind:     hidden_dynamic_lds_size
    .group_segment_fixed_size: 0
    .kernarg_segment_align: 8
    .kernarg_segment_size: 336
    .language:       OpenCL C
    .language_version:
      - 2
      - 0
    .max_flat_workgroup_size: 1024
    .name:           _ZN9rocsolver6v33100L17syevj_offd_kernelI19rocblas_complex_numIdEdPS3_EEviiT1_iilT0_PT_PiS9_S9_i
    .private_segment_fixed_size: 0
    .sgpr_count:     90
    .sgpr_spill_count: 0
    .symbol:         _ZN9rocsolver6v33100L17syevj_offd_kernelI19rocblas_complex_numIdEdPS3_EEviiT1_iilT0_PT_PiS9_S9_i.kd
    .uniform_work_group_size: 1
    .uses_dynamic_stack: false
    .vgpr_count:     60
    .vgpr_spill_count: 0
    .wavefront_size: 64
  - .args:
      - .offset:         0
        .size:           1
        .value_kind:     by_value
      - .offset:         4
        .size:           4
        .value_kind:     by_value
      - .offset:         8
        .size:           4
        .value_kind:     by_value
      - .address_space:  global
        .offset:         16
        .size:           8
        .value_kind:     global_buffer
      - .offset:         24
        .size:           4
        .value_kind:     by_value
      - .offset:         28
        .size:           4
        .value_kind:     by_value
      - .offset:         32
        .size:           8
        .value_kind:     by_value
      - .address_space:  global
        .offset:         40
        .size:           8
        .value_kind:     global_buffer
      - .address_space:  global
        .offset:         48
        .size:           8
        .value_kind:     global_buffer
      - .address_space:  global
        .offset:         56
        .size:           8
        .value_kind:     global_buffer
      - .address_space:  global
        .offset:         64
        .size:           8
        .value_kind:     global_buffer
      - .offset:         72
        .size:           4
        .value_kind:     hidden_block_count_x
      - .offset:         76
        .size:           4
        .value_kind:     hidden_block_count_y
      - .offset:         80
        .size:           4
        .value_kind:     hidden_block_count_z
      - .offset:         84
        .size:           2
        .value_kind:     hidden_group_size_x
      - .offset:         86
        .size:           2
        .value_kind:     hidden_group_size_y
      - .offset:         88
        .size:           2
        .value_kind:     hidden_group_size_z
      - .offset:         90
        .size:           2
        .value_kind:     hidden_remainder_x
      - .offset:         92
        .size:           2
        .value_kind:     hidden_remainder_y
      - .offset:         94
        .size:           2
        .value_kind:     hidden_remainder_z
      - .offset:         112
        .size:           8
        .value_kind:     hidden_global_offset_x
      - .offset:         120
        .size:           8
        .value_kind:     hidden_global_offset_y
      - .offset:         128
        .size:           8
        .value_kind:     hidden_global_offset_z
      - .offset:         136
        .size:           2
        .value_kind:     hidden_grid_dims
    .group_segment_fixed_size: 0
    .kernarg_segment_align: 8
    .kernarg_segment_size: 328
    .language:       OpenCL C
    .language_version:
      - 2
      - 0
    .max_flat_workgroup_size: 1024
    .name:           _ZN9rocsolver6v33100L21syevj_offd_rotate_orgILb0E19rocblas_complex_numIdEdPS3_EEvbiiT2_iilPT0_PiS8_S8_
    .private_segment_fixed_size: 0
    .sgpr_count:     26
    .sgpr_spill_count: 0
    .symbol:         _ZN9rocsolver6v33100L21syevj_offd_rotate_orgILb0E19rocblas_complex_numIdEdPS3_EEvbiiT2_iilPT0_PiS8_S8_.kd
    .uniform_work_group_size: 1
    .uses_dynamic_stack: false
    .vgpr_count:     26
    .vgpr_spill_count: 0
    .wavefront_size: 64
  - .args:
      - .offset:         0
        .size:           1
        .value_kind:     by_value
      - .offset:         4
        .size:           4
        .value_kind:     by_value
      - .offset:         8
        .size:           4
        .value_kind:     by_value
      - .address_space:  global
        .offset:         16
        .size:           8
        .value_kind:     global_buffer
      - .offset:         24
        .size:           4
        .value_kind:     by_value
      - .offset:         28
        .size:           4
        .value_kind:     by_value
      - .offset:         32
        .size:           8
        .value_kind:     by_value
      - .address_space:  global
        .offset:         40
        .size:           8
        .value_kind:     global_buffer
      - .address_space:  global
        .offset:         48
        .size:           8
        .value_kind:     global_buffer
      - .address_space:  global
        .offset:         56
        .size:           8
        .value_kind:     global_buffer
      - .address_space:  global
        .offset:         64
        .size:           8
        .value_kind:     global_buffer
      - .offset:         72
        .size:           4
        .value_kind:     by_value
      - .offset:         80
        .size:           4
        .value_kind:     hidden_block_count_x
      - .offset:         84
        .size:           4
        .value_kind:     hidden_block_count_y
      - .offset:         88
        .size:           4
        .value_kind:     hidden_block_count_z
      - .offset:         92
        .size:           2
        .value_kind:     hidden_group_size_x
      - .offset:         94
        .size:           2
        .value_kind:     hidden_group_size_y
      - .offset:         96
        .size:           2
        .value_kind:     hidden_group_size_z
      - .offset:         98
        .size:           2
        .value_kind:     hidden_remainder_x
      - .offset:         100
        .size:           2
        .value_kind:     hidden_remainder_y
      - .offset:         102
        .size:           2
        .value_kind:     hidden_remainder_z
      - .offset:         120
        .size:           8
        .value_kind:     hidden_global_offset_x
      - .offset:         128
        .size:           8
        .value_kind:     hidden_global_offset_y
      - .offset:         136
        .size:           8
        .value_kind:     hidden_global_offset_z
      - .offset:         144
        .size:           2
        .value_kind:     hidden_grid_dims
      - .offset:         200
        .size:           4
        .value_kind:     hidden_dynamic_lds_size
    .group_segment_fixed_size: 0
    .kernarg_segment_align: 8
    .kernarg_segment_size: 336
    .language:       OpenCL C
    .language_version:
      - 2
      - 0
    .max_flat_workgroup_size: 1024
    .name:           _ZN9rocsolver6v33100L17syevj_offd_rotateILb0E19rocblas_complex_numIdEdPS3_EEvbiiT2_iilPT0_PiS8_S8_i
    .private_segment_fixed_size: 0
    .sgpr_count:     83
    .sgpr_spill_count: 0
    .symbol:         _ZN9rocsolver6v33100L17syevj_offd_rotateILb0E19rocblas_complex_numIdEdPS3_EEvbiiT2_iilPT0_PiS8_S8_i.kd
    .uniform_work_group_size: 1
    .uses_dynamic_stack: false
    .vgpr_count:     28
    .vgpr_spill_count: 0
    .wavefront_size: 64
  - .args:
      - .offset:         0
        .size:           1
        .value_kind:     by_value
      - .offset:         4
        .size:           4
        .value_kind:     by_value
      - .offset:         8
        .size:           4
        .value_kind:     by_value
      - .address_space:  global
        .offset:         16
        .size:           8
        .value_kind:     global_buffer
      - .offset:         24
        .size:           4
        .value_kind:     by_value
      - .offset:         28
        .size:           4
        .value_kind:     by_value
      - .offset:         32
        .size:           8
        .value_kind:     by_value
      - .address_space:  global
        .offset:         40
        .size:           8
        .value_kind:     global_buffer
      - .address_space:  global
        .offset:         48
        .size:           8
        .value_kind:     global_buffer
      - .address_space:  global
        .offset:         56
        .size:           8
        .value_kind:     global_buffer
      - .address_space:  global
        .offset:         64
        .size:           8
        .value_kind:     global_buffer
      - .offset:         72
        .size:           4
        .value_kind:     hidden_block_count_x
      - .offset:         76
        .size:           4
        .value_kind:     hidden_block_count_y
      - .offset:         80
        .size:           4
        .value_kind:     hidden_block_count_z
      - .offset:         84
        .size:           2
        .value_kind:     hidden_group_size_x
      - .offset:         86
        .size:           2
        .value_kind:     hidden_group_size_y
      - .offset:         88
        .size:           2
        .value_kind:     hidden_group_size_z
      - .offset:         90
        .size:           2
        .value_kind:     hidden_remainder_x
      - .offset:         92
        .size:           2
        .value_kind:     hidden_remainder_y
      - .offset:         94
        .size:           2
        .value_kind:     hidden_remainder_z
      - .offset:         112
        .size:           8
        .value_kind:     hidden_global_offset_x
      - .offset:         120
        .size:           8
        .value_kind:     hidden_global_offset_y
      - .offset:         128
        .size:           8
        .value_kind:     hidden_global_offset_z
      - .offset:         136
        .size:           2
        .value_kind:     hidden_grid_dims
    .group_segment_fixed_size: 0
    .kernarg_segment_align: 8
    .kernarg_segment_size: 328
    .language:       OpenCL C
    .language_version:
      - 2
      - 0
    .max_flat_workgroup_size: 1024
    .name:           _ZN9rocsolver6v33100L21syevj_offd_rotate_orgILb1E19rocblas_complex_numIdEdPS3_EEvbiiT2_iilPT0_PiS8_S8_
    .private_segment_fixed_size: 0
    .sgpr_count:     26
    .sgpr_spill_count: 0
    .symbol:         _ZN9rocsolver6v33100L21syevj_offd_rotate_orgILb1E19rocblas_complex_numIdEdPS3_EEvbiiT2_iilPT0_PiS8_S8_.kd
    .uniform_work_group_size: 1
    .uses_dynamic_stack: false
    .vgpr_count:     26
    .vgpr_spill_count: 0
    .wavefront_size: 64
  - .args:
      - .offset:         0
        .size:           1
        .value_kind:     by_value
      - .offset:         4
        .size:           4
        .value_kind:     by_value
      - .offset:         8
        .size:           4
        .value_kind:     by_value
      - .address_space:  global
        .offset:         16
        .size:           8
        .value_kind:     global_buffer
      - .offset:         24
        .size:           4
        .value_kind:     by_value
      - .offset:         28
        .size:           4
        .value_kind:     by_value
      - .offset:         32
        .size:           8
        .value_kind:     by_value
      - .address_space:  global
        .offset:         40
        .size:           8
        .value_kind:     global_buffer
      - .address_space:  global
        .offset:         48
        .size:           8
        .value_kind:     global_buffer
      - .address_space:  global
        .offset:         56
        .size:           8
        .value_kind:     global_buffer
      - .address_space:  global
        .offset:         64
        .size:           8
        .value_kind:     global_buffer
      - .offset:         72
        .size:           4
        .value_kind:     by_value
      - .offset:         80
        .size:           4
        .value_kind:     hidden_block_count_x
      - .offset:         84
        .size:           4
        .value_kind:     hidden_block_count_y
      - .offset:         88
        .size:           4
        .value_kind:     hidden_block_count_z
      - .offset:         92
        .size:           2
        .value_kind:     hidden_group_size_x
      - .offset:         94
        .size:           2
        .value_kind:     hidden_group_size_y
      - .offset:         96
        .size:           2
        .value_kind:     hidden_group_size_z
      - .offset:         98
        .size:           2
        .value_kind:     hidden_remainder_x
      - .offset:         100
        .size:           2
        .value_kind:     hidden_remainder_y
      - .offset:         102
        .size:           2
        .value_kind:     hidden_remainder_z
      - .offset:         120
        .size:           8
        .value_kind:     hidden_global_offset_x
      - .offset:         128
        .size:           8
        .value_kind:     hidden_global_offset_y
      - .offset:         136
        .size:           8
        .value_kind:     hidden_global_offset_z
      - .offset:         144
        .size:           2
        .value_kind:     hidden_grid_dims
      - .offset:         200
        .size:           4
        .value_kind:     hidden_dynamic_lds_size
    .group_segment_fixed_size: 0
    .kernarg_segment_align: 8
    .kernarg_segment_size: 336
    .language:       OpenCL C
    .language_version:
      - 2
      - 0
    .max_flat_workgroup_size: 1024
    .name:           _ZN9rocsolver6v33100L17syevj_offd_rotateILb1E19rocblas_complex_numIdEdPS3_EEvbiiT2_iilPT0_PiS8_S8_i
    .private_segment_fixed_size: 0
    .sgpr_count:     82
    .sgpr_spill_count: 0
    .symbol:         _ZN9rocsolver6v33100L17syevj_offd_rotateILb1E19rocblas_complex_numIdEdPS3_EEvbiiT2_iilPT0_PiS8_S8_i.kd
    .uniform_work_group_size: 1
    .uses_dynamic_stack: false
    .vgpr_count:     29
    .vgpr_spill_count: 0
    .wavefront_size: 64
  - .args:
      - .offset:         0
        .size:           4
        .value_kind:     by_value
      - .address_space:  global
        .offset:         8
        .size:           8
        .value_kind:     global_buffer
      - .address_space:  global
        .offset:         16
        .size:           8
        .value_kind:     global_buffer
      - .offset:         24
        .size:           4
        .value_kind:     hidden_block_count_x
      - .offset:         28
        .size:           4
        .value_kind:     hidden_block_count_y
      - .offset:         32
        .size:           4
        .value_kind:     hidden_block_count_z
      - .offset:         36
        .size:           2
        .value_kind:     hidden_group_size_x
      - .offset:         38
        .size:           2
        .value_kind:     hidden_group_size_y
      - .offset:         40
        .size:           2
        .value_kind:     hidden_group_size_z
      - .offset:         42
        .size:           2
        .value_kind:     hidden_remainder_x
      - .offset:         44
        .size:           2
        .value_kind:     hidden_remainder_y
      - .offset:         46
        .size:           2
        .value_kind:     hidden_remainder_z
      - .offset:         64
        .size:           8
        .value_kind:     hidden_global_offset_x
      - .offset:         72
        .size:           8
        .value_kind:     hidden_global_offset_y
      - .offset:         80
        .size:           8
        .value_kind:     hidden_global_offset_z
      - .offset:         88
        .size:           2
        .value_kind:     hidden_grid_dims
    .group_segment_fixed_size: 0
    .kernarg_segment_align: 8
    .kernarg_segment_size: 280
    .language:       OpenCL C
    .language_version:
      - 2
      - 0
    .max_flat_workgroup_size: 1024
    .name:           _ZN9rocsolver6v33100L17syevj_cycle_pairsI19rocblas_complex_numIdEEEviPiS4_
    .private_segment_fixed_size: 0
    .sgpr_count:     20
    .sgpr_spill_count: 0
    .symbol:         _ZN9rocsolver6v33100L17syevj_cycle_pairsI19rocblas_complex_numIdEEEviPiS4_.kd
    .uniform_work_group_size: 1
    .uses_dynamic_stack: false
    .vgpr_count:     11
    .vgpr_spill_count: 0
    .wavefront_size: 64
  - .args:
      - .offset:         0
        .size:           4
        .value_kind:     by_value
      - .offset:         4
        .size:           4
        .value_kind:     by_value
      - .address_space:  global
        .offset:         8
        .size:           8
        .value_kind:     global_buffer
      - .address_space:  global
        .offset:         16
        .size:           8
        .value_kind:     global_buffer
      - .address_space:  global
        .offset:         24
        .size:           8
        .value_kind:     global_buffer
      - .address_space:  global
        .offset:         32
        .size:           8
        .value_kind:     global_buffer
      - .offset:         40
        .size:           4
        .value_kind:     hidden_block_count_x
      - .offset:         44
        .size:           4
        .value_kind:     hidden_block_count_y
      - .offset:         48
        .size:           4
        .value_kind:     hidden_block_count_z
      - .offset:         52
        .size:           2
        .value_kind:     hidden_group_size_x
      - .offset:         54
        .size:           2
        .value_kind:     hidden_group_size_y
      - .offset:         56
        .size:           2
        .value_kind:     hidden_group_size_z
      - .offset:         58
        .size:           2
        .value_kind:     hidden_remainder_x
      - .offset:         60
        .size:           2
        .value_kind:     hidden_remainder_y
      - .offset:         62
        .size:           2
        .value_kind:     hidden_remainder_z
      - .offset:         80
        .size:           8
        .value_kind:     hidden_global_offset_x
      - .offset:         88
        .size:           8
        .value_kind:     hidden_global_offset_y
      - .offset:         96
        .size:           8
        .value_kind:     hidden_global_offset_z
      - .offset:         104
        .size:           2
        .value_kind:     hidden_grid_dims
      - .offset:         160
        .size:           4
        .value_kind:     hidden_dynamic_lds_size
    .group_segment_fixed_size: 0
    .kernarg_segment_align: 8
    .kernarg_segment_size: 296
    .language:       OpenCL C
    .language_version:
      - 2
      - 0
    .max_flat_workgroup_size: 1024
    .name:           _ZN9rocsolver6v33100L15syevj_calc_normI19rocblas_complex_numIdEdEEviiPT0_PT_S5_Pi
    .private_segment_fixed_size: 0
    .sgpr_count:     30
    .sgpr_spill_count: 0
    .symbol:         _ZN9rocsolver6v33100L15syevj_calc_normI19rocblas_complex_numIdEdEEviiPT0_PT_S5_Pi.kd
    .uniform_work_group_size: 1
    .uses_dynamic_stack: false
    .vgpr_count:     13
    .vgpr_spill_count: 0
    .wavefront_size: 64
  - .args:
      - .offset:         0
        .size:           4
        .value_kind:     by_value
      - .offset:         4
        .size:           4
        .value_kind:     by_value
      - .offset:         8
        .size:           4
        .value_kind:     by_value
      - .address_space:  global
        .offset:         16
        .size:           8
        .value_kind:     global_buffer
      - .offset:         24
        .size:           4
        .value_kind:     by_value
      - .offset:         28
        .size:           4
        .value_kind:     by_value
      - .offset:         32
        .size:           8
        .value_kind:     by_value
      - .address_space:  global
        .offset:         40
        .size:           8
        .value_kind:     global_buffer
      - .offset:         48
        .size:           4
        .value_kind:     by_value
      - .address_space:  global
        .offset:         56
        .size:           8
        .value_kind:     global_buffer
      - .address_space:  global
        .offset:         64
        .size:           8
        .value_kind:     global_buffer
      - .offset:         72
        .size:           8
        .value_kind:     by_value
      - .address_space:  global
        .offset:         80
        .size:           8
        .value_kind:     global_buffer
      - .address_space:  global
        .offset:         88
        .size:           8
        .value_kind:     global_buffer
      - .address_space:  global
        .offset:         96
        .size:           8
        .value_kind:     global_buffer
      - .offset:         104
        .size:           4
        .value_kind:     hidden_block_count_x
      - .offset:         108
        .size:           4
        .value_kind:     hidden_block_count_y
      - .offset:         112
        .size:           4
        .value_kind:     hidden_block_count_z
      - .offset:         116
        .size:           2
        .value_kind:     hidden_group_size_x
      - .offset:         118
        .size:           2
        .value_kind:     hidden_group_size_y
      - .offset:         120
        .size:           2
        .value_kind:     hidden_group_size_z
      - .offset:         122
        .size:           2
        .value_kind:     hidden_remainder_x
      - .offset:         124
        .size:           2
        .value_kind:     hidden_remainder_y
      - .offset:         126
        .size:           2
        .value_kind:     hidden_remainder_z
      - .offset:         144
        .size:           8
        .value_kind:     hidden_global_offset_x
      - .offset:         152
        .size:           8
        .value_kind:     hidden_global_offset_y
      - .offset:         160
        .size:           8
        .value_kind:     hidden_global_offset_z
      - .offset:         168
        .size:           2
        .value_kind:     hidden_grid_dims
    .group_segment_fixed_size: 16384
    .kernarg_segment_align: 8
    .kernarg_segment_size: 360
    .language:       OpenCL C
    .language_version:
      - 2
      - 0
    .max_flat_workgroup_size: 1024
    .name:           _ZN9rocsolver6v33100L14syevj_finalizeI19rocblas_complex_numIdEdPS3_EEv14rocblas_esort_14rocblas_evect_iT1_iilPT0_iPiS9_lSA_PT_SA_
    .private_segment_fixed_size: 0
    .sgpr_count:     36
    .sgpr_spill_count: 0
    .symbol:         _ZN9rocsolver6v33100L14syevj_finalizeI19rocblas_complex_numIdEdPS3_EEv14rocblas_esort_14rocblas_evect_iT1_iilPT0_iPiS9_lSA_PT_SA_.kd
    .uniform_work_group_size: 1
    .uses_dynamic_stack: false
    .vgpr_count:     17
    .vgpr_spill_count: 0
    .wavefront_size: 64
  - .args:
      - .offset:         0
        .size:           4
        .value_kind:     by_value
      - .offset:         4
        .size:           4
        .value_kind:     by_value
      - .address_space:  global
        .offset:         8
        .size:           8
        .value_kind:     global_buffer
      - .offset:         16
        .size:           8
        .value_kind:     by_value
      - .offset:         24
        .size:           4
        .value_kind:     by_value
      - .offset:         32
        .size:           8
        .value_kind:     by_value
      - .address_space:  global
        .offset:         40
        .size:           8
        .value_kind:     global_buffer
      - .offset:         48
        .size:           8
        .value_kind:     by_value
      - .address_space:  global
        .offset:         56
        .size:           8
        .value_kind:     global_buffer
      - .offset:         64
        .size:           8
        .value_kind:     by_value
    .group_segment_fixed_size: 0
    .kernarg_segment_align: 8
    .kernarg_segment_size: 72
    .language:       OpenCL C
    .language_version:
      - 2
      - 0
    .max_flat_workgroup_size: 256
    .name:           _ZN9rocsolver6v33100L18geqr2_kernel_smallILi256E19rocblas_complex_numIdEidPS3_EEvT1_S5_T3_lS5_lPT2_lPT0_l
    .private_segment_fixed_size: 0
    .sgpr_count:     52
    .sgpr_spill_count: 0
    .symbol:         _ZN9rocsolver6v33100L18geqr2_kernel_smallILi256E19rocblas_complex_numIdEidPS3_EEvT1_S5_T3_lS5_lPT2_lPT0_l.kd
    .uniform_work_group_size: 1
    .uses_dynamic_stack: false
    .vgpr_count:     35
    .vgpr_spill_count: 0
    .wavefront_size: 64
  - .args:
      - .address_space:  global
        .offset:         0
        .size:           8
        .value_kind:     global_buffer
      - .offset:         8
        .size:           8
        .value_kind:     by_value
      - .offset:         16
        .size:           4
        .value_kind:     by_value
      - .offset:         20
        .size:           4
        .value_kind:     by_value
      - .offset:         24
        .size:           4
        .value_kind:     hidden_block_count_x
      - .offset:         28
        .size:           4
        .value_kind:     hidden_block_count_y
      - .offset:         32
        .size:           4
        .value_kind:     hidden_block_count_z
      - .offset:         36
        .size:           2
        .value_kind:     hidden_group_size_x
      - .offset:         38
        .size:           2
        .value_kind:     hidden_group_size_y
      - .offset:         40
        .size:           2
        .value_kind:     hidden_group_size_z
      - .offset:         42
        .size:           2
        .value_kind:     hidden_remainder_x
      - .offset:         44
        .size:           2
        .value_kind:     hidden_remainder_y
      - .offset:         46
        .size:           2
        .value_kind:     hidden_remainder_z
      - .offset:         64
        .size:           8
        .value_kind:     hidden_global_offset_x
      - .offset:         72
        .size:           8
        .value_kind:     hidden_global_offset_y
      - .offset:         80
        .size:           8
        .value_kind:     hidden_global_offset_z
      - .offset:         88
        .size:           2
        .value_kind:     hidden_grid_dims
    .group_segment_fixed_size: 0
    .kernarg_segment_align: 8
    .kernarg_segment_size: 280
    .language:       OpenCL C
    .language_version:
      - 2
      - 0
    .max_flat_workgroup_size: 1024
    .name:           _ZN9rocsolver6v33100L16reset_batch_infoI19rocblas_complex_numIdEiiPS3_EEvT2_lT0_T1_
    .private_segment_fixed_size: 0
    .sgpr_count:     16
    .sgpr_spill_count: 0
    .symbol:         _ZN9rocsolver6v33100L16reset_batch_infoI19rocblas_complex_numIdEiiPS3_EEvT2_lT0_T1_.kd
    .uniform_work_group_size: 1
    .uses_dynamic_stack: false
    .vgpr_count:     6
    .vgpr_spill_count: 0
    .wavefront_size: 64
  - .args:
      - .address_space:  global
        .offset:         0
        .size:           8
        .value_kind:     global_buffer
      - .offset:         8
        .size:           8
        .value_kind:     by_value
      - .offset:         16
        .size:           8
        .value_kind:     by_value
      - .address_space:  global
        .offset:         24
        .size:           8
        .value_kind:     global_buffer
      - .offset:         32
        .size:           8
        .value_kind:     by_value
      - .offset:         40
        .size:           4
        .value_kind:     by_value
      - .offset:         48
        .size:           8
        .value_kind:     by_value
      - .offset:         56
        .size:           4
        .value_kind:     by_value
      - .offset:         60
        .size:           1
        .value_kind:     by_value
      - .offset:         64
        .size:           4
        .value_kind:     hidden_block_count_x
      - .offset:         68
        .size:           4
        .value_kind:     hidden_block_count_y
      - .offset:         72
        .size:           4
        .value_kind:     hidden_block_count_z
      - .offset:         76
        .size:           2
        .value_kind:     hidden_group_size_x
      - .offset:         78
        .size:           2
        .value_kind:     hidden_group_size_y
      - .offset:         80
        .size:           2
        .value_kind:     hidden_group_size_z
      - .offset:         82
        .size:           2
        .value_kind:     hidden_remainder_x
      - .offset:         84
        .size:           2
        .value_kind:     hidden_remainder_y
      - .offset:         86
        .size:           2
        .value_kind:     hidden_remainder_z
      - .offset:         104
        .size:           8
        .value_kind:     hidden_global_offset_x
      - .offset:         112
        .size:           8
        .value_kind:     hidden_global_offset_y
      - .offset:         120
        .size:           8
        .value_kind:     hidden_global_offset_z
      - .offset:         128
        .size:           2
        .value_kind:     hidden_grid_dims
    .group_segment_fixed_size: 0
    .kernarg_segment_align: 8
    .kernarg_segment_size: 320
    .language:       OpenCL C
    .language_version:
      - 2
      - 0
    .max_flat_workgroup_size: 1024
    .name:           _ZN9rocsolver6v33100L8set_diagI19rocblas_complex_numIdEidPS3_TnNSt9enable_ifIXaa18rocblas_is_complexIT_Ent18rocblas_is_complexIT1_EEiE4typeELi0EEEvPS7_llT2_lT0_lSC_b
    .private_segment_fixed_size: 0
    .sgpr_count:     23
    .sgpr_spill_count: 0
    .symbol:         _ZN9rocsolver6v33100L8set_diagI19rocblas_complex_numIdEidPS3_TnNSt9enable_ifIXaa18rocblas_is_complexIT_Ent18rocblas_is_complexIT1_EEiE4typeELi0EEEvPS7_llT2_lT0_lSC_b.kd
    .uniform_work_group_size: 1
    .uses_dynamic_stack: false
    .vgpr_count:     7
    .vgpr_spill_count: 0
    .wavefront_size: 64
  - .args:
      - .address_space:  global
        .offset:         0
        .size:           8
        .value_kind:     global_buffer
      - .offset:         8
        .size:           8
        .value_kind:     by_value
      - .address_space:  global
        .offset:         16
        .size:           8
        .value_kind:     global_buffer
      - .address_space:  global
        .offset:         24
        .size:           8
        .value_kind:     global_buffer
      - .offset:         32
        .size:           8
        .value_kind:     by_value
      - .offset:         40
        .size:           8
        .value_kind:     by_value
      - .address_space:  global
        .offset:         48
        .size:           8
        .value_kind:     global_buffer
      - .offset:         56
        .size:           8
        .value_kind:     by_value
      - .offset:         64
        .size:           8
        .value_kind:     by_value
    .group_segment_fixed_size: 0
    .kernarg_segment_align: 8
    .kernarg_segment_size: 72
    .language:       OpenCL C
    .language_version:
      - 2
      - 0
    .max_flat_workgroup_size: 1024
    .name:           _ZN9rocsolver6v33100L11set_taubetaI19rocblas_complex_numIdEidPS3_EEvPT_lS6_T2_llPT1_ll
    .private_segment_fixed_size: 0
    .sgpr_count:     30
    .sgpr_spill_count: 0
    .symbol:         _ZN9rocsolver6v33100L11set_taubetaI19rocblas_complex_numIdEidPS3_EEvPT_lS6_T2_llPT1_ll.kd
    .uniform_work_group_size: 1
    .uses_dynamic_stack: false
    .vgpr_count:     17
    .vgpr_spill_count: 0
    .wavefront_size: 64
  - .args:
      - .offset:         0
        .size:           4
        .value_kind:     by_value
      - .offset:         4
        .size:           4
        .value_kind:     by_value
      - .address_space:  global
        .offset:         8
        .size:           8
        .value_kind:     global_buffer
      - .offset:         16
        .size:           8
        .value_kind:     by_value
      - .offset:         24
        .size:           4
        .value_kind:     by_value
      - .offset:         32
        .size:           8
        .value_kind:     by_value
      - .offset:         40
        .size:           4
        .value_kind:     hidden_block_count_x
      - .offset:         44
        .size:           4
        .value_kind:     hidden_block_count_y
      - .offset:         48
        .size:           4
        .value_kind:     hidden_block_count_z
      - .offset:         52
        .size:           2
        .value_kind:     hidden_group_size_x
      - .offset:         54
        .size:           2
        .value_kind:     hidden_group_size_y
      - .offset:         56
        .size:           2
        .value_kind:     hidden_group_size_z
      - .offset:         58
        .size:           2
        .value_kind:     hidden_remainder_x
      - .offset:         60
        .size:           2
        .value_kind:     hidden_remainder_y
      - .offset:         62
        .size:           2
        .value_kind:     hidden_remainder_z
      - .offset:         80
        .size:           8
        .value_kind:     hidden_global_offset_x
      - .offset:         88
        .size:           8
        .value_kind:     hidden_global_offset_y
      - .offset:         96
        .size:           8
        .value_kind:     hidden_global_offset_z
      - .offset:         104
        .size:           2
        .value_kind:     hidden_grid_dims
    .group_segment_fixed_size: 0
    .kernarg_segment_align: 8
    .kernarg_segment_size: 296
    .language:       OpenCL C
    .language_version:
      - 2
      - 0
    .max_flat_workgroup_size: 1024
    .name:           _ZN9rocsolver6v33100L13conj_in_placeI19rocblas_complex_numIdEiPS3_TnNSt9enable_ifIX18rocblas_is_complexIT_EEiE4typeELi0EEEvT0_S9_T1_lS9_l
    .private_segment_fixed_size: 0
    .sgpr_count:     14
    .sgpr_spill_count: 0
    .symbol:         _ZN9rocsolver6v33100L13conj_in_placeI19rocblas_complex_numIdEiPS3_TnNSt9enable_ifIX18rocblas_is_complexIT_EEiE4typeELi0EEEvT0_S9_T1_lS9_l.kd
    .uniform_work_group_size: 1
    .uses_dynamic_stack: false
    .vgpr_count:     7
    .vgpr_spill_count: 0
    .wavefront_size: 64
  - .args:
      - .offset:         0
        .size:           4
        .value_kind:     by_value
      - .offset:         4
        .size:           4
        .value_kind:     by_value
      - .address_space:  global
        .offset:         8
        .size:           8
        .value_kind:     global_buffer
      - .offset:         16
        .size:           8
        .value_kind:     by_value
      - .offset:         24
        .size:           4
        .value_kind:     by_value
      - .offset:         32
        .size:           8
        .value_kind:     by_value
      - .address_space:  global
        .offset:         40
        .size:           8
        .value_kind:     global_buffer
      - .offset:         48
        .size:           8
        .value_kind:     by_value
      - .address_space:  global
        .offset:         56
        .size:           8
        .value_kind:     global_buffer
      - .offset:         64
        .size:           8
        .value_kind:     by_value
      - .offset:         72
        .size:           4
        .value_kind:     by_value
      - .offset:         80
        .size:           8
        .value_kind:     by_value
    .group_segment_fixed_size: 0
    .kernarg_segment_align: 8
    .kernarg_segment_size: 88
    .language:       OpenCL C
    .language_version:
      - 2
      - 0
    .max_flat_workgroup_size: 1024
    .name:           _ZN9rocsolver6v33100L16larf_left_kernelILi1024E19rocblas_complex_numIdEiPS3_EEvT1_S5_T2_lS5_lPKT0_lS6_lS5_l
    .private_segment_fixed_size: 0
    .sgpr_count:     40
    .sgpr_spill_count: 0
    .symbol:         _ZN9rocsolver6v33100L16larf_left_kernelILi1024E19rocblas_complex_numIdEiPS3_EEvT1_S5_T2_lS5_lPKT0_lS6_lS5_l.kd
    .uniform_work_group_size: 1
    .uses_dynamic_stack: false
    .vgpr_count:     19
    .vgpr_spill_count: 0
    .wavefront_size: 64
  - .args:
      - .offset:         0
        .size:           4
        .value_kind:     by_value
      - .offset:         4
        .size:           4
        .value_kind:     by_value
      - .address_space:  global
        .offset:         8
        .size:           8
        .value_kind:     global_buffer
      - .offset:         16
        .size:           8
        .value_kind:     by_value
      - .offset:         24
        .size:           4
        .value_kind:     by_value
      - .offset:         32
        .size:           8
        .value_kind:     by_value
      - .address_space:  global
        .offset:         40
        .size:           8
        .value_kind:     global_buffer
      - .offset:         48
        .size:           8
        .value_kind:     by_value
      - .address_space:  global
        .offset:         56
        .size:           8
        .value_kind:     global_buffer
      - .offset:         64
        .size:           8
        .value_kind:     by_value
      - .offset:         72
        .size:           4
        .value_kind:     by_value
      - .offset:         80
        .size:           8
        .value_kind:     by_value
    .group_segment_fixed_size: 0
    .kernarg_segment_align: 8
    .kernarg_segment_size: 88
    .language:       OpenCL C
    .language_version:
      - 2
      - 0
    .max_flat_workgroup_size: 1024
    .name:           _ZN9rocsolver6v33100L17larf_right_kernelILi1024E19rocblas_complex_numIdEiPS3_EEvT1_S5_T2_lS5_lPKT0_lS6_lS5_l
    .private_segment_fixed_size: 0
    .sgpr_count:     40
    .sgpr_spill_count: 0
    .symbol:         _ZN9rocsolver6v33100L17larf_right_kernelILi1024E19rocblas_complex_numIdEiPS3_EEvT1_S5_T2_lS5_lPKT0_lS6_lS5_l.kd
    .uniform_work_group_size: 1
    .uses_dynamic_stack: false
    .vgpr_count:     21
    .vgpr_spill_count: 0
    .wavefront_size: 64
  - .args:
      - .address_space:  global
        .offset:         0
        .size:           8
        .value_kind:     global_buffer
      - .offset:         8
        .size:           8
        .value_kind:     by_value
      - .offset:         16
        .size:           8
        .value_kind:     by_value
      - .address_space:  global
        .offset:         24
        .size:           8
        .value_kind:     global_buffer
      - .offset:         32
        .size:           8
        .value_kind:     by_value
      - .offset:         40
        .size:           4
        .value_kind:     by_value
      - .offset:         48
        .size:           8
        .value_kind:     by_value
      - .offset:         56
        .size:           4
        .value_kind:     by_value
      - .offset:         64
        .size:           4
        .value_kind:     hidden_block_count_x
      - .offset:         68
        .size:           4
        .value_kind:     hidden_block_count_y
      - .offset:         72
        .size:           4
        .value_kind:     hidden_block_count_z
      - .offset:         76
        .size:           2
        .value_kind:     hidden_group_size_x
      - .offset:         78
        .size:           2
        .value_kind:     hidden_group_size_y
      - .offset:         80
        .size:           2
        .value_kind:     hidden_group_size_z
      - .offset:         82
        .size:           2
        .value_kind:     hidden_remainder_x
      - .offset:         84
        .size:           2
        .value_kind:     hidden_remainder_y
      - .offset:         86
        .size:           2
        .value_kind:     hidden_remainder_z
      - .offset:         104
        .size:           8
        .value_kind:     hidden_global_offset_x
      - .offset:         112
        .size:           8
        .value_kind:     hidden_global_offset_y
      - .offset:         120
        .size:           8
        .value_kind:     hidden_global_offset_z
      - .offset:         128
        .size:           2
        .value_kind:     hidden_grid_dims
    .group_segment_fixed_size: 0
    .kernarg_segment_align: 8
    .kernarg_segment_size: 320
    .language:       OpenCL C
    .language_version:
      - 2
      - 0
    .max_flat_workgroup_size: 1024
    .name:           _ZN9rocsolver6v33100L12restore_diagI19rocblas_complex_numIdEidPS3_EEvPT1_llT2_lT0_lS8_
    .private_segment_fixed_size: 0
    .sgpr_count:     21
    .sgpr_spill_count: 0
    .symbol:         _ZN9rocsolver6v33100L12restore_diagI19rocblas_complex_numIdEidPS3_EEvPT1_llT2_lT0_lS8_.kd
    .uniform_work_group_size: 1
    .uses_dynamic_stack: false
    .vgpr_count:     6
    .vgpr_spill_count: 0
    .wavefront_size: 64
  - .args:
      - .offset:         0
        .size:           4
        .value_kind:     by_value
      - .offset:         4
        .size:           4
        .value_kind:     by_value
      - .address_space:  global
        .offset:         8
        .size:           8
        .value_kind:     global_buffer
      - .offset:         16
        .size:           4
        .value_kind:     by_value
      - .offset:         20
        .size:           4
        .value_kind:     by_value
      - .offset:         24
        .size:           8
        .value_kind:     by_value
      - .address_space:  global
        .offset:         32
        .size:           8
        .value_kind:     global_buffer
      - .offset:         40
        .size:           8
        .value_kind:     by_value
      - .address_space:  global
        .offset:         48
        .size:           8
        .value_kind:     global_buffer
      - .offset:         56
        .size:           4
        .value_kind:     by_value
      - .offset:         64
        .size:           8
        .value_kind:     by_value
      - .offset:         72
        .size:           4
        .value_kind:     by_value
      - .offset:         76
        .size:           4
        .value_kind:     by_value
      - .offset:         80
        .size:           1
        .value_kind:     by_value
      - .offset:         88
        .size:           4
        .value_kind:     hidden_block_count_x
      - .offset:         92
        .size:           4
        .value_kind:     hidden_block_count_y
      - .offset:         96
        .size:           4
        .value_kind:     hidden_block_count_z
      - .offset:         100
        .size:           2
        .value_kind:     hidden_group_size_x
      - .offset:         102
        .size:           2
        .value_kind:     hidden_group_size_y
      - .offset:         104
        .size:           2
        .value_kind:     hidden_group_size_z
      - .offset:         106
        .size:           2
        .value_kind:     hidden_remainder_x
      - .offset:         108
        .size:           2
        .value_kind:     hidden_remainder_y
      - .offset:         110
        .size:           2
        .value_kind:     hidden_remainder_z
      - .offset:         128
        .size:           8
        .value_kind:     hidden_global_offset_x
      - .offset:         136
        .size:           8
        .value_kind:     hidden_global_offset_y
      - .offset:         144
        .size:           8
        .value_kind:     hidden_global_offset_z
      - .offset:         152
        .size:           2
        .value_kind:     hidden_grid_dims
    .group_segment_fixed_size: 0
    .kernarg_segment_align: 8
    .kernarg_segment_size: 344
    .language:       OpenCL C
    .language_version:
      - 2
      - 0
    .max_flat_workgroup_size: 1024
    .name:           _ZN9rocsolver6v33100L14set_triangularI19rocblas_complex_numIdEPS3_TnNSt9enable_ifIX18rocblas_is_complexIT_EEiE4typeELi0EEEviiT0_iilPS6_lSA_il15rocblas_direct_15rocblas_storev_b
    .private_segment_fixed_size: 0
    .sgpr_count:     27
    .sgpr_spill_count: 0
    .symbol:         _ZN9rocsolver6v33100L14set_triangularI19rocblas_complex_numIdEPS3_TnNSt9enable_ifIX18rocblas_is_complexIT_EEiE4typeELi0EEEviiT0_iilPS6_lSA_il15rocblas_direct_15rocblas_storev_b.kd
    .uniform_work_group_size: 1
    .uses_dynamic_stack: false
    .vgpr_count:     21
    .vgpr_spill_count: 0
    .wavefront_size: 64
  - .args:
      - .offset:         0
        .size:           4
        .value_kind:     by_value
      - .address_space:  global
        .offset:         8
        .size:           8
        .value_kind:     global_buffer
      - .offset:         16
        .size:           8
        .value_kind:     by_value
      - .offset:         24
        .size:           4
        .value_kind:     hidden_block_count_x
      - .offset:         28
        .size:           4
        .value_kind:     hidden_block_count_y
      - .offset:         32
        .size:           4
        .value_kind:     hidden_block_count_z
      - .offset:         36
        .size:           2
        .value_kind:     hidden_group_size_x
      - .offset:         38
        .size:           2
        .value_kind:     hidden_group_size_y
      - .offset:         40
        .size:           2
        .value_kind:     hidden_group_size_z
      - .offset:         42
        .size:           2
        .value_kind:     hidden_remainder_x
      - .offset:         44
        .size:           2
        .value_kind:     hidden_remainder_y
      - .offset:         46
        .size:           2
        .value_kind:     hidden_remainder_z
      - .offset:         64
        .size:           8
        .value_kind:     hidden_global_offset_x
      - .offset:         72
        .size:           8
        .value_kind:     hidden_global_offset_y
      - .offset:         80
        .size:           8
        .value_kind:     hidden_global_offset_z
      - .offset:         88
        .size:           2
        .value_kind:     hidden_grid_dims
    .group_segment_fixed_size: 0
    .kernarg_segment_align: 8
    .kernarg_segment_size: 280
    .language:       OpenCL C
    .language_version:
      - 2
      - 0
    .max_flat_workgroup_size: 1024
    .name:           _ZN9rocsolver6v33100L7set_tauI19rocblas_complex_numIdEEEviPT_l
    .private_segment_fixed_size: 0
    .sgpr_count:     12
    .sgpr_spill_count: 0
    .symbol:         _ZN9rocsolver6v33100L7set_tauI19rocblas_complex_numIdEEEviPT_l.kd
    .uniform_work_group_size: 1
    .uses_dynamic_stack: false
    .vgpr_count:     6
    .vgpr_spill_count: 0
    .wavefront_size: 64
  - .args:
      - .offset:         0
        .size:           4
        .value_kind:     by_value
      - .offset:         4
        .size:           4
        .value_kind:     by_value
      - .offset:         8
        .size:           4
        .value_kind:     by_value
      - .address_space:  global
        .offset:         16
        .size:           8
        .value_kind:     global_buffer
      - .offset:         24
        .size:           4
        .value_kind:     by_value
      - .offset:         28
        .size:           4
        .value_kind:     by_value
      - .offset:         32
        .size:           8
        .value_kind:     by_value
      - .address_space:  global
        .offset:         40
        .size:           8
        .value_kind:     global_buffer
      - .offset:         48
        .size:           8
        .value_kind:     by_value
      - .address_space:  global
        .offset:         56
        .size:           8
        .value_kind:     global_buffer
      - .offset:         64
        .size:           4
        .value_kind:     by_value
      - .offset:         72
        .size:           8
        .value_kind:     by_value
      - .offset:         80
        .size:           4
        .value_kind:     hidden_block_count_x
      - .offset:         84
        .size:           4
        .value_kind:     hidden_block_count_y
      - .offset:         88
        .size:           4
        .value_kind:     hidden_block_count_z
      - .offset:         92
        .size:           2
        .value_kind:     hidden_group_size_x
      - .offset:         94
        .size:           2
        .value_kind:     hidden_group_size_y
      - .offset:         96
        .size:           2
        .value_kind:     hidden_group_size_z
      - .offset:         98
        .size:           2
        .value_kind:     hidden_remainder_x
      - .offset:         100
        .size:           2
        .value_kind:     hidden_remainder_y
      - .offset:         102
        .size:           2
        .value_kind:     hidden_remainder_z
      - .offset:         120
        .size:           8
        .value_kind:     hidden_global_offset_x
      - .offset:         128
        .size:           8
        .value_kind:     hidden_global_offset_y
      - .offset:         136
        .size:           8
        .value_kind:     hidden_global_offset_z
      - .offset:         144
        .size:           2
        .value_kind:     hidden_grid_dims
      - .offset:         200
        .size:           4
        .value_kind:     hidden_dynamic_lds_size
    .group_segment_fixed_size: 0
    .kernarg_segment_align: 8
    .kernarg_segment_size: 336
    .language:       OpenCL C
    .language_version:
      - 2
      - 0
    .max_flat_workgroup_size: 1024
    .name:           _ZN9rocsolver6v33100L20larft_kernel_forwardI19rocblas_complex_numIdEPS3_EEv15rocblas_storev_iiT0_iilPT_lS8_il
    .private_segment_fixed_size: 0
    .sgpr_count:     60
    .sgpr_spill_count: 0
    .symbol:         _ZN9rocsolver6v33100L20larft_kernel_forwardI19rocblas_complex_numIdEPS3_EEv15rocblas_storev_iiT0_iilPT_lS8_il.kd
    .uniform_work_group_size: 1
    .uses_dynamic_stack: false
    .vgpr_count:     26
    .vgpr_spill_count: 0
    .wavefront_size: 64
  - .args:
      - .offset:         0
        .size:           4
        .value_kind:     by_value
      - .offset:         4
        .size:           4
        .value_kind:     by_value
      - .offset:         8
        .size:           4
        .value_kind:     by_value
      - .address_space:  global
        .offset:         16
        .size:           8
        .value_kind:     global_buffer
      - .offset:         24
        .size:           4
        .value_kind:     by_value
      - .offset:         28
        .size:           4
        .value_kind:     by_value
      - .offset:         32
        .size:           8
        .value_kind:     by_value
      - .address_space:  global
        .offset:         40
        .size:           8
        .value_kind:     global_buffer
      - .offset:         48
        .size:           8
        .value_kind:     by_value
      - .address_space:  global
        .offset:         56
        .size:           8
        .value_kind:     global_buffer
      - .offset:         64
        .size:           4
        .value_kind:     by_value
      - .offset:         72
        .size:           8
        .value_kind:     by_value
      - .offset:         80
        .size:           4
        .value_kind:     hidden_block_count_x
      - .offset:         84
        .size:           4
        .value_kind:     hidden_block_count_y
      - .offset:         88
        .size:           4
        .value_kind:     hidden_block_count_z
      - .offset:         92
        .size:           2
        .value_kind:     hidden_group_size_x
      - .offset:         94
        .size:           2
        .value_kind:     hidden_group_size_y
      - .offset:         96
        .size:           2
        .value_kind:     hidden_group_size_z
      - .offset:         98
        .size:           2
        .value_kind:     hidden_remainder_x
      - .offset:         100
        .size:           2
        .value_kind:     hidden_remainder_y
      - .offset:         102
        .size:           2
        .value_kind:     hidden_remainder_z
      - .offset:         120
        .size:           8
        .value_kind:     hidden_global_offset_x
      - .offset:         128
        .size:           8
        .value_kind:     hidden_global_offset_y
      - .offset:         136
        .size:           8
        .value_kind:     hidden_global_offset_z
      - .offset:         144
        .size:           2
        .value_kind:     hidden_grid_dims
      - .offset:         200
        .size:           4
        .value_kind:     hidden_dynamic_lds_size
    .group_segment_fixed_size: 0
    .kernarg_segment_align: 8
    .kernarg_segment_size: 336
    .language:       OpenCL C
    .language_version:
      - 2
      - 0
    .max_flat_workgroup_size: 1024
    .name:           _ZN9rocsolver6v33100L21larft_kernel_backwardI19rocblas_complex_numIdEPS3_EEv15rocblas_storev_iiT0_iilPT_lS8_il
    .private_segment_fixed_size: 0
    .sgpr_count:     60
    .sgpr_spill_count: 0
    .symbol:         _ZN9rocsolver6v33100L21larft_kernel_backwardI19rocblas_complex_numIdEPS3_EEv15rocblas_storev_iiT0_iilPT_lS8_il.kd
    .uniform_work_group_size: 1
    .uses_dynamic_stack: false
    .vgpr_count:     22
    .vgpr_spill_count: 0
    .wavefront_size: 64
  - .args:
      - .offset:         0
        .size:           4
        .value_kind:     by_value
      - .offset:         4
        .size:           4
        .value_kind:     by_value
      - .address_space:  global
        .offset:         8
        .size:           8
        .value_kind:     global_buffer
      - .offset:         16
        .size:           4
        .value_kind:     by_value
      - .offset:         20
        .size:           4
        .value_kind:     by_value
      - .offset:         24
        .size:           8
        .value_kind:     by_value
      - .address_space:  global
        .offset:         32
        .size:           8
        .value_kind:     global_buffer
      - .offset:         40
        .size:           4
        .value_kind:     hidden_block_count_x
      - .offset:         44
        .size:           4
        .value_kind:     hidden_block_count_y
      - .offset:         48
        .size:           4
        .value_kind:     hidden_block_count_z
      - .offset:         52
        .size:           2
        .value_kind:     hidden_group_size_x
      - .offset:         54
        .size:           2
        .value_kind:     hidden_group_size_y
      - .offset:         56
        .size:           2
        .value_kind:     hidden_group_size_z
      - .offset:         58
        .size:           2
        .value_kind:     hidden_remainder_x
      - .offset:         60
        .size:           2
        .value_kind:     hidden_remainder_y
      - .offset:         62
        .size:           2
        .value_kind:     hidden_remainder_z
      - .offset:         80
        .size:           8
        .value_kind:     hidden_global_offset_x
      - .offset:         88
        .size:           8
        .value_kind:     hidden_global_offset_y
      - .offset:         96
        .size:           8
        .value_kind:     hidden_global_offset_z
      - .offset:         104
        .size:           2
        .value_kind:     hidden_grid_dims
    .group_segment_fixed_size: 0
    .kernarg_segment_align: 8
    .kernarg_segment_size: 296
    .language:       OpenCL C
    .language_version:
      - 2
      - 0
    .max_flat_workgroup_size: 1024
    .name:           _ZN9rocsolver6v33100L9copymatA1I19rocblas_complex_numIdEPS3_EEviiT0_iilPT_
    .private_segment_fixed_size: 0
    .sgpr_count:     24
    .sgpr_spill_count: 0
    .symbol:         _ZN9rocsolver6v33100L9copymatA1I19rocblas_complex_numIdEPS3_EEviiT0_iilPT_.kd
    .uniform_work_group_size: 1
    .uses_dynamic_stack: false
    .vgpr_count:     8
    .vgpr_spill_count: 0
    .wavefront_size: 64
  - .args:
      - .offset:         0
        .size:           4
        .value_kind:     by_value
      - .offset:         4
        .size:           4
        .value_kind:     by_value
      - .address_space:  global
        .offset:         8
        .size:           8
        .value_kind:     global_buffer
      - .offset:         16
        .size:           4
        .value_kind:     by_value
      - .offset:         20
        .size:           4
        .value_kind:     by_value
      - .offset:         24
        .size:           8
        .value_kind:     by_value
      - .address_space:  global
        .offset:         32
        .size:           8
        .value_kind:     global_buffer
      - .offset:         40
        .size:           4
        .value_kind:     hidden_block_count_x
      - .offset:         44
        .size:           4
        .value_kind:     hidden_block_count_y
      - .offset:         48
        .size:           4
        .value_kind:     hidden_block_count_z
      - .offset:         52
        .size:           2
        .value_kind:     hidden_group_size_x
      - .offset:         54
        .size:           2
        .value_kind:     hidden_group_size_y
      - .offset:         56
        .size:           2
        .value_kind:     hidden_group_size_z
      - .offset:         58
        .size:           2
        .value_kind:     hidden_remainder_x
      - .offset:         60
        .size:           2
        .value_kind:     hidden_remainder_y
      - .offset:         62
        .size:           2
        .value_kind:     hidden_remainder_z
      - .offset:         80
        .size:           8
        .value_kind:     hidden_global_offset_x
      - .offset:         88
        .size:           8
        .value_kind:     hidden_global_offset_y
      - .offset:         96
        .size:           8
        .value_kind:     hidden_global_offset_z
      - .offset:         104
        .size:           2
        .value_kind:     hidden_grid_dims
    .group_segment_fixed_size: 0
    .kernarg_segment_align: 8
    .kernarg_segment_size: 296
    .language:       OpenCL C
    .language_version:
      - 2
      - 0
    .max_flat_workgroup_size: 1024
    .name:           _ZN9rocsolver6v33100L8addmatA1I19rocblas_complex_numIdEPS3_EEviiT0_iilPT_
    .private_segment_fixed_size: 0
    .sgpr_count:     24
    .sgpr_spill_count: 0
    .symbol:         _ZN9rocsolver6v33100L8addmatA1I19rocblas_complex_numIdEPS3_EEviiT0_iilPT_.kd
    .uniform_work_group_size: 1
    .uses_dynamic_stack: false
    .vgpr_count:     12
    .vgpr_spill_count: 0
    .wavefront_size: 64
  - .args:
      - .offset:         0
        .size:           4
        .value_kind:     by_value
      - .address_space:  global
        .offset:         8
        .size:           8
        .value_kind:     global_buffer
      - .offset:         16
        .size:           8
        .value_kind:     by_value
      - .address_space:  global
        .offset:         24
        .size:           8
        .value_kind:     global_buffer
      - .offset:         32
        .size:           4
        .value_kind:     by_value
      - .offset:         40
        .size:           8
        .value_kind:     by_value
      - .address_space:  global
        .offset:         48
        .size:           8
        .value_kind:     global_buffer
      - .offset:         56
        .size:           4
        .value_kind:     by_value
      - .offset:         64
        .size:           8
        .value_kind:     by_value
      - .offset:         72
        .size:           4
        .value_kind:     hidden_block_count_x
      - .offset:         76
        .size:           4
        .value_kind:     hidden_block_count_y
      - .offset:         80
        .size:           4
        .value_kind:     hidden_block_count_z
      - .offset:         84
        .size:           2
        .value_kind:     hidden_group_size_x
      - .offset:         86
        .size:           2
        .value_kind:     hidden_group_size_y
      - .offset:         88
        .size:           2
        .value_kind:     hidden_group_size_z
      - .offset:         90
        .size:           2
        .value_kind:     hidden_remainder_x
      - .offset:         92
        .size:           2
        .value_kind:     hidden_remainder_y
      - .offset:         94
        .size:           2
        .value_kind:     hidden_remainder_z
      - .offset:         112
        .size:           8
        .value_kind:     hidden_global_offset_x
      - .offset:         120
        .size:           8
        .value_kind:     hidden_global_offset_y
      - .offset:         128
        .size:           8
        .value_kind:     hidden_global_offset_z
      - .offset:         136
        .size:           2
        .value_kind:     hidden_grid_dims
    .group_segment_fixed_size: 0
    .kernarg_segment_align: 8
    .kernarg_segment_size: 328
    .language:       OpenCL C
    .language_version:
      - 2
      - 0
    .max_flat_workgroup_size: 1024
    .name:           _ZN9rocsolver6v33100L15gesvdj_finalizeI19rocblas_complex_numIdEdEEviPT0_lPT_ilS7_il
    .private_segment_fixed_size: 0
    .sgpr_count:     26
    .sgpr_spill_count: 0
    .symbol:         _ZN9rocsolver6v33100L15gesvdj_finalizeI19rocblas_complex_numIdEdEEviPT0_lPT_ilS7_il.kd
    .uniform_work_group_size: 1
    .uses_dynamic_stack: false
    .vgpr_count:     8
    .vgpr_spill_count: 0
    .wavefront_size: 64
  - .args:
      - .offset:         0
        .size:           4
        .value_kind:     by_value
      - .offset:         4
        .size:           4
        .value_kind:     by_value
      - .offset:         8
        .size:           4
        .value_kind:     by_value
      - .address_space:  global
        .offset:         16
        .size:           8
        .value_kind:     global_buffer
      - .offset:         24
        .size:           4
        .value_kind:     by_value
      - .offset:         28
        .size:           4
        .value_kind:     by_value
      - .offset:         32
        .size:           8
        .value_kind:     by_value
      - .offset:         40
        .size:           4
        .value_kind:     hidden_block_count_x
      - .offset:         44
        .size:           4
        .value_kind:     hidden_block_count_y
      - .offset:         48
        .size:           4
        .value_kind:     hidden_block_count_z
      - .offset:         52
        .size:           2
        .value_kind:     hidden_group_size_x
      - .offset:         54
        .size:           2
        .value_kind:     hidden_group_size_y
      - .offset:         56
        .size:           2
        .value_kind:     hidden_group_size_z
      - .offset:         58
        .size:           2
        .value_kind:     hidden_remainder_x
      - .offset:         60
        .size:           2
        .value_kind:     hidden_remainder_y
      - .offset:         62
        .size:           2
        .value_kind:     hidden_remainder_z
      - .offset:         80
        .size:           8
        .value_kind:     hidden_global_offset_x
      - .offset:         88
        .size:           8
        .value_kind:     hidden_global_offset_y
      - .offset:         96
        .size:           8
        .value_kind:     hidden_global_offset_z
      - .offset:         104
        .size:           2
        .value_kind:     hidden_grid_dims
    .group_segment_fixed_size: 0
    .kernarg_segment_align: 8
    .kernarg_segment_size: 296
    .language:       OpenCL C
    .language_version:
      - 2
      - 0
    .max_flat_workgroup_size: 1024
    .name:           _ZN9rocsolver6v33100L16org2r_init_identI19rocblas_complex_numIdEPS3_EEviiiT0_iil
    .private_segment_fixed_size: 0
    .sgpr_count:     20
    .sgpr_spill_count: 0
    .symbol:         _ZN9rocsolver6v33100L16org2r_init_identI19rocblas_complex_numIdEPS3_EEviiiT0_iil.kd
    .uniform_work_group_size: 1
    .uses_dynamic_stack: false
    .vgpr_count:     6
    .vgpr_spill_count: 0
    .wavefront_size: 64
  - .args:
      - .offset:         0
        .size:           4
        .value_kind:     by_value
      - .offset:         4
        .size:           4
        .value_kind:     by_value
      - .address_space:  global
        .offset:         8
        .size:           8
        .value_kind:     global_buffer
      - .offset:         16
        .size:           4
        .value_kind:     by_value
      - .offset:         20
        .size:           4
        .value_kind:     by_value
      - .offset:         24
        .size:           8
        .value_kind:     by_value
      - .address_space:  global
        .offset:         32
        .size:           8
        .value_kind:     global_buffer
      - .offset:         40
        .size:           8
        .value_kind:     by_value
    .group_segment_fixed_size: 0
    .kernarg_segment_align: 8
    .kernarg_segment_size: 48
    .language:       OpenCL C
    .language_version:
      - 2
      - 0
    .max_flat_workgroup_size: 1024
    .name:           _ZN9rocsolver6v33100L12subtract_tauI19rocblas_complex_numIdEPS3_EEviiT0_iilPT_l
    .private_segment_fixed_size: 0
    .sgpr_count:     20
    .sgpr_spill_count: 0
    .symbol:         _ZN9rocsolver6v33100L12subtract_tauI19rocblas_complex_numIdEPS3_EEviiT0_iilPT_l.kd
    .uniform_work_group_size: 1
    .uses_dynamic_stack: false
    .vgpr_count:     5
    .vgpr_spill_count: 0
    .wavefront_size: 64
  - .args:
      - .offset:         0
        .size:           4
        .value_kind:     by_value
      - .address_space:  global
        .offset:         8
        .size:           8
        .value_kind:     global_buffer
      - .offset:         16
        .size:           8
        .value_kind:     by_value
      - .offset:         24
        .size:           4
        .value_kind:     hidden_block_count_x
      - .offset:         28
        .size:           4
        .value_kind:     hidden_block_count_y
      - .offset:         32
        .size:           4
        .value_kind:     hidden_block_count_z
      - .offset:         36
        .size:           2
        .value_kind:     hidden_group_size_x
      - .offset:         38
        .size:           2
        .value_kind:     hidden_group_size_y
      - .offset:         40
        .size:           2
        .value_kind:     hidden_group_size_z
      - .offset:         42
        .size:           2
        .value_kind:     hidden_remainder_x
      - .offset:         44
        .size:           2
        .value_kind:     hidden_remainder_y
      - .offset:         46
        .size:           2
        .value_kind:     hidden_remainder_z
      - .offset:         64
        .size:           8
        .value_kind:     hidden_global_offset_x
      - .offset:         72
        .size:           8
        .value_kind:     hidden_global_offset_y
      - .offset:         80
        .size:           8
        .value_kind:     hidden_global_offset_z
      - .offset:         88
        .size:           2
        .value_kind:     hidden_grid_dims
    .group_segment_fixed_size: 0
    .kernarg_segment_align: 8
    .kernarg_segment_size: 280
    .language:       OpenCL C
    .language_version:
      - 2
      - 0
    .max_flat_workgroup_size: 1024
    .name:           _ZN9rocsolver6v33100L6restauI19rocblas_complex_numIdEEEviPT_l
    .private_segment_fixed_size: 0
    .sgpr_count:     12
    .sgpr_spill_count: 0
    .symbol:         _ZN9rocsolver6v33100L6restauI19rocblas_complex_numIdEEEviPT_l.kd
    .uniform_work_group_size: 1
    .uses_dynamic_stack: false
    .vgpr_count:     6
    .vgpr_spill_count: 0
    .wavefront_size: 64
  - .args:
      - .offset:         0
        .size:           4
        .value_kind:     by_value
      - .offset:         4
        .size:           4
        .value_kind:     by_value
      - .address_space:  global
        .offset:         8
        .size:           8
        .value_kind:     global_buffer
      - .offset:         16
        .size:           4
        .value_kind:     by_value
      - .offset:         20
        .size:           4
        .value_kind:     by_value
      - .offset:         24
        .size:           8
        .value_kind:     by_value
      - .offset:         32
        .size:           4
        .value_kind:     by_value
      - .offset:         40
        .size:           4
        .value_kind:     hidden_block_count_x
      - .offset:         44
        .size:           4
        .value_kind:     hidden_block_count_y
      - .offset:         48
        .size:           4
        .value_kind:     hidden_block_count_z
      - .offset:         52
        .size:           2
        .value_kind:     hidden_group_size_x
      - .offset:         54
        .size:           2
        .value_kind:     hidden_group_size_y
      - .offset:         56
        .size:           2
        .value_kind:     hidden_group_size_z
      - .offset:         58
        .size:           2
        .value_kind:     hidden_remainder_x
      - .offset:         60
        .size:           2
        .value_kind:     hidden_remainder_y
      - .offset:         62
        .size:           2
        .value_kind:     hidden_remainder_z
      - .offset:         80
        .size:           8
        .value_kind:     hidden_global_offset_x
      - .offset:         88
        .size:           8
        .value_kind:     hidden_global_offset_y
      - .offset:         96
        .size:           8
        .value_kind:     hidden_global_offset_z
      - .offset:         104
        .size:           2
        .value_kind:     hidden_grid_dims
    .group_segment_fixed_size: 0
    .kernarg_segment_align: 8
    .kernarg_segment_size: 296
    .language:       OpenCL C
    .language_version:
      - 2
      - 0
    .max_flat_workgroup_size: 1024
    .name:           _ZN9rocsolver6v33100L8set_zeroI19rocblas_complex_numIdEPS3_EEviiT0_iil13rocblas_fill_
    .private_segment_fixed_size: 0
    .sgpr_count:     13
    .sgpr_spill_count: 0
    .symbol:         _ZN9rocsolver6v33100L8set_zeroI19rocblas_complex_numIdEPS3_EEviiT0_iil13rocblas_fill_.kd
    .uniform_work_group_size: 1
    .uses_dynamic_stack: false
    .vgpr_count:     6
    .vgpr_spill_count: 0
    .wavefront_size: 64
  - .args:
      - .offset:         0
        .size:           4
        .value_kind:     by_value
      - .offset:         4
        .size:           4
        .value_kind:     by_value
      - .offset:         8
        .size:           4
        .value_kind:     by_value
      - .address_space:  global
        .offset:         16
        .size:           8
        .value_kind:     global_buffer
      - .offset:         24
        .size:           4
        .value_kind:     by_value
      - .offset:         28
        .size:           4
        .value_kind:     by_value
      - .offset:         32
        .size:           8
        .value_kind:     by_value
      - .address_space:  global
        .offset:         40
        .size:           8
        .value_kind:     global_buffer
      - .offset:         48
        .size:           4
        .value_kind:     by_value
      - .offset:         52
        .size:           4
        .value_kind:     by_value
      - .offset:         56
        .size:           8
        .value_kind:     by_value
      - .offset:         64
        .size:           1
        .value_kind:     by_value
      - .offset:         68
        .size:           4
        .value_kind:     by_value
      - .offset:         72
        .size:           4
        .value_kind:     by_value
      - .offset:         80
        .size:           4
        .value_kind:     hidden_block_count_x
      - .offset:         84
        .size:           4
        .value_kind:     hidden_block_count_y
      - .offset:         88
        .size:           4
        .value_kind:     hidden_block_count_z
      - .offset:         92
        .size:           2
        .value_kind:     hidden_group_size_x
      - .offset:         94
        .size:           2
        .value_kind:     hidden_group_size_y
      - .offset:         96
        .size:           2
        .value_kind:     hidden_group_size_z
      - .offset:         98
        .size:           2
        .value_kind:     hidden_remainder_x
      - .offset:         100
        .size:           2
        .value_kind:     hidden_remainder_y
      - .offset:         102
        .size:           2
        .value_kind:     hidden_remainder_z
      - .offset:         120
        .size:           8
        .value_kind:     hidden_global_offset_x
      - .offset:         128
        .size:           8
        .value_kind:     hidden_global_offset_y
      - .offset:         136
        .size:           8
        .value_kind:     hidden_global_offset_z
      - .offset:         144
        .size:           2
        .value_kind:     hidden_grid_dims
    .group_segment_fixed_size: 0
    .kernarg_segment_align: 8
    .kernarg_segment_size: 336
    .language:       OpenCL C
    .language_version:
      - 2
      - 0
    .max_flat_workgroup_size: 1024
    .name:           _ZN9rocsolver6v33100L14copy_trans_matI19rocblas_complex_numIdES3_PS3_S4_NS0_7no_maskEEEv18rocblas_operation_iiT1_iilT2_iilT3_13rocblas_fill_17rocblas_diagonal_
    .private_segment_fixed_size: 0
    .sgpr_count:     28
    .sgpr_spill_count: 0
    .symbol:         _ZN9rocsolver6v33100L14copy_trans_matI19rocblas_complex_numIdES3_PS3_S4_NS0_7no_maskEEEv18rocblas_operation_iiT1_iilT2_iilT3_13rocblas_fill_17rocblas_diagonal_.kd
    .uniform_work_group_size: 1
    .uses_dynamic_stack: false
    .vgpr_count:     11
    .vgpr_spill_count: 0
    .wavefront_size: 64
  - .args:
      - .address_space:  global
        .offset:         0
        .size:           8
        .value_kind:     global_buffer
      - .offset:         8
        .size:           8
        .value_kind:     by_value
      - .offset:         16
        .size:           8
        .value_kind:     by_value
      - .address_space:  global
        .offset:         24
        .size:           8
        .value_kind:     global_buffer
      - .offset:         32
        .size:           8
        .value_kind:     by_value
      - .offset:         40
        .size:           4
        .value_kind:     by_value
      - .offset:         48
        .size:           8
        .value_kind:     by_value
      - .offset:         56
        .size:           4
        .value_kind:     by_value
      - .offset:         60
        .size:           1
        .value_kind:     by_value
      - .offset:         64
        .size:           4
        .value_kind:     hidden_block_count_x
      - .offset:         68
        .size:           4
        .value_kind:     hidden_block_count_y
      - .offset:         72
        .size:           4
        .value_kind:     hidden_block_count_z
      - .offset:         76
        .size:           2
        .value_kind:     hidden_group_size_x
      - .offset:         78
        .size:           2
        .value_kind:     hidden_group_size_y
      - .offset:         80
        .size:           2
        .value_kind:     hidden_group_size_z
      - .offset:         82
        .size:           2
        .value_kind:     hidden_remainder_x
      - .offset:         84
        .size:           2
        .value_kind:     hidden_remainder_y
      - .offset:         86
        .size:           2
        .value_kind:     hidden_remainder_z
      - .offset:         104
        .size:           8
        .value_kind:     hidden_global_offset_x
      - .offset:         112
        .size:           8
        .value_kind:     hidden_global_offset_y
      - .offset:         120
        .size:           8
        .value_kind:     hidden_global_offset_z
      - .offset:         128
        .size:           2
        .value_kind:     hidden_grid_dims
    .group_segment_fixed_size: 0
    .kernarg_segment_align: 8
    .kernarg_segment_size: 320
    .language:       OpenCL C
    .language_version:
      - 2
      - 0
    .max_flat_workgroup_size: 1024
    .name:           _ZN9rocsolver6v33100L8set_diagI19rocblas_complex_numIdEiS3_PS3_TnNSt9enable_ifIXoont18rocblas_is_complexIT_E18rocblas_is_complexIT1_EEiE4typeELi0EEEvPS7_llT2_lT0_lSC_b
    .private_segment_fixed_size: 0
    .sgpr_count:     23
    .sgpr_spill_count: 0
    .symbol:         _ZN9rocsolver6v33100L8set_diagI19rocblas_complex_numIdEiS3_PS3_TnNSt9enable_ifIXoont18rocblas_is_complexIT_E18rocblas_is_complexIT1_EEiE4typeELi0EEEvPS7_llT2_lT0_lSC_b.kd
    .uniform_work_group_size: 1
    .uses_dynamic_stack: false
    .vgpr_count:     10
    .vgpr_spill_count: 0
    .wavefront_size: 64
  - .args:
      - .address_space:  global
        .offset:         0
        .size:           8
        .value_kind:     global_buffer
      - .offset:         8
        .size:           8
        .value_kind:     by_value
      - .offset:         16
        .size:           8
        .value_kind:     by_value
      - .address_space:  global
        .offset:         24
        .size:           8
        .value_kind:     global_buffer
      - .offset:         32
        .size:           8
        .value_kind:     by_value
      - .offset:         40
        .size:           4
        .value_kind:     by_value
      - .offset:         48
        .size:           8
        .value_kind:     by_value
      - .offset:         56
        .size:           4
        .value_kind:     by_value
      - .offset:         64
        .size:           4
        .value_kind:     hidden_block_count_x
      - .offset:         68
        .size:           4
        .value_kind:     hidden_block_count_y
      - .offset:         72
        .size:           4
        .value_kind:     hidden_block_count_z
      - .offset:         76
        .size:           2
        .value_kind:     hidden_group_size_x
      - .offset:         78
        .size:           2
        .value_kind:     hidden_group_size_y
      - .offset:         80
        .size:           2
        .value_kind:     hidden_group_size_z
      - .offset:         82
        .size:           2
        .value_kind:     hidden_remainder_x
      - .offset:         84
        .size:           2
        .value_kind:     hidden_remainder_y
      - .offset:         86
        .size:           2
        .value_kind:     hidden_remainder_z
      - .offset:         104
        .size:           8
        .value_kind:     hidden_global_offset_x
      - .offset:         112
        .size:           8
        .value_kind:     hidden_global_offset_y
      - .offset:         120
        .size:           8
        .value_kind:     hidden_global_offset_z
      - .offset:         128
        .size:           2
        .value_kind:     hidden_grid_dims
    .group_segment_fixed_size: 0
    .kernarg_segment_align: 8
    .kernarg_segment_size: 320
    .language:       OpenCL C
    .language_version:
      - 2
      - 0
    .max_flat_workgroup_size: 1024
    .name:           _ZN9rocsolver6v33100L12restore_diagI19rocblas_complex_numIdEiS3_PS3_EEvPT1_llT2_lT0_lS8_
    .private_segment_fixed_size: 0
    .sgpr_count:     21
    .sgpr_spill_count: 0
    .symbol:         _ZN9rocsolver6v33100L12restore_diagI19rocblas_complex_numIdEiS3_PS3_EEvPT1_llT2_lT0_lS8_.kd
    .uniform_work_group_size: 1
    .uses_dynamic_stack: false
    .vgpr_count:     7
    .vgpr_spill_count: 0
    .wavefront_size: 64
  - .args:
      - .offset:         0
        .size:           4
        .value_kind:     by_value
      - .offset:         4
        .size:           4
        .value_kind:     by_value
      - .offset:         8
        .size:           4
        .value_kind:     by_value
      - .address_space:  global
        .offset:         16
        .size:           8
        .value_kind:     global_buffer
      - .offset:         24
        .size:           4
        .value_kind:     by_value
      - .offset:         28
        .size:           4
        .value_kind:     by_value
      - .offset:         32
        .size:           8
        .value_kind:     by_value
      - .offset:         40
        .size:           4
        .value_kind:     hidden_block_count_x
      - .offset:         44
        .size:           4
        .value_kind:     hidden_block_count_y
      - .offset:         48
        .size:           4
        .value_kind:     hidden_block_count_z
      - .offset:         52
        .size:           2
        .value_kind:     hidden_group_size_x
      - .offset:         54
        .size:           2
        .value_kind:     hidden_group_size_y
      - .offset:         56
        .size:           2
        .value_kind:     hidden_group_size_z
      - .offset:         58
        .size:           2
        .value_kind:     hidden_remainder_x
      - .offset:         60
        .size:           2
        .value_kind:     hidden_remainder_y
      - .offset:         62
        .size:           2
        .value_kind:     hidden_remainder_z
      - .offset:         80
        .size:           8
        .value_kind:     hidden_global_offset_x
      - .offset:         88
        .size:           8
        .value_kind:     hidden_global_offset_y
      - .offset:         96
        .size:           8
        .value_kind:     hidden_global_offset_z
      - .offset:         104
        .size:           2
        .value_kind:     hidden_grid_dims
    .group_segment_fixed_size: 0
    .kernarg_segment_align: 8
    .kernarg_segment_size: 296
    .language:       OpenCL C
    .language_version:
      - 2
      - 0
    .max_flat_workgroup_size: 1024
    .name:           _ZN9rocsolver6v33100L16orgl2_init_identI19rocblas_complex_numIdEPS3_EEviiiT0_iil
    .private_segment_fixed_size: 0
    .sgpr_count:     20
    .sgpr_spill_count: 0
    .symbol:         _ZN9rocsolver6v33100L16orgl2_init_identI19rocblas_complex_numIdEPS3_EEviiiT0_iil.kd
    .uniform_work_group_size: 1
    .uses_dynamic_stack: false
    .vgpr_count:     6
    .vgpr_spill_count: 0
    .wavefront_size: 64
amdhsa.target:   amdgcn-amd-amdhsa--gfx906
amdhsa.version:
  - 1
  - 2
...

	.end_amdgpu_metadata
